;; amdgpu-corpus repo=ROCm/rocSOLVER kind=compiled arch=gfx1100 opt=O3
	.text
	.amdgcn_target "amdgcn-amd-amdhsa--gfx1100"
	.amdhsa_code_object_version 6
	.section	.text._ZN9rocsolver6v33100L6iota_nIfEEvPT_jS2_,"axG",@progbits,_ZN9rocsolver6v33100L6iota_nIfEEvPT_jS2_,comdat
	.globl	_ZN9rocsolver6v33100L6iota_nIfEEvPT_jS2_ ; -- Begin function _ZN9rocsolver6v33100L6iota_nIfEEvPT_jS2_
	.p2align	8
	.type	_ZN9rocsolver6v33100L6iota_nIfEEvPT_jS2_,@function
_ZN9rocsolver6v33100L6iota_nIfEEvPT_jS2_: ; @_ZN9rocsolver6v33100L6iota_nIfEEvPT_jS2_
; %bb.0:
	s_load_b64 s[2:3], s[0:1], 0x8
	s_waitcnt lgkmcnt(0)
	v_cmp_gt_u32_e32 vcc_lo, s2, v0
	s_and_saveexec_b32 s2, vcc_lo
	s_cbranch_execz .LBB0_2
; %bb.1:
	s_load_b64 s[0:1], s[0:1], 0x0
	v_cvt_f32_ubyte0_e32 v1, v0
	s_delay_alu instid0(VALU_DEP_1)
	v_dual_add_f32 v1, s3, v1 :: v_dual_lshlrev_b32 v0, 2, v0
	s_waitcnt lgkmcnt(0)
	global_store_b32 v0, v1, s[0:1]
.LBB0_2:
	s_nop 0
	s_sendmsg sendmsg(MSG_DEALLOC_VGPRS)
	s_endpgm
	.section	.rodata,"a",@progbits
	.p2align	6, 0x0
	.amdhsa_kernel _ZN9rocsolver6v33100L6iota_nIfEEvPT_jS2_
		.amdhsa_group_segment_fixed_size 0
		.amdhsa_private_segment_fixed_size 0
		.amdhsa_kernarg_size 16
		.amdhsa_user_sgpr_count 15
		.amdhsa_user_sgpr_dispatch_ptr 0
		.amdhsa_user_sgpr_queue_ptr 0
		.amdhsa_user_sgpr_kernarg_segment_ptr 1
		.amdhsa_user_sgpr_dispatch_id 0
		.amdhsa_user_sgpr_private_segment_size 0
		.amdhsa_wavefront_size32 1
		.amdhsa_uses_dynamic_stack 0
		.amdhsa_enable_private_segment 0
		.amdhsa_system_sgpr_workgroup_id_x 1
		.amdhsa_system_sgpr_workgroup_id_y 0
		.amdhsa_system_sgpr_workgroup_id_z 0
		.amdhsa_system_sgpr_workgroup_info 0
		.amdhsa_system_vgpr_workitem_id 0
		.amdhsa_next_free_vgpr 2
		.amdhsa_next_free_sgpr 4
		.amdhsa_reserve_vcc 1
		.amdhsa_float_round_mode_32 0
		.amdhsa_float_round_mode_16_64 0
		.amdhsa_float_denorm_mode_32 3
		.amdhsa_float_denorm_mode_16_64 3
		.amdhsa_dx10_clamp 1
		.amdhsa_ieee_mode 1
		.amdhsa_fp16_overflow 0
		.amdhsa_workgroup_processor_mode 1
		.amdhsa_memory_ordered 1
		.amdhsa_forward_progress 0
		.amdhsa_shared_vgpr_count 0
		.amdhsa_exception_fp_ieee_invalid_op 0
		.amdhsa_exception_fp_denorm_src 0
		.amdhsa_exception_fp_ieee_div_zero 0
		.amdhsa_exception_fp_ieee_overflow 0
		.amdhsa_exception_fp_ieee_underflow 0
		.amdhsa_exception_fp_ieee_inexact 0
		.amdhsa_exception_int_div_zero 0
	.end_amdhsa_kernel
	.section	.text._ZN9rocsolver6v33100L6iota_nIfEEvPT_jS2_,"axG",@progbits,_ZN9rocsolver6v33100L6iota_nIfEEvPT_jS2_,comdat
.Lfunc_end0:
	.size	_ZN9rocsolver6v33100L6iota_nIfEEvPT_jS2_, .Lfunc_end0-_ZN9rocsolver6v33100L6iota_nIfEEvPT_jS2_
                                        ; -- End function
	.section	.AMDGPU.csdata,"",@progbits
; Kernel info:
; codeLenInByte = 72
; NumSgprs: 6
; NumVgprs: 2
; ScratchSize: 0
; MemoryBound: 0
; FloatMode: 240
; IeeeMode: 1
; LDSByteSize: 0 bytes/workgroup (compile time only)
; SGPRBlocks: 0
; VGPRBlocks: 0
; NumSGPRsForWavesPerEU: 6
; NumVGPRsForWavesPerEU: 2
; Occupancy: 16
; WaveLimiterHint : 0
; COMPUTE_PGM_RSRC2:SCRATCH_EN: 0
; COMPUTE_PGM_RSRC2:USER_SGPR: 15
; COMPUTE_PGM_RSRC2:TRAP_HANDLER: 0
; COMPUTE_PGM_RSRC2:TGID_X_EN: 1
; COMPUTE_PGM_RSRC2:TGID_Y_EN: 0
; COMPUTE_PGM_RSRC2:TGID_Z_EN: 0
; COMPUTE_PGM_RSRC2:TIDIG_COMP_CNT: 0
	.section	.text._ZN9rocsolver6v33100L18geqr2_kernel_smallILi256EfifPfEEvT1_S3_T3_lS3_lPT2_lPT0_l,"axG",@progbits,_ZN9rocsolver6v33100L18geqr2_kernel_smallILi256EfifPfEEvT1_S3_T3_lS3_lPT2_lPT0_l,comdat
	.globl	_ZN9rocsolver6v33100L18geqr2_kernel_smallILi256EfifPfEEvT1_S3_T3_lS3_lPT2_lPT0_l ; -- Begin function _ZN9rocsolver6v33100L18geqr2_kernel_smallILi256EfifPfEEvT1_S3_T3_lS3_lPT2_lPT0_l
	.p2align	8
	.type	_ZN9rocsolver6v33100L18geqr2_kernel_smallILi256EfifPfEEvT1_S3_T3_lS3_lPT2_lPT0_l,@function
_ZN9rocsolver6v33100L18geqr2_kernel_smallILi256EfifPfEEvT1_S3_T3_lS3_lPT2_lPT0_l: ; @_ZN9rocsolver6v33100L18geqr2_kernel_smallILi256EfifPfEEvT1_S3_T3_lS3_lPT2_lPT0_l
; %bb.0:
	s_clause 0x4
	s_load_b256 s[4:11], s[0:1], 0x20
	s_load_b64 s[12:13], s[0:1], 0x0
	s_load_b128 s[24:27], s[0:1], 0x8
	s_load_b32 s16, s[0:1], 0x18
	s_load_b64 s[2:3], s[0:1], 0x40
	s_ashr_i32 s20, s15, 31
	v_and_b32_e32 v1, 0x7f, v0
	v_lshrrev_b32_e32 v5, 7, v0
	s_delay_alu instid0(VALU_DEP_2)
	v_lshlrev_b32_e32 v6, 2, v1
	s_waitcnt lgkmcnt(0)
	s_mul_i32 s0, s15, s5
	s_mul_hi_u32 s1, s15, s4
	s_mul_i32 s5, s20, s4
	s_add_i32 s1, s1, s0
	s_mul_i32 s0, s15, s4
	s_add_i32 s1, s1, s5
	s_delay_alu instid0(SALU_CYCLE_1) | instskip(SKIP_4) | instid1(SALU_CYCLE_1)
	s_lshl_b64 s[4:5], s[0:1], 2
	v_cmp_gt_i32_e64 s0, s12, v1
	s_add_u32 s1, s24, s4
	s_addc_u32 s4, s25, s5
	s_lshl_b64 s[18:19], s[26:27], 2
	s_add_u32 s5, s1, s18
	s_addc_u32 s14, s4, s19
	s_and_saveexec_b32 s4, s0
	s_cbranch_execz .LBB1_6
; %bb.1:
	v_lshrrev_b32_e32 v7, 7, v0
	s_mov_b32 s17, 0
	s_lshl_b32 s18, s12, 3
	s_lshl_b32 s19, s16, 1
	v_mov_b32_e32 v9, v1
	v_mul_lo_u32 v2, s12, v7
	v_cmp_gt_i32_e32 vcc_lo, s13, v7
	s_delay_alu instid0(VALU_DEP_2) | instskip(SKIP_1) | instid1(VALU_DEP_2)
	v_lshlrev_b32_e32 v4, 2, v2
	v_mad_u64_u32 v[2:3], null, s16, v7, v[1:2]
	v_add3_u32 v8, v4, v6, 0
	s_set_inst_prefetch_distance 0x1
	s_branch .LBB1_3
	.p2align	6
.LBB1_2:                                ;   in Loop: Header=BB1_3 Depth=1
	s_or_b32 exec_lo, exec_lo, s21
	v_add_nc_u32_e32 v9, 0x80, v9
	v_add_nc_u32_e32 v8, 0x200, v8
	;; [unrolled: 1-line block ×3, first 2 shown]
	s_delay_alu instid0(VALU_DEP_3) | instskip(NEXT) | instid1(VALU_DEP_1)
	v_cmp_le_i32_e64 s1, s12, v9
	s_or_b32 s17, s1, s17
	s_delay_alu instid0(SALU_CYCLE_1)
	s_and_not1_b32 exec_lo, exec_lo, s17
	s_cbranch_execz .LBB1_6
.LBB1_3:                                ; =>This Loop Header: Depth=1
                                        ;     Child Loop BB1_5 Depth 2
	s_and_saveexec_b32 s21, vcc_lo
	s_cbranch_execz .LBB1_2
; %bb.4:                                ;   in Loop: Header=BB1_3 Depth=1
	s_delay_alu instid0(VALU_DEP_2)
	v_dual_mov_b32 v3, v2 :: v_dual_mov_b32 v10, v8
	v_mov_b32_e32 v11, v7
	s_mov_b32 s22, 0
	.p2align	6
.LBB1_5:                                ;   Parent Loop BB1_3 Depth=1
                                        ; =>  This Inner Loop Header: Depth=2
	s_delay_alu instid0(VALU_DEP_2) | instskip(NEXT) | instid1(VALU_DEP_2)
	v_ashrrev_i32_e32 v4, 31, v3
	v_add_nc_u32_e32 v11, 2, v11
	s_delay_alu instid0(VALU_DEP_2) | instskip(SKIP_1) | instid1(VALU_DEP_2)
	v_lshlrev_b64 v[12:13], 2, v[3:4]
	v_add_nc_u32_e32 v3, s19, v3
	v_add_co_u32 v12, s1, s5, v12
	s_delay_alu instid0(VALU_DEP_1)
	v_add_co_ci_u32_e64 v13, s1, s14, v13, s1
	v_cmp_le_i32_e64 s1, s13, v11
	global_load_b32 v4, v[12:13], off
	s_or_b32 s22, s1, s22
	s_waitcnt vmcnt(0)
	ds_store_b32 v10, v4
	v_add_nc_u32_e32 v10, s18, v10
	s_and_not1_b32 exec_lo, exec_lo, s22
	s_cbranch_execnz .LBB1_5
	s_branch .LBB1_2
.LBB1_6:
	s_set_inst_prefetch_distance 0x2
	s_or_b32 exec_lo, exec_lo, s4
	s_min_i32 s17, s13, s12
	s_waitcnt lgkmcnt(0)
	s_cmp_lt_i32 s17, 1
	s_barrier
	buffer_gl0_inv
	s_cbranch_scc1 .LBB1_42
; %bb.7:
	v_mbcnt_lo_u32_b32 v8, -1, 0
	s_mul_i32 s1, s15, s9
	s_mul_hi_u32 s4, s15, s8
	v_and_b32_e32 v10, 31, v0
	s_add_i32 s1, s4, s1
	v_cmp_ne_u32_e32 vcc_lo, 31, v8
	s_mul_i32 s4, s20, s8
	s_mul_i32 s8, s15, s8
	s_add_i32 s9, s1, s4
	s_mul_i32 s1, s15, s3
	v_add_co_ci_u32_e32 v2, vcc_lo, 0, v8, vcc_lo
	v_cmp_gt_u32_e32 vcc_lo, 30, v8
	s_lshl_b64 s[8:9], s[8:9], 2
	s_mul_hi_u32 s3, s15, s2
	s_add_u32 s18, s6, s8
	s_addc_u32 s19, s7, s9
	v_cndmask_b32_e64 v3, 0, 1, vcc_lo
	v_cmp_gt_u32_e32 vcc_lo, 28, v8
	s_add_i32 s1, s3, s1
	s_mul_i32 s3, s20, s2
	s_mul_i32 s2, s15, s2
	s_add_i32 s3, s1, s3
	v_cndmask_b32_e64 v4, 0, 1, vcc_lo
	v_cmp_gt_u32_e32 vcc_lo, 24, v8
	s_lshl_b64 s[2:3], s[2:3], 2
	s_mul_i32 s1, s13, s12
	s_add_u32 s10, s10, s2
	s_addc_u32 s11, s11, s3
	v_cndmask_b32_e64 v7, 0, 1, vcc_lo
	v_cmp_gt_u32_e32 vcc_lo, 16, v8
	s_lshl_b32 s1, s1, 2
	v_lshlrev_b32_e32 v3, 1, v3
	s_add_i32 s15, s1, 0
	s_lshl_b32 s1, s13, 2
	v_cndmask_b32_e64 v9, 0, 1, vcc_lo
	s_add_i32 s20, s15, s1
	v_cmp_eq_u32_e64 s1, 0, v10
	v_mad_u64_u32 v[10:11], null, s12, v0, s[12:13]
	s_cmp_eq_u64 s[6:7], 0
	v_lshlrev_b32_e32 v4, 2, v4
	v_lshlrev_b32_e32 v7, 3, v7
	;; [unrolled: 1-line block ×3, first 2 shown]
	v_lshrrev_b32_e32 v12, 3, v0
	v_lshlrev_b32_e32 v11, 2, v0
	s_cselect_b32 s21, -1, 0
	s_cmp_lg_u64 s[6:7], 0
	v_dual_mov_b32 v13, 0 :: v_dual_lshlrev_b32 v2, 2, v2
	s_cselect_b32 s6, -1, 0
	s_lshl_b32 s7, s12, 2
	v_add_lshl_u32 v3, v3, v8, 2
	v_add_lshl_u32 v4, v4, v8, 2
	;; [unrolled: 1-line block ×4, first 2 shown]
	v_cmp_eq_u32_e64 s2, 0, v0
	v_add3_u32 v9, v11, 0, 4
	v_lshl_add_u32 v10, v10, 2, 0
	v_add3_u32 v11, 0, s7, v11
	v_add_nc_u32_e32 v12, s20, v12
	s_mov_b32 s9, 0
	s_add_i32 s22, s7, 4
	s_lshl_b32 s23, s12, 10
	s_mov_b32 s24, 0
	s_mov_b32 s8, s9
	s_branch .LBB1_9
.LBB1_8:                                ;   in Loop: Header=BB1_9 Depth=1
	s_set_inst_prefetch_distance 0x2
	s_or_b32 exec_lo, exec_lo, s4
	v_add_nc_u32_e32 v9, s22, v9
	v_add_nc_u32_e32 v10, s22, v10
	;; [unrolled: 1-line block ×3, first 2 shown]
	s_add_i32 s8, s8, 1
	s_add_i32 s24, s24, s22
	s_cmp_eq_u32 s8, s17
	s_waitcnt lgkmcnt(0)
	s_barrier
	buffer_gl0_inv
	s_cbranch_scc1 .LBB1_42
.LBB1_9:                                ; =>This Loop Header: Depth=1
                                        ;     Child Loop BB1_11 Depth 2
                                        ;     Child Loop BB1_25 Depth 2
	;; [unrolled: 1-line block ×3, first 2 shown]
                                        ;       Child Loop BB1_31 Depth 3
                                        ;     Child Loop BB1_35 Depth 2
                                        ;       Child Loop BB1_37 Depth 3
	s_sub_i32 s25, s12, s8
	v_mov_b32_e32 v14, 0
	s_add_i32 s27, s25, -1
	s_delay_alu instid0(SALU_CYCLE_1) | instskip(NEXT) | instid1(VALU_DEP_1)
	v_cmp_gt_i32_e64 s3, s27, v0
	s_and_saveexec_b32 s4, s3
	s_cbranch_execz .LBB1_13
; %bb.10:                               ;   in Loop: Header=BB1_9 Depth=1
	v_dual_mov_b32 v14, 0 :: v_dual_mov_b32 v15, v9
	v_mov_b32_e32 v16, v0
	s_mov_b32 s26, 0
.LBB1_11:                               ;   Parent Loop BB1_9 Depth=1
                                        ; =>  This Inner Loop Header: Depth=2
	ds_load_b32 v17, v15
	s_waitcnt lgkmcnt(0)
	v_dual_mul_f32 v17, v17, v17 :: v_dual_add_nc_u32 v16, 0x100, v16
	s_delay_alu instid0(VALU_DEP_1) | instskip(NEXT) | instid1(VALU_DEP_2)
	v_cmp_le_i32_e32 vcc_lo, s27, v16
	v_dual_add_f32 v14, v14, v17 :: v_dual_add_nc_u32 v15, 0x400, v15
	s_or_b32 s26, vcc_lo, s26
	s_delay_alu instid0(SALU_CYCLE_1)
	s_and_not1_b32 exec_lo, exec_lo, s26
	s_cbranch_execnz .LBB1_11
; %bb.12:                               ;   in Loop: Header=BB1_9 Depth=1
	s_or_b32 exec_lo, exec_lo, s26
.LBB1_13:                               ;   in Loop: Header=BB1_9 Depth=1
	s_delay_alu instid0(SALU_CYCLE_1)
	s_or_b32 exec_lo, exec_lo, s4
	ds_bpermute_b32 v15, v2, v14
	s_waitcnt lgkmcnt(0)
	v_add_f32_e32 v14, v14, v15
	ds_bpermute_b32 v15, v3, v14
	s_waitcnt lgkmcnt(0)
	v_add_f32_e32 v14, v14, v15
	;; [unrolled: 3-line block ×5, first 2 shown]
	s_and_saveexec_b32 s4, s1
	s_cbranch_execz .LBB1_15
; %bb.14:                               ;   in Loop: Header=BB1_9 Depth=1
	ds_store_b32 v12, v14 offset:4
.LBB1_15:                               ;   in Loop: Header=BB1_9 Depth=1
	s_or_b32 exec_lo, exec_lo, s4
	s_lshl_b32 s4, s8, 2
	s_mul_i32 s26, s8, s12
	s_add_i32 s4, s4, 0
	s_lshl_b32 s26, s26, 2
	s_waitcnt lgkmcnt(0)
	s_add_i32 s26, s4, s26
	s_barrier
	buffer_gl0_inv
	s_and_saveexec_b32 s28, s2
	s_cbranch_execz .LBB1_23
; %bb.16:                               ;   in Loop: Header=BB1_9 Depth=1
	v_mov_b32_e32 v21, s20
	s_mov_b32 s4, 0
	s_mov_b32 s31, 0
	s_mov_b32 s33, exec_lo
                                        ; implicit-def: $sgpr30
                                        ; implicit-def: $sgpr29
                                        ; implicit-def: $sgpr34
	ds_load_2addr_b32 v[15:16], v21 offset0:2 offset1:3
	ds_load_2addr_b32 v[17:18], v21 offset0:4 offset1:5
	;; [unrolled: 1-line block ×3, first 2 shown]
	ds_load_b32 v21, v21 offset:32
	s_waitcnt lgkmcnt(3)
	v_add_f32_e32 v14, v14, v15
	s_delay_alu instid0(VALU_DEP_1) | instskip(SKIP_1) | instid1(VALU_DEP_1)
	v_add_f32_e32 v14, v14, v16
	s_waitcnt lgkmcnt(2)
	v_add_f32_e32 v14, v14, v17
	s_delay_alu instid0(VALU_DEP_1) | instskip(SKIP_1) | instid1(VALU_DEP_1)
	v_add_f32_e32 v14, v14, v18
	;; [unrolled: 4-line block ×3, first 2 shown]
	s_waitcnt lgkmcnt(0)
	v_add_f32_e32 v16, v14, v21
                                        ; implicit-def: $vgpr14
	s_delay_alu instid0(VALU_DEP_1)
	v_cmpx_nlt_f32_e32 0, v16
	s_xor_b32 s33, exec_lo, s33
	s_cbranch_execnz .LBB1_38
; %bb.17:                               ;   in Loop: Header=BB1_9 Depth=1
	s_or_saveexec_b32 s33, s33
	v_mov_b32_e32 v15, s34
	s_xor_b32 exec_lo, exec_lo, s33
	s_cbranch_execnz .LBB1_41
.LBB1_18:                               ;   in Loop: Header=BB1_9 Depth=1
	s_or_b32 exec_lo, exec_lo, s33
	s_and_saveexec_b32 s33, s31
	s_cbranch_execz .LBB1_20
.LBB1_19:                               ;   in Loop: Header=BB1_9 Depth=1
	s_lshl_b64 s[34:35], s[8:9], 2
	s_delay_alu instid0(SALU_CYCLE_1)
	s_add_u32 s34, s18, s34
	s_addc_u32 s35, s19, s35
	s_or_b32 s4, s4, exec_lo
	s_waitcnt lgkmcnt(0)
	global_store_b32 v13, v14, s[34:35]
	v_mov_b32_e32 v14, 1.0
.LBB1_20:                               ;   in Loop: Header=BB1_9 Depth=1
	s_or_b32 exec_lo, exec_lo, s33
	v_dual_mov_b32 v16, s29 :: v_dual_mov_b32 v17, s30
	s_and_saveexec_b32 s29, s4
	s_cbranch_execz .LBB1_22
; %bb.21:                               ;   in Loop: Header=BB1_9 Depth=1
	v_dual_mov_b32 v16, s26 :: v_dual_mov_b32 v17, s20
	s_waitcnt lgkmcnt(0)
	ds_store_b32 v16, v14
	ds_load_b32 v16, v17
	v_mov_b32_e32 v17, v15
.LBB1_22:                               ;   in Loop: Header=BB1_9 Depth=1
	s_or_b32 exec_lo, exec_lo, s29
	s_lshl_b64 s[30:31], s[8:9], 2
	s_waitcnt lgkmcnt(0)
	v_mov_b32_e32 v14, s20
	s_add_u32 s30, s10, s30
	s_addc_u32 s31, s11, s31
	global_store_b32 v13, v16, s[30:31]
	ds_store_b32 v14, v17 offset:4
.LBB1_23:                               ;   in Loop: Header=BB1_9 Depth=1
	s_or_b32 exec_lo, exec_lo, s28
	s_waitcnt lgkmcnt(0)
	s_waitcnt_vscnt null, 0x0
	s_barrier
	buffer_gl0_inv
	s_and_saveexec_b32 s4, s3
	s_cbranch_execz .LBB1_26
; %bb.24:                               ;   in Loop: Header=BB1_9 Depth=1
	v_mov_b32_e32 v14, v0
	s_mov_b32 s3, 0
	s_mov_b32 s28, 0
.LBB1_25:                               ;   Parent Loop BB1_9 Depth=1
                                        ; =>  This Inner Loop Header: Depth=2
	s_delay_alu instid0(SALU_CYCLE_1)
	v_dual_mov_b32 v15, s20 :: v_dual_add_nc_u32 v16, s28, v9
	s_addk_i32 s28, 0x400
	ds_load_b32 v15, v15 offset:4
	ds_load_b32 v17, v16
	s_waitcnt lgkmcnt(0)
	v_dual_mul_f32 v15, v15, v17 :: v_dual_add_nc_u32 v14, 0x100, v14
	s_delay_alu instid0(VALU_DEP_1) | instskip(SKIP_2) | instid1(SALU_CYCLE_1)
	v_cmp_le_i32_e32 vcc_lo, s27, v14
	ds_store_b32 v16, v15
	s_or_b32 s3, vcc_lo, s3
	s_and_not1_b32 exec_lo, exec_lo, s3
	s_cbranch_execnz .LBB1_25
.LBB1_26:                               ;   in Loop: Header=BB1_9 Depth=1
	s_or_b32 exec_lo, exec_lo, s4
	s_not_b32 s3, s8
	s_mov_b32 s4, exec_lo
	s_add_i32 s3, s3, s13
	s_waitcnt lgkmcnt(0)
	s_barrier
	buffer_gl0_inv
	v_cmpx_gt_i32_e64 s3, v0
	s_cbranch_execz .LBB1_32
; %bb.27:                               ;   in Loop: Header=BB1_9 Depth=1
	v_dual_mov_b32 v14, v10 :: v_dual_mov_b32 v15, v0
	s_cmp_gt_i32 s25, 0
	s_mov_b32 s28, 0
	s_cselect_b32 s27, -1, 0
	s_set_inst_prefetch_distance 0x1
	s_branch .LBB1_29
	.p2align	6
.LBB1_28:                               ;   in Loop: Header=BB1_29 Depth=2
	v_dual_mov_b32 v17, s20 :: v_dual_add_nc_u32 v14, s23, v14
	v_lshl_add_u32 v18, v15, 2, s15
	ds_load_b32 v17, v17
	s_waitcnt lgkmcnt(0)
	v_dual_mul_f32 v16, v16, v17 :: v_dual_add_nc_u32 v15, 0x100, v15
	s_delay_alu instid0(VALU_DEP_1) | instskip(SKIP_2) | instid1(SALU_CYCLE_1)
	v_cmp_le_i32_e32 vcc_lo, s3, v15
	ds_store_b32 v18, v16
	s_or_b32 s28, vcc_lo, s28
	s_and_not1_b32 exec_lo, exec_lo, s28
	s_cbranch_execz .LBB1_32
.LBB1_29:                               ;   Parent Loop BB1_9 Depth=1
                                        ; =>  This Loop Header: Depth=2
                                        ;       Child Loop BB1_31 Depth 3
	v_mov_b32_e32 v16, 0
	s_and_not1_b32 vcc_lo, exec_lo, s27
	s_cbranch_vccnz .LBB1_28
; %bb.30:                               ;   in Loop: Header=BB1_29 Depth=2
	v_mov_b32_e32 v17, v14
	s_mov_b32 s29, 0
	s_mov_b32 s30, s24
.LBB1_31:                               ;   Parent Loop BB1_9 Depth=1
                                        ;     Parent Loop BB1_29 Depth=2
                                        ; =>    This Inner Loop Header: Depth=3
	s_delay_alu instid0(SALU_CYCLE_1)
	v_mov_b32_e32 v18, s30
	s_add_i32 s29, s29, 1
	s_add_i32 s30, s30, 4
	s_cmp_ge_i32 s29, s25
	ds_load_b32 v19, v17
	ds_load_b32 v18, v18
	s_waitcnt lgkmcnt(0)
	v_dual_fmac_f32 v16, v19, v18 :: v_dual_add_nc_u32 v17, 4, v17
	s_cbranch_scc0 .LBB1_31
	s_branch .LBB1_28
.LBB1_32:                               ;   in Loop: Header=BB1_9 Depth=1
	s_set_inst_prefetch_distance 0x2
	s_or_b32 exec_lo, exec_lo, s4
	s_delay_alu instid0(SALU_CYCLE_1)
	s_mov_b32 s4, exec_lo
	s_waitcnt lgkmcnt(0)
	s_barrier
	buffer_gl0_inv
	v_cmpx_gt_i32_e64 s25, v0
	s_cbranch_execz .LBB1_8
; %bb.33:                               ;   in Loop: Header=BB1_9 Depth=1
	v_dual_mov_b32 v14, v11 :: v_dual_mov_b32 v15, v0
	s_cmp_gt_i32 s3, 0
	s_mov_b32 s28, 0
	s_cselect_b32 s27, -1, 0
	s_set_inst_prefetch_distance 0x1
	s_branch .LBB1_35
	.p2align	6
.LBB1_34:                               ;   in Loop: Header=BB1_35 Depth=2
	v_add_nc_u32_e32 v15, 0x100, v15
	v_add_nc_u32_e32 v14, 0x400, v14
	s_delay_alu instid0(VALU_DEP_2) | instskip(SKIP_1) | instid1(SALU_CYCLE_1)
	v_cmp_le_i32_e32 vcc_lo, s25, v15
	s_or_b32 s28, vcc_lo, s28
	s_and_not1_b32 exec_lo, exec_lo, s28
	s_cbranch_execz .LBB1_8
.LBB1_35:                               ;   Parent Loop BB1_9 Depth=1
                                        ; =>  This Loop Header: Depth=2
                                        ;       Child Loop BB1_37 Depth 3
	s_and_not1_b32 vcc_lo, exec_lo, s27
	s_cbranch_vccnz .LBB1_34
; %bb.36:                               ;   in Loop: Header=BB1_35 Depth=2
	v_lshl_add_u32 v16, v15, 2, s26
	v_mov_b32_e32 v17, v14
	s_mov_b32 s29, 0
	s_mov_b32 s30, s15
	.p2align	6
.LBB1_37:                               ;   Parent Loop BB1_9 Depth=1
                                        ;     Parent Loop BB1_35 Depth=2
                                        ; =>    This Inner Loop Header: Depth=3
	s_delay_alu instid0(SALU_CYCLE_1)
	v_mov_b32_e32 v18, s30
	s_add_i32 s29, s29, 1
	s_add_i32 s30, s30, 4
	ds_load_b32 v19, v17
	ds_load_b32 v20, v16
	;; [unrolled: 1-line block ×3, first 2 shown]
	s_cmp_ge_i32 s29, s3
	s_waitcnt lgkmcnt(0)
	v_fma_f32 v18, -v20, v18, v19
	ds_store_b32 v17, v18
	v_add_nc_u32_e32 v17, s7, v17
	s_cbranch_scc0 .LBB1_37
	s_branch .LBB1_34
.LBB1_38:                               ;   in Loop: Header=BB1_9 Depth=1
	v_mov_b32_e32 v15, s20
	s_mov_b32 s29, 0
	s_and_b32 vcc_lo, exec_lo, s6
                                        ; implicit-def: $vgpr14
                                        ; implicit-def: $sgpr34
	ds_store_b32 v15, v13
	s_cbranch_vccz .LBB1_40
; %bb.39:                               ;   in Loop: Header=BB1_9 Depth=1
	v_mov_b32_e32 v14, s26
	s_mov_b32 s31, -1
	s_mov_b32 s34, 1.0
	ds_load_b32 v14, v14
.LBB1_40:                               ;   in Loop: Header=BB1_9 Depth=1
	s_mov_b32 s30, 1.0
	s_and_b32 s31, s31, exec_lo
                                        ; implicit-def: $vgpr16
	s_or_saveexec_b32 s33, s33
	v_mov_b32_e32 v15, s34
	s_xor_b32 exec_lo, exec_lo, s33
	s_cbranch_execz .LBB1_18
.LBB1_41:                               ;   in Loop: Header=BB1_9 Depth=1
	s_waitcnt lgkmcnt(0)
	v_mov_b32_e32 v14, s26
	s_and_not1_b32 s31, s31, exec_lo
	s_and_b32 s34, s6, exec_lo
	s_delay_alu instid0(SALU_CYCLE_1) | instskip(SKIP_3) | instid1(VALU_DEP_1)
	s_or_b32 s31, s31, s34
	ds_load_b32 v15, v14
	s_waitcnt lgkmcnt(0)
	v_fmac_f32_e32 v16, v15, v15
	v_mul_f32_e32 v14, 0x4f800000, v16
	v_cmp_gt_f32_e32 vcc_lo, 0xf800000, v16
	s_delay_alu instid0(VALU_DEP_2) | instskip(NEXT) | instid1(VALU_DEP_1)
	v_cndmask_b32_e32 v14, v16, v14, vcc_lo
	v_sqrt_f32_e32 v16, v14
	s_waitcnt_depctr 0xfff
	v_add_nc_u32_e32 v17, -1, v16
	v_add_nc_u32_e32 v18, 1, v16
	s_delay_alu instid0(VALU_DEP_2) | instskip(NEXT) | instid1(VALU_DEP_2)
	v_fma_f32 v19, -v17, v16, v14
	v_fma_f32 v20, -v18, v16, v14
	s_delay_alu instid0(VALU_DEP_2) | instskip(NEXT) | instid1(VALU_DEP_1)
	v_cmp_ge_f32_e64 s4, 0, v19
	v_cndmask_b32_e64 v16, v16, v17, s4
	s_delay_alu instid0(VALU_DEP_3) | instskip(NEXT) | instid1(VALU_DEP_1)
	v_cmp_lt_f32_e64 s4, 0, v20
	v_cndmask_b32_e64 v16, v16, v18, s4
	s_delay_alu instid0(VALU_DEP_1) | instskip(NEXT) | instid1(VALU_DEP_1)
	v_mul_f32_e32 v17, 0x37800000, v16
	v_cndmask_b32_e32 v16, v16, v17, vcc_lo
	v_cmp_class_f32_e64 vcc_lo, v14, 0x260
	s_delay_alu instid0(VALU_DEP_2) | instskip(SKIP_1) | instid1(VALU_DEP_2)
	v_cndmask_b32_e32 v14, v16, v14, vcc_lo
	v_cmp_le_f32_e32 vcc_lo, 0, v15
	v_cndmask_b32_e64 v14, v14, -v14, vcc_lo
	s_delay_alu instid0(VALU_DEP_1) | instskip(NEXT) | instid1(VALU_DEP_1)
	v_dual_sub_f32 v17, v14, v15 :: v_dual_sub_f32 v16, v15, v14
	v_div_scale_f32 v18, null, v14, v14, v17
	s_delay_alu instid0(VALU_DEP_2) | instskip(SKIP_1) | instid1(VALU_DEP_3)
	v_div_scale_f32 v15, null, v16, v16, 1.0
	v_div_scale_f32 v23, vcc_lo, 1.0, v16, 1.0
	v_rcp_f32_e32 v20, v18
	s_delay_alu instid0(VALU_DEP_2) | instskip(SKIP_3) | instid1(VALU_DEP_1)
	v_rcp_f32_e32 v19, v15
	s_waitcnt_depctr 0xfff
	v_fma_f32 v22, -v18, v20, 1.0
	v_fma_f32 v21, -v15, v19, 1.0
	v_dual_fmac_f32 v20, v22, v20 :: v_dual_fmac_f32 v19, v21, v19
	v_div_scale_f32 v21, s4, v17, v14, v17
	s_delay_alu instid0(VALU_DEP_2) | instskip(NEXT) | instid1(VALU_DEP_2)
	v_mul_f32_e32 v22, v23, v19
	v_mul_f32_e32 v24, v21, v20
	s_delay_alu instid0(VALU_DEP_2) | instskip(NEXT) | instid1(VALU_DEP_2)
	v_fma_f32 v25, -v15, v22, v23
	v_fma_f32 v26, -v18, v24, v21
	s_delay_alu instid0(VALU_DEP_2) | instskip(NEXT) | instid1(VALU_DEP_2)
	v_fmac_f32_e32 v22, v25, v19
	v_fmac_f32_e32 v24, v26, v20
	s_delay_alu instid0(VALU_DEP_2) | instskip(NEXT) | instid1(VALU_DEP_2)
	v_fma_f32 v15, -v15, v22, v23
	v_fma_f32 v18, -v18, v24, v21
	s_delay_alu instid0(VALU_DEP_2) | instskip(SKIP_2) | instid1(VALU_DEP_2)
	v_div_fmas_f32 v15, v15, v19, v22
	s_mov_b32 vcc_lo, s4
	s_and_b32 s4, s21, exec_lo
	v_div_fmas_f32 v18, v18, v20, v24
	s_delay_alu instid0(VALU_DEP_2) | instskip(NEXT) | instid1(VALU_DEP_2)
	v_div_fixup_f32 v15, v15, v16, 1.0
	v_div_fixup_f32 v16, v18, v14, v17
	v_mov_b32_e32 v17, s20
	ds_store_b32 v17, v16
	s_or_b32 exec_lo, exec_lo, s33
	s_and_saveexec_b32 s33, s31
	s_cbranch_execnz .LBB1_19
	s_branch .LBB1_20
.LBB1_42:
	s_and_saveexec_b32 s1, s0
	s_cbranch_execz .LBB1_48
; %bb.43:
	v_mul_lo_u32 v0, s12, v5
	v_mad_u64_u32 v[2:3], null, s16, v5, v[1:2]
	v_cmp_gt_i32_e32 vcc_lo, s13, v5
	s_lshl_b32 s2, s16, 1
	s_mov_b32 s3, 0
	s_lshl_b32 s4, s12, 3
	s_delay_alu instid0(VALU_DEP_3) | instskip(NEXT) | instid1(VALU_DEP_1)
	v_lshlrev_b32_e32 v0, 2, v0
	v_add3_u32 v0, v0, v6, 0
	s_set_inst_prefetch_distance 0x1
	s_branch .LBB1_45
	.p2align	6
.LBB1_44:                               ;   in Loop: Header=BB1_45 Depth=1
	s_or_b32 exec_lo, exec_lo, s6
	v_add_nc_u32_e32 v1, 0x80, v1
	v_add_nc_u32_e32 v2, 0x80, v2
	;; [unrolled: 1-line block ×3, first 2 shown]
	s_delay_alu instid0(VALU_DEP_3) | instskip(NEXT) | instid1(VALU_DEP_1)
	v_cmp_le_i32_e64 s0, s12, v1
	s_or_b32 s3, s0, s3
	s_delay_alu instid0(SALU_CYCLE_1)
	s_and_not1_b32 exec_lo, exec_lo, s3
	s_cbranch_execz .LBB1_48
.LBB1_45:                               ; =>This Loop Header: Depth=1
                                        ;     Child Loop BB1_47 Depth 2
	s_and_saveexec_b32 s6, vcc_lo
	s_cbranch_execz .LBB1_44
; %bb.46:                               ;   in Loop: Header=BB1_45 Depth=1
	v_dual_mov_b32 v6, v0 :: v_dual_mov_b32 v3, v2
	v_mov_b32_e32 v7, v5
	s_mov_b32 s7, 0
	.p2align	6
.LBB1_47:                               ;   Parent Loop BB1_45 Depth=1
                                        ; =>  This Inner Loop Header: Depth=2
	ds_load_b32 v10, v6
	v_ashrrev_i32_e32 v4, 31, v3
	v_add_nc_u32_e32 v7, 2, v7
	v_add_nc_u32_e32 v6, s4, v6
	s_delay_alu instid0(VALU_DEP_3) | instskip(NEXT) | instid1(VALU_DEP_3)
	v_lshlrev_b64 v[8:9], 2, v[3:4]
	v_cmp_le_i32_e64 s0, s13, v7
	v_add_nc_u32_e32 v3, s2, v3
	s_delay_alu instid0(VALU_DEP_2) | instskip(NEXT) | instid1(VALU_DEP_3)
	s_or_b32 s7, s0, s7
	v_add_co_u32 v8, s1, s5, v8
	s_delay_alu instid0(VALU_DEP_1)
	v_add_co_ci_u32_e64 v9, s1, s14, v9, s1
	s_waitcnt lgkmcnt(0)
	global_store_b32 v[8:9], v10, off
	s_and_not1_b32 exec_lo, exec_lo, s7
	s_cbranch_execnz .LBB1_47
	s_branch .LBB1_44
.LBB1_48:
	s_set_inst_prefetch_distance 0x2
	s_nop 0
	s_sendmsg sendmsg(MSG_DEALLOC_VGPRS)
	s_endpgm
	.section	.rodata,"a",@progbits
	.p2align	6, 0x0
	.amdhsa_kernel _ZN9rocsolver6v33100L18geqr2_kernel_smallILi256EfifPfEEvT1_S3_T3_lS3_lPT2_lPT0_l
		.amdhsa_group_segment_fixed_size 0
		.amdhsa_private_segment_fixed_size 0
		.amdhsa_kernarg_size 72
		.amdhsa_user_sgpr_count 14
		.amdhsa_user_sgpr_dispatch_ptr 0
		.amdhsa_user_sgpr_queue_ptr 0
		.amdhsa_user_sgpr_kernarg_segment_ptr 1
		.amdhsa_user_sgpr_dispatch_id 0
		.amdhsa_user_sgpr_private_segment_size 0
		.amdhsa_wavefront_size32 1
		.amdhsa_uses_dynamic_stack 0
		.amdhsa_enable_private_segment 0
		.amdhsa_system_sgpr_workgroup_id_x 1
		.amdhsa_system_sgpr_workgroup_id_y 0
		.amdhsa_system_sgpr_workgroup_id_z 1
		.amdhsa_system_sgpr_workgroup_info 0
		.amdhsa_system_vgpr_workitem_id 0
		.amdhsa_next_free_vgpr 27
		.amdhsa_next_free_sgpr 36
		.amdhsa_reserve_vcc 1
		.amdhsa_float_round_mode_32 0
		.amdhsa_float_round_mode_16_64 0
		.amdhsa_float_denorm_mode_32 3
		.amdhsa_float_denorm_mode_16_64 3
		.amdhsa_dx10_clamp 1
		.amdhsa_ieee_mode 1
		.amdhsa_fp16_overflow 0
		.amdhsa_workgroup_processor_mode 1
		.amdhsa_memory_ordered 1
		.amdhsa_forward_progress 0
		.amdhsa_shared_vgpr_count 0
		.amdhsa_exception_fp_ieee_invalid_op 0
		.amdhsa_exception_fp_denorm_src 0
		.amdhsa_exception_fp_ieee_div_zero 0
		.amdhsa_exception_fp_ieee_overflow 0
		.amdhsa_exception_fp_ieee_underflow 0
		.amdhsa_exception_fp_ieee_inexact 0
		.amdhsa_exception_int_div_zero 0
	.end_amdhsa_kernel
	.section	.text._ZN9rocsolver6v33100L18geqr2_kernel_smallILi256EfifPfEEvT1_S3_T3_lS3_lPT2_lPT0_l,"axG",@progbits,_ZN9rocsolver6v33100L18geqr2_kernel_smallILi256EfifPfEEvT1_S3_T3_lS3_lPT2_lPT0_l,comdat
.Lfunc_end1:
	.size	_ZN9rocsolver6v33100L18geqr2_kernel_smallILi256EfifPfEEvT1_S3_T3_lS3_lPT2_lPT0_l, .Lfunc_end1-_ZN9rocsolver6v33100L18geqr2_kernel_smallILi256EfifPfEEvT1_S3_T3_lS3_lPT2_lPT0_l
                                        ; -- End function
	.section	.AMDGPU.csdata,"",@progbits
; Kernel info:
; codeLenInByte = 2624
; NumSgprs: 38
; NumVgprs: 27
; ScratchSize: 0
; MemoryBound: 0
; FloatMode: 240
; IeeeMode: 1
; LDSByteSize: 0 bytes/workgroup (compile time only)
; SGPRBlocks: 4
; VGPRBlocks: 3
; NumSGPRsForWavesPerEU: 38
; NumVGPRsForWavesPerEU: 27
; Occupancy: 16
; WaveLimiterHint : 0
; COMPUTE_PGM_RSRC2:SCRATCH_EN: 0
; COMPUTE_PGM_RSRC2:USER_SGPR: 14
; COMPUTE_PGM_RSRC2:TRAP_HANDLER: 0
; COMPUTE_PGM_RSRC2:TGID_X_EN: 1
; COMPUTE_PGM_RSRC2:TGID_Y_EN: 0
; COMPUTE_PGM_RSRC2:TGID_Z_EN: 1
; COMPUTE_PGM_RSRC2:TIDIG_COMP_CNT: 0
	.section	.text._ZN9rocsolver6v33100L16reset_batch_infoIfiiPfEEvT2_lT0_T1_,"axG",@progbits,_ZN9rocsolver6v33100L16reset_batch_infoIfiiPfEEvT2_lT0_T1_,comdat
	.globl	_ZN9rocsolver6v33100L16reset_batch_infoIfiiPfEEvT2_lT0_T1_ ; -- Begin function _ZN9rocsolver6v33100L16reset_batch_infoIfiiPfEEvT2_lT0_T1_
	.p2align	8
	.type	_ZN9rocsolver6v33100L16reset_batch_infoIfiiPfEEvT2_lT0_T1_,@function
_ZN9rocsolver6v33100L16reset_batch_infoIfiiPfEEvT2_lT0_T1_: ; @_ZN9rocsolver6v33100L16reset_batch_infoIfiiPfEEvT2_lT0_T1_
; %bb.0:
	s_clause 0x1
	s_load_b32 s4, s[0:1], 0x24
	s_load_b64 s[2:3], s[0:1], 0x10
	s_waitcnt lgkmcnt(0)
	s_and_b32 s4, s4, 0xffff
	s_delay_alu instid0(SALU_CYCLE_1) | instskip(NEXT) | instid1(VALU_DEP_1)
	v_mad_u64_u32 v[1:2], null, s14, s4, v[0:1]
	v_cmp_gt_i32_e32 vcc_lo, s2, v1
	s_and_saveexec_b32 s2, vcc_lo
	s_cbranch_execz .LBB2_2
; %bb.1:
	s_load_b128 s[4:7], s[0:1], 0x0
	v_ashrrev_i32_e32 v2, 31, v1
	s_ashr_i32 s0, s15, 31
	s_delay_alu instid0(VALU_DEP_1)
	v_lshlrev_b64 v[0:1], 2, v[1:2]
	v_cvt_f32_i32_e32 v2, s3
	s_waitcnt lgkmcnt(0)
	s_mul_i32 s1, s15, s7
	s_mul_hi_u32 s2, s15, s6
	s_mul_i32 s7, s0, s6
	s_add_i32 s1, s2, s1
	s_mul_i32 s0, s15, s6
	s_add_i32 s1, s1, s7
	s_delay_alu instid0(SALU_CYCLE_1) | instskip(NEXT) | instid1(SALU_CYCLE_1)
	s_lshl_b64 s[0:1], s[0:1], 2
	s_add_u32 s0, s4, s0
	s_addc_u32 s1, s5, s1
	v_add_co_u32 v0, vcc_lo, s0, v0
	v_add_co_ci_u32_e32 v1, vcc_lo, s1, v1, vcc_lo
	global_store_b32 v[0:1], v2, off
.LBB2_2:
	s_nop 0
	s_sendmsg sendmsg(MSG_DEALLOC_VGPRS)
	s_endpgm
	.section	.rodata,"a",@progbits
	.p2align	6, 0x0
	.amdhsa_kernel _ZN9rocsolver6v33100L16reset_batch_infoIfiiPfEEvT2_lT0_T1_
		.amdhsa_group_segment_fixed_size 0
		.amdhsa_private_segment_fixed_size 0
		.amdhsa_kernarg_size 280
		.amdhsa_user_sgpr_count 14
		.amdhsa_user_sgpr_dispatch_ptr 0
		.amdhsa_user_sgpr_queue_ptr 0
		.amdhsa_user_sgpr_kernarg_segment_ptr 1
		.amdhsa_user_sgpr_dispatch_id 0
		.amdhsa_user_sgpr_private_segment_size 0
		.amdhsa_wavefront_size32 1
		.amdhsa_uses_dynamic_stack 0
		.amdhsa_enable_private_segment 0
		.amdhsa_system_sgpr_workgroup_id_x 1
		.amdhsa_system_sgpr_workgroup_id_y 1
		.amdhsa_system_sgpr_workgroup_id_z 0
		.amdhsa_system_sgpr_workgroup_info 0
		.amdhsa_system_vgpr_workitem_id 0
		.amdhsa_next_free_vgpr 3
		.amdhsa_next_free_sgpr 16
		.amdhsa_reserve_vcc 1
		.amdhsa_float_round_mode_32 0
		.amdhsa_float_round_mode_16_64 0
		.amdhsa_float_denorm_mode_32 3
		.amdhsa_float_denorm_mode_16_64 3
		.amdhsa_dx10_clamp 1
		.amdhsa_ieee_mode 1
		.amdhsa_fp16_overflow 0
		.amdhsa_workgroup_processor_mode 1
		.amdhsa_memory_ordered 1
		.amdhsa_forward_progress 0
		.amdhsa_shared_vgpr_count 0
		.amdhsa_exception_fp_ieee_invalid_op 0
		.amdhsa_exception_fp_denorm_src 0
		.amdhsa_exception_fp_ieee_div_zero 0
		.amdhsa_exception_fp_ieee_overflow 0
		.amdhsa_exception_fp_ieee_underflow 0
		.amdhsa_exception_fp_ieee_inexact 0
		.amdhsa_exception_int_div_zero 0
	.end_amdhsa_kernel
	.section	.text._ZN9rocsolver6v33100L16reset_batch_infoIfiiPfEEvT2_lT0_T1_,"axG",@progbits,_ZN9rocsolver6v33100L16reset_batch_infoIfiiPfEEvT2_lT0_T1_,comdat
.Lfunc_end2:
	.size	_ZN9rocsolver6v33100L16reset_batch_infoIfiiPfEEvT2_lT0_T1_, .Lfunc_end2-_ZN9rocsolver6v33100L16reset_batch_infoIfiiPfEEvT2_lT0_T1_
                                        ; -- End function
	.section	.AMDGPU.csdata,"",@progbits
; Kernel info:
; codeLenInByte = 164
; NumSgprs: 18
; NumVgprs: 3
; ScratchSize: 0
; MemoryBound: 0
; FloatMode: 240
; IeeeMode: 1
; LDSByteSize: 0 bytes/workgroup (compile time only)
; SGPRBlocks: 2
; VGPRBlocks: 0
; NumSGPRsForWavesPerEU: 18
; NumVGPRsForWavesPerEU: 3
; Occupancy: 16
; WaveLimiterHint : 0
; COMPUTE_PGM_RSRC2:SCRATCH_EN: 0
; COMPUTE_PGM_RSRC2:USER_SGPR: 14
; COMPUTE_PGM_RSRC2:TRAP_HANDLER: 0
; COMPUTE_PGM_RSRC2:TGID_X_EN: 1
; COMPUTE_PGM_RSRC2:TGID_Y_EN: 1
; COMPUTE_PGM_RSRC2:TGID_Z_EN: 0
; COMPUTE_PGM_RSRC2:TIDIG_COMP_CNT: 0
	.section	.text._ZN9rocsolver6v33100L8set_diagIfifPfTnNSt9enable_ifIXoont18rocblas_is_complexIT_E18rocblas_is_complexIT1_EEiE4typeELi0EEEvPS5_llT2_lT0_lSA_b,"axG",@progbits,_ZN9rocsolver6v33100L8set_diagIfifPfTnNSt9enable_ifIXoont18rocblas_is_complexIT_E18rocblas_is_complexIT1_EEiE4typeELi0EEEvPS5_llT2_lT0_lSA_b,comdat
	.globl	_ZN9rocsolver6v33100L8set_diagIfifPfTnNSt9enable_ifIXoont18rocblas_is_complexIT_E18rocblas_is_complexIT1_EEiE4typeELi0EEEvPS5_llT2_lT0_lSA_b ; -- Begin function _ZN9rocsolver6v33100L8set_diagIfifPfTnNSt9enable_ifIXoont18rocblas_is_complexIT_E18rocblas_is_complexIT1_EEiE4typeELi0EEEvPS5_llT2_lT0_lSA_b
	.p2align	8
	.type	_ZN9rocsolver6v33100L8set_diagIfifPfTnNSt9enable_ifIXoont18rocblas_is_complexIT_E18rocblas_is_complexIT1_EEiE4typeELi0EEEvPS5_llT2_lT0_lSA_b,@function
_ZN9rocsolver6v33100L8set_diagIfifPfTnNSt9enable_ifIXoont18rocblas_is_complexIT_E18rocblas_is_complexIT1_EEiE4typeELi0EEEvPS5_llT2_lT0_lSA_b: ; @_ZN9rocsolver6v33100L8set_diagIfifPfTnNSt9enable_ifIXoont18rocblas_is_complexIT_E18rocblas_is_complexIT1_EEiE4typeELi0EEEvPS5_llT2_lT0_lSA_b
; %bb.0:
	s_clause 0x1
	s_load_b32 s4, s[0:1], 0x4c
	s_load_b64 s[2:3], s[0:1], 0x38
	v_bfe_u32 v2, v0, 10, 10
	s_waitcnt lgkmcnt(0)
	s_lshr_b32 s4, s4, 16
	s_delay_alu instid0(VALU_DEP_1) | instid1(SALU_CYCLE_1)
	v_mad_u64_u32 v[0:1], null, s15, s4, v[2:3]
	s_delay_alu instid0(VALU_DEP_1)
	v_cmp_gt_i32_e32 vcc_lo, s2, v0
	s_and_saveexec_b32 s2, vcc_lo
	s_cbranch_execz .LBB3_2
; %bb.1:
	s_clause 0x3
	s_load_b32 s2, s[0:1], 0x28
	s_load_b64 s[12:13], s[0:1], 0x30
	s_load_b256 s[4:11], s[0:1], 0x0
	s_load_b64 s[0:1], s[0:1], 0x20
	s_bitcmp1_b32 s3, 0
	s_cselect_b32 s15, -1, 0
	s_ashr_i32 s16, s14, 31
	s_waitcnt lgkmcnt(0)
	v_mad_u64_u32 v[1:2], null, v0, s2, v[0:1]
	s_mul_i32 s2, s14, s13
	s_mul_hi_u32 s3, s14, s12
	s_mul_i32 s13, s16, s12
	s_add_i32 s3, s3, s2
	s_mul_i32 s2, s14, s12
	s_add_i32 s3, s3, s13
	s_delay_alu instid0(VALU_DEP_1)
	v_ashrrev_i32_e32 v2, 31, v1
	s_lshl_b64 s[2:3], s[2:3], 2
	s_mul_i32 s16, s16, s8
	s_add_u32 s2, s10, s2
	s_addc_u32 s3, s11, s3
	v_lshlrev_b64 v[1:2], 2, v[1:2]
	s_lshl_b64 s[0:1], s[0:1], 2
	s_delay_alu instid0(SALU_CYCLE_1) | instskip(SKIP_1) | instid1(VALU_DEP_1)
	s_add_u32 s0, s2, s0
	s_addc_u32 s1, s3, s1
	v_add_co_u32 v3, vcc_lo, s0, v1
	s_delay_alu instid0(VALU_DEP_2)
	v_add_co_ci_u32_e32 v4, vcc_lo, s1, v2, vcc_lo
	s_mul_i32 s0, s14, s9
	s_mul_hi_u32 s1, s14, s8
	v_ashrrev_i32_e32 v1, 31, v0
	global_load_b32 v2, v[3:4], off
	s_add_i32 s0, s1, s0
	s_delay_alu instid0(SALU_CYCLE_1) | instskip(SKIP_3) | instid1(SALU_CYCLE_1)
	s_add_i32 s1, s0, s16
	s_mul_i32 s0, s14, s8
	v_lshlrev_b64 v[0:1], 2, v[0:1]
	s_lshl_b64 s[0:1], s[0:1], 2
	s_add_u32 s2, s4, s0
	s_addc_u32 s3, s5, s1
	s_lshl_b64 s[0:1], s[6:7], 2
	s_delay_alu instid0(SALU_CYCLE_1)
	s_add_u32 s0, s2, s0
	s_addc_u32 s1, s3, s1
	v_add_co_u32 v0, vcc_lo, s0, v0
	v_add_co_ci_u32_e32 v1, vcc_lo, s1, v1, vcc_lo
	s_waitcnt vmcnt(0)
	v_cndmask_b32_e64 v5, v2, 1.0, s15
	global_store_b32 v[0:1], v2, off
	global_store_b32 v[3:4], v5, off
.LBB3_2:
	s_nop 0
	s_sendmsg sendmsg(MSG_DEALLOC_VGPRS)
	s_endpgm
	.section	.rodata,"a",@progbits
	.p2align	6, 0x0
	.amdhsa_kernel _ZN9rocsolver6v33100L8set_diagIfifPfTnNSt9enable_ifIXoont18rocblas_is_complexIT_E18rocblas_is_complexIT1_EEiE4typeELi0EEEvPS5_llT2_lT0_lSA_b
		.amdhsa_group_segment_fixed_size 0
		.amdhsa_private_segment_fixed_size 0
		.amdhsa_kernarg_size 320
		.amdhsa_user_sgpr_count 14
		.amdhsa_user_sgpr_dispatch_ptr 0
		.amdhsa_user_sgpr_queue_ptr 0
		.amdhsa_user_sgpr_kernarg_segment_ptr 1
		.amdhsa_user_sgpr_dispatch_id 0
		.amdhsa_user_sgpr_private_segment_size 0
		.amdhsa_wavefront_size32 1
		.amdhsa_uses_dynamic_stack 0
		.amdhsa_enable_private_segment 0
		.amdhsa_system_sgpr_workgroup_id_x 1
		.amdhsa_system_sgpr_workgroup_id_y 1
		.amdhsa_system_sgpr_workgroup_id_z 0
		.amdhsa_system_sgpr_workgroup_info 0
		.amdhsa_system_vgpr_workitem_id 1
		.amdhsa_next_free_vgpr 6
		.amdhsa_next_free_sgpr 17
		.amdhsa_reserve_vcc 1
		.amdhsa_float_round_mode_32 0
		.amdhsa_float_round_mode_16_64 0
		.amdhsa_float_denorm_mode_32 3
		.amdhsa_float_denorm_mode_16_64 3
		.amdhsa_dx10_clamp 1
		.amdhsa_ieee_mode 1
		.amdhsa_fp16_overflow 0
		.amdhsa_workgroup_processor_mode 1
		.amdhsa_memory_ordered 1
		.amdhsa_forward_progress 0
		.amdhsa_shared_vgpr_count 0
		.amdhsa_exception_fp_ieee_invalid_op 0
		.amdhsa_exception_fp_denorm_src 0
		.amdhsa_exception_fp_ieee_div_zero 0
		.amdhsa_exception_fp_ieee_overflow 0
		.amdhsa_exception_fp_ieee_underflow 0
		.amdhsa_exception_fp_ieee_inexact 0
		.amdhsa_exception_int_div_zero 0
	.end_amdhsa_kernel
	.section	.text._ZN9rocsolver6v33100L8set_diagIfifPfTnNSt9enable_ifIXoont18rocblas_is_complexIT_E18rocblas_is_complexIT1_EEiE4typeELi0EEEvPS5_llT2_lT0_lSA_b,"axG",@progbits,_ZN9rocsolver6v33100L8set_diagIfifPfTnNSt9enable_ifIXoont18rocblas_is_complexIT_E18rocblas_is_complexIT1_EEiE4typeELi0EEEvPS5_llT2_lT0_lSA_b,comdat
.Lfunc_end3:
	.size	_ZN9rocsolver6v33100L8set_diagIfifPfTnNSt9enable_ifIXoont18rocblas_is_complexIT_E18rocblas_is_complexIT1_EEiE4typeELi0EEEvPS5_llT2_lT0_lSA_b, .Lfunc_end3-_ZN9rocsolver6v33100L8set_diagIfifPfTnNSt9enable_ifIXoont18rocblas_is_complexIT_E18rocblas_is_complexIT1_EEiE4typeELi0EEEvPS5_llT2_lT0_lSA_b
                                        ; -- End function
	.section	.AMDGPU.csdata,"",@progbits
; Kernel info:
; codeLenInByte = 336
; NumSgprs: 19
; NumVgprs: 6
; ScratchSize: 0
; MemoryBound: 0
; FloatMode: 240
; IeeeMode: 1
; LDSByteSize: 0 bytes/workgroup (compile time only)
; SGPRBlocks: 2
; VGPRBlocks: 0
; NumSGPRsForWavesPerEU: 19
; NumVGPRsForWavesPerEU: 6
; Occupancy: 16
; WaveLimiterHint : 0
; COMPUTE_PGM_RSRC2:SCRATCH_EN: 0
; COMPUTE_PGM_RSRC2:USER_SGPR: 14
; COMPUTE_PGM_RSRC2:TRAP_HANDLER: 0
; COMPUTE_PGM_RSRC2:TGID_X_EN: 1
; COMPUTE_PGM_RSRC2:TGID_Y_EN: 1
; COMPUTE_PGM_RSRC2:TGID_Z_EN: 0
; COMPUTE_PGM_RSRC2:TIDIG_COMP_CNT: 1
	.section	.text._ZN9rocsolver6v33100L11set_taubetaIfifPfEEvPT_lS4_T2_llPT1_ll,"axG",@progbits,_ZN9rocsolver6v33100L11set_taubetaIfifPfEEvPT_lS4_T2_llPT1_ll,comdat
	.globl	_ZN9rocsolver6v33100L11set_taubetaIfifPfEEvPT_lS4_T2_llPT1_ll ; -- Begin function _ZN9rocsolver6v33100L11set_taubetaIfifPfEEvPT_lS4_T2_llPT1_ll
	.p2align	8
	.type	_ZN9rocsolver6v33100L11set_taubetaIfifPfEEvPT_lS4_T2_llPT1_ll,@function
_ZN9rocsolver6v33100L11set_taubetaIfifPfEEvPT_lS4_T2_llPT1_ll: ; @_ZN9rocsolver6v33100L11set_taubetaIfifPfEEvPT_lS4_T2_llPT1_ll
; %bb.0:
	s_mov_b32 s20, s15
	s_load_b512 s[4:19], s[0:1], 0x0
	s_ashr_i32 s21, s20, 31
	s_mov_b64 s[2:3], 0
	s_waitcnt lgkmcnt(0)
	s_cmp_eq_u64 s[16:17], 0
	s_cbranch_scc1 .LBB4_2
; %bb.1:
	s_load_b64 s[0:1], s[0:1], 0x40
	s_waitcnt lgkmcnt(0)
	s_mul_i32 s1, s20, s1
	s_mul_hi_u32 s2, s20, s0
	s_mul_i32 s3, s21, s0
	s_add_i32 s1, s2, s1
	s_mul_i32 s0, s20, s0
	s_add_i32 s1, s1, s3
	s_delay_alu instid0(SALU_CYCLE_1) | instskip(NEXT) | instid1(SALU_CYCLE_1)
	s_lshl_b64 s[0:1], s[0:1], 2
	s_add_u32 s2, s16, s0
	s_addc_u32 s3, s17, s1
	s_lshl_b64 s[0:1], s[18:19], 2
	s_delay_alu instid0(SALU_CYCLE_1)
	s_add_u32 s2, s2, s0
	s_addc_u32 s3, s3, s1
.LBB4_2:
	s_mul_i32 s0, s20, s15
	s_mul_hi_u32 s1, s20, s14
	s_mul_i32 s15, s21, s14
	s_add_i32 s1, s1, s0
	s_mul_i32 s0, s20, s14
	s_add_i32 s1, s1, s15
	s_mul_i32 s7, s20, s7
	s_lshl_b64 s[0:1], s[0:1], 2
	s_delay_alu instid0(SALU_CYCLE_1) | instskip(SKIP_2) | instid1(SALU_CYCLE_1)
	s_add_u32 s10, s10, s0
	s_addc_u32 s11, s11, s1
	s_lshl_b64 s[0:1], s[12:13], 2
	s_add_u32 s10, s10, s0
	s_mul_hi_u32 s0, s20, s6
	s_addc_u32 s11, s11, s1
	s_add_i32 s0, s0, s7
	s_mul_i32 s1, s21, s6
	s_delay_alu instid0(SALU_CYCLE_1) | instskip(SKIP_1) | instid1(SALU_CYCLE_1)
	s_add_i32 s1, s0, s1
	s_mul_i32 s0, s20, s6
	s_lshl_b64 s[0:1], s[0:1], 2
	s_delay_alu instid0(SALU_CYCLE_1) | instskip(SKIP_2) | instid1(SALU_CYCLE_1)
	s_add_u32 s4, s4, s0
	s_addc_u32 s5, s5, s1
	s_lshl_b64 s[0:1], s[20:21], 2
	s_add_u32 s6, s8, s0
	s_addc_u32 s7, s9, s1
	s_cmp_eq_u64 s[2:3], 0
	s_load_b32 s9, s[6:7], 0x0
	s_cselect_b32 s1, -1, 0
	s_cmp_lg_u64 s[2:3], 0
	s_cselect_b32 s8, -1, 0
	s_waitcnt lgkmcnt(0)
	v_cmp_ngt_f32_e64 s0, s9, 0
	s_delay_alu instid0(VALU_DEP_1)
	s_and_b32 vcc_lo, exec_lo, s0
	s_mov_b32 s0, 0
	s_cbranch_vccz .LBB4_5
; %bb.3:
	v_dual_mov_b32 v1, 1.0 :: v_dual_mov_b32 v0, 0
	s_mov_b32 s13, 0
	s_and_b32 vcc_lo, exec_lo, s8
	s_clause 0x1
	global_store_b32 v0, v1, s[6:7]
	global_store_b32 v0, v0, s[4:5]
	s_cbranch_vccz .LBB4_6
; %bb.4:
	global_load_b32 v0, v0, s[10:11]
	s_mov_b32 s12, -1
	s_and_b32 vcc_lo, exec_lo, s13
	s_cbranch_vccnz .LBB4_7
	s_branch .LBB4_8
.LBB4_5:
	s_mov_b32 s13, -1
.LBB4_6:
	s_mov_b32 s12, 0
                                        ; implicit-def: $vgpr0
	s_and_b32 vcc_lo, exec_lo, s13
	s_cbranch_vccz .LBB4_8
.LBB4_7:
	s_load_b32 s12, s[10:11], 0x0
	s_waitcnt vmcnt(0) lgkmcnt(0)
	v_fma_f32 v0, s12, s12, s9
	s_delay_alu instid0(VALU_DEP_1) | instskip(SKIP_1) | instid1(VALU_DEP_2)
	v_mul_f32_e32 v1, 0x4f800000, v0
	v_cmp_gt_f32_e32 vcc_lo, 0xf800000, v0
	v_cndmask_b32_e32 v0, v0, v1, vcc_lo
	s_delay_alu instid0(VALU_DEP_1) | instskip(SKIP_3) | instid1(VALU_DEP_2)
	v_sqrt_f32_e32 v1, v0
	s_waitcnt_depctr 0xfff
	v_add_nc_u32_e32 v2, -1, v1
	v_add_nc_u32_e32 v3, 1, v1
	v_fma_f32 v4, -v2, v1, v0
	s_delay_alu instid0(VALU_DEP_2) | instskip(NEXT) | instid1(VALU_DEP_2)
	v_fma_f32 v5, -v3, v1, v0
	v_cmp_ge_f32_e64 s0, 0, v4
	s_delay_alu instid0(VALU_DEP_1) | instskip(NEXT) | instid1(VALU_DEP_3)
	v_cndmask_b32_e64 v1, v1, v2, s0
	v_cmp_lt_f32_e64 s0, 0, v5
	s_delay_alu instid0(VALU_DEP_1) | instskip(SKIP_1) | instid1(VALU_DEP_2)
	v_cndmask_b32_e64 v1, v1, v3, s0
	v_cmp_ge_f32_e64 s0, s12, 0
	v_mul_f32_e32 v2, 0x37800000, v1
	s_delay_alu instid0(VALU_DEP_1) | instskip(SKIP_1) | instid1(VALU_DEP_2)
	v_cndmask_b32_e32 v1, v1, v2, vcc_lo
	v_cmp_class_f32_e64 vcc_lo, v0, 0x260
	v_cndmask_b32_e32 v0, v1, v0, vcc_lo
	s_delay_alu instid0(VALU_DEP_1) | instskip(SKIP_1) | instid1(VALU_DEP_1)
	v_cndmask_b32_e64 v0, v0, -v0, s0
	s_mov_b32 s0, s1
	v_sub_f32_e32 v1, s12, v0
	s_mov_b32 s12, s8
	s_delay_alu instid0(VALU_DEP_1) | instskip(SKIP_1) | instid1(VALU_DEP_2)
	v_div_scale_f32 v2, null, v1, v1, 1.0
	v_div_scale_f32 v5, vcc_lo, 1.0, v1, 1.0
	v_rcp_f32_e32 v3, v2
	s_waitcnt_depctr 0xfff
	v_fma_f32 v4, -v2, v3, 1.0
	s_delay_alu instid0(VALU_DEP_1) | instskip(NEXT) | instid1(VALU_DEP_1)
	v_fmac_f32_e32 v3, v4, v3
	v_mul_f32_e32 v4, v5, v3
	s_delay_alu instid0(VALU_DEP_1) | instskip(NEXT) | instid1(VALU_DEP_1)
	v_fma_f32 v6, -v2, v4, v5
	v_fmac_f32_e32 v4, v6, v3
	s_delay_alu instid0(VALU_DEP_1) | instskip(NEXT) | instid1(VALU_DEP_1)
	v_fma_f32 v2, -v2, v4, v5
	v_div_fmas_f32 v2, v2, v3, v4
	v_mov_b32_e32 v3, 0
	s_delay_alu instid0(VALU_DEP_2) | instskip(SKIP_4) | instid1(VALU_DEP_1)
	v_div_fixup_f32 v1, v2, v1, 1.0
	global_store_b32 v3, v1, s[6:7]
	global_load_b32 v1, v3, s[10:11]
	s_waitcnt vmcnt(0)
	v_sub_f32_e32 v1, v0, v1
	v_div_scale_f32 v2, null, v0, v0, v1
	s_delay_alu instid0(VALU_DEP_1) | instskip(SKIP_2) | instid1(VALU_DEP_1)
	v_rcp_f32_e32 v4, v2
	s_waitcnt_depctr 0xfff
	v_fma_f32 v5, -v2, v4, 1.0
	v_fmac_f32_e32 v4, v5, v4
	v_div_scale_f32 v5, vcc_lo, v1, v0, v1
	s_delay_alu instid0(VALU_DEP_1) | instskip(NEXT) | instid1(VALU_DEP_1)
	v_mul_f32_e32 v6, v5, v4
	v_fma_f32 v7, -v2, v6, v5
	s_delay_alu instid0(VALU_DEP_1) | instskip(NEXT) | instid1(VALU_DEP_1)
	v_fmac_f32_e32 v6, v7, v4
	v_fma_f32 v2, -v2, v6, v5
	s_delay_alu instid0(VALU_DEP_1) | instskip(NEXT) | instid1(VALU_DEP_1)
	v_div_fmas_f32 v2, v2, v4, v6
	v_div_fixup_f32 v1, v2, v0, v1
	global_store_b32 v3, v1, s[4:5]
.LBB4_8:
	s_and_not1_b32 vcc_lo, exec_lo, s12
	s_cbranch_vccz .LBB4_11
; %bb.9:
	s_and_not1_b32 vcc_lo, exec_lo, s0
	s_cbranch_vccz .LBB4_12
; %bb.10:
	s_endpgm
.LBB4_11:
	v_dual_mov_b32 v1, s2 :: v_dual_mov_b32 v2, s3
	s_waitcnt vmcnt(0)
	flat_store_b32 v[1:2], v0
	v_mov_b32_e32 v0, 1.0
.LBB4_12:
	v_mov_b32_e32 v1, 0
	s_waitcnt vmcnt(0) lgkmcnt(0)
	global_store_b32 v1, v0, s[10:11]
	s_endpgm
	.section	.rodata,"a",@progbits
	.p2align	6, 0x0
	.amdhsa_kernel _ZN9rocsolver6v33100L11set_taubetaIfifPfEEvPT_lS4_T2_llPT1_ll
		.amdhsa_group_segment_fixed_size 0
		.amdhsa_private_segment_fixed_size 0
		.amdhsa_kernarg_size 72
		.amdhsa_user_sgpr_count 15
		.amdhsa_user_sgpr_dispatch_ptr 0
		.amdhsa_user_sgpr_queue_ptr 0
		.amdhsa_user_sgpr_kernarg_segment_ptr 1
		.amdhsa_user_sgpr_dispatch_id 0
		.amdhsa_user_sgpr_private_segment_size 0
		.amdhsa_wavefront_size32 1
		.amdhsa_uses_dynamic_stack 0
		.amdhsa_enable_private_segment 0
		.amdhsa_system_sgpr_workgroup_id_x 1
		.amdhsa_system_sgpr_workgroup_id_y 0
		.amdhsa_system_sgpr_workgroup_id_z 0
		.amdhsa_system_sgpr_workgroup_info 0
		.amdhsa_system_vgpr_workitem_id 0
		.amdhsa_next_free_vgpr 8
		.amdhsa_next_free_sgpr 22
		.amdhsa_reserve_vcc 1
		.amdhsa_float_round_mode_32 0
		.amdhsa_float_round_mode_16_64 0
		.amdhsa_float_denorm_mode_32 3
		.amdhsa_float_denorm_mode_16_64 3
		.amdhsa_dx10_clamp 1
		.amdhsa_ieee_mode 1
		.amdhsa_fp16_overflow 0
		.amdhsa_workgroup_processor_mode 1
		.amdhsa_memory_ordered 1
		.amdhsa_forward_progress 0
		.amdhsa_shared_vgpr_count 0
		.amdhsa_exception_fp_ieee_invalid_op 0
		.amdhsa_exception_fp_denorm_src 0
		.amdhsa_exception_fp_ieee_div_zero 0
		.amdhsa_exception_fp_ieee_overflow 0
		.amdhsa_exception_fp_ieee_underflow 0
		.amdhsa_exception_fp_ieee_inexact 0
		.amdhsa_exception_int_div_zero 0
	.end_amdhsa_kernel
	.section	.text._ZN9rocsolver6v33100L11set_taubetaIfifPfEEvPT_lS4_T2_llPT1_ll,"axG",@progbits,_ZN9rocsolver6v33100L11set_taubetaIfifPfEEvPT_lS4_T2_llPT1_ll,comdat
.Lfunc_end4:
	.size	_ZN9rocsolver6v33100L11set_taubetaIfifPfEEvPT_lS4_T2_llPT1_ll, .Lfunc_end4-_ZN9rocsolver6v33100L11set_taubetaIfifPfEEvPT_lS4_T2_llPT1_ll
                                        ; -- End function
	.section	.AMDGPU.csdata,"",@progbits
; Kernel info:
; codeLenInByte = 816
; NumSgprs: 24
; NumVgprs: 8
; ScratchSize: 0
; MemoryBound: 0
; FloatMode: 240
; IeeeMode: 1
; LDSByteSize: 0 bytes/workgroup (compile time only)
; SGPRBlocks: 2
; VGPRBlocks: 0
; NumSGPRsForWavesPerEU: 24
; NumVGPRsForWavesPerEU: 8
; Occupancy: 16
; WaveLimiterHint : 0
; COMPUTE_PGM_RSRC2:SCRATCH_EN: 0
; COMPUTE_PGM_RSRC2:USER_SGPR: 15
; COMPUTE_PGM_RSRC2:TRAP_HANDLER: 0
; COMPUTE_PGM_RSRC2:TGID_X_EN: 1
; COMPUTE_PGM_RSRC2:TGID_Y_EN: 0
; COMPUTE_PGM_RSRC2:TGID_Z_EN: 0
; COMPUTE_PGM_RSRC2:TIDIG_COMP_CNT: 0
	.section	.text._ZN9rocsolver6v33100L13conj_in_placeIfiPfTnNSt9enable_ifIXnt18rocblas_is_complexIT_EEiE4typeELi0EEEvT0_S7_T1_lS7_l,"axG",@progbits,_ZN9rocsolver6v33100L13conj_in_placeIfiPfTnNSt9enable_ifIXnt18rocblas_is_complexIT_EEiE4typeELi0EEEvT0_S7_T1_lS7_l,comdat
	.globl	_ZN9rocsolver6v33100L13conj_in_placeIfiPfTnNSt9enable_ifIXnt18rocblas_is_complexIT_EEiE4typeELi0EEEvT0_S7_T1_lS7_l ; -- Begin function _ZN9rocsolver6v33100L13conj_in_placeIfiPfTnNSt9enable_ifIXnt18rocblas_is_complexIT_EEiE4typeELi0EEEvT0_S7_T1_lS7_l
	.p2align	8
	.type	_ZN9rocsolver6v33100L13conj_in_placeIfiPfTnNSt9enable_ifIXnt18rocblas_is_complexIT_EEiE4typeELi0EEEvT0_S7_T1_lS7_l,@function
_ZN9rocsolver6v33100L13conj_in_placeIfiPfTnNSt9enable_ifIXnt18rocblas_is_complexIT_EEiE4typeELi0EEEvT0_S7_T1_lS7_l: ; @_ZN9rocsolver6v33100L13conj_in_placeIfiPfTnNSt9enable_ifIXnt18rocblas_is_complexIT_EEiE4typeELi0EEEvT0_S7_T1_lS7_l
; %bb.0:
	s_endpgm
	.section	.rodata,"a",@progbits
	.p2align	6, 0x0
	.amdhsa_kernel _ZN9rocsolver6v33100L13conj_in_placeIfiPfTnNSt9enable_ifIXnt18rocblas_is_complexIT_EEiE4typeELi0EEEvT0_S7_T1_lS7_l
		.amdhsa_group_segment_fixed_size 0
		.amdhsa_private_segment_fixed_size 0
		.amdhsa_kernarg_size 40
		.amdhsa_user_sgpr_count 15
		.amdhsa_user_sgpr_dispatch_ptr 0
		.amdhsa_user_sgpr_queue_ptr 0
		.amdhsa_user_sgpr_kernarg_segment_ptr 1
		.amdhsa_user_sgpr_dispatch_id 0
		.amdhsa_user_sgpr_private_segment_size 0
		.amdhsa_wavefront_size32 1
		.amdhsa_uses_dynamic_stack 0
		.amdhsa_enable_private_segment 0
		.amdhsa_system_sgpr_workgroup_id_x 1
		.amdhsa_system_sgpr_workgroup_id_y 0
		.amdhsa_system_sgpr_workgroup_id_z 0
		.amdhsa_system_sgpr_workgroup_info 0
		.amdhsa_system_vgpr_workitem_id 0
		.amdhsa_next_free_vgpr 1
		.amdhsa_next_free_sgpr 1
		.amdhsa_reserve_vcc 0
		.amdhsa_float_round_mode_32 0
		.amdhsa_float_round_mode_16_64 0
		.amdhsa_float_denorm_mode_32 3
		.amdhsa_float_denorm_mode_16_64 3
		.amdhsa_dx10_clamp 1
		.amdhsa_ieee_mode 1
		.amdhsa_fp16_overflow 0
		.amdhsa_workgroup_processor_mode 1
		.amdhsa_memory_ordered 1
		.amdhsa_forward_progress 0
		.amdhsa_shared_vgpr_count 0
		.amdhsa_exception_fp_ieee_invalid_op 0
		.amdhsa_exception_fp_denorm_src 0
		.amdhsa_exception_fp_ieee_div_zero 0
		.amdhsa_exception_fp_ieee_overflow 0
		.amdhsa_exception_fp_ieee_underflow 0
		.amdhsa_exception_fp_ieee_inexact 0
		.amdhsa_exception_int_div_zero 0
	.end_amdhsa_kernel
	.section	.text._ZN9rocsolver6v33100L13conj_in_placeIfiPfTnNSt9enable_ifIXnt18rocblas_is_complexIT_EEiE4typeELi0EEEvT0_S7_T1_lS7_l,"axG",@progbits,_ZN9rocsolver6v33100L13conj_in_placeIfiPfTnNSt9enable_ifIXnt18rocblas_is_complexIT_EEiE4typeELi0EEEvT0_S7_T1_lS7_l,comdat
.Lfunc_end5:
	.size	_ZN9rocsolver6v33100L13conj_in_placeIfiPfTnNSt9enable_ifIXnt18rocblas_is_complexIT_EEiE4typeELi0EEEvT0_S7_T1_lS7_l, .Lfunc_end5-_ZN9rocsolver6v33100L13conj_in_placeIfiPfTnNSt9enable_ifIXnt18rocblas_is_complexIT_EEiE4typeELi0EEEvT0_S7_T1_lS7_l
                                        ; -- End function
	.section	.AMDGPU.csdata,"",@progbits
; Kernel info:
; codeLenInByte = 4
; NumSgprs: 0
; NumVgprs: 0
; ScratchSize: 0
; MemoryBound: 0
; FloatMode: 240
; IeeeMode: 1
; LDSByteSize: 0 bytes/workgroup (compile time only)
; SGPRBlocks: 0
; VGPRBlocks: 0
; NumSGPRsForWavesPerEU: 1
; NumVGPRsForWavesPerEU: 1
; Occupancy: 16
; WaveLimiterHint : 0
; COMPUTE_PGM_RSRC2:SCRATCH_EN: 0
; COMPUTE_PGM_RSRC2:USER_SGPR: 15
; COMPUTE_PGM_RSRC2:TRAP_HANDLER: 0
; COMPUTE_PGM_RSRC2:TGID_X_EN: 1
; COMPUTE_PGM_RSRC2:TGID_Y_EN: 0
; COMPUTE_PGM_RSRC2:TGID_Z_EN: 0
; COMPUTE_PGM_RSRC2:TIDIG_COMP_CNT: 0
	.section	.text._ZN9rocsolver6v33100L16larf_left_kernelILi1024EfiPfEEvT1_S3_T2_lS3_lPKT0_lS4_lS3_l,"axG",@progbits,_ZN9rocsolver6v33100L16larf_left_kernelILi1024EfiPfEEvT1_S3_T2_lS3_lPKT0_lS4_lS3_l,comdat
	.globl	_ZN9rocsolver6v33100L16larf_left_kernelILi1024EfiPfEEvT1_S3_T2_lS3_lPKT0_lS4_lS3_l ; -- Begin function _ZN9rocsolver6v33100L16larf_left_kernelILi1024EfiPfEEvT1_S3_T2_lS3_lPKT0_lS4_lS3_l
	.p2align	8
	.type	_ZN9rocsolver6v33100L16larf_left_kernelILi1024EfiPfEEvT1_S3_T2_lS3_lPKT0_lS4_lS3_l,@function
_ZN9rocsolver6v33100L16larf_left_kernelILi1024EfiPfEEvT1_S3_T2_lS3_lPKT0_lS4_lS3_l: ; @_ZN9rocsolver6v33100L16larf_left_kernelILi1024EfiPfEEvT1_S3_T2_lS3_lPKT0_lS4_lS3_l
; %bb.0:
	s_clause 0x4
	s_load_b32 s20, s[0:1], 0x0
	s_load_b64 s[2:3], s[0:1], 0x50
	s_load_b32 s17, s[0:1], 0x48
	s_load_b64 s[12:13], s[0:1], 0x40
	s_load_b256 s[4:11], s[0:1], 0x20
	v_mov_b32_e32 v5, 0
	v_lshlrev_b32_e32 v3, 2, v0
	s_ashr_i32 s24, s15, 31
	s_waitcnt lgkmcnt(0)
	v_cmp_gt_i32_e32 vcc_lo, s20, v0
	s_mul_i32 s21, s2, s24
	s_mul_hi_u32 s22, s2, s15
	s_mul_i32 s23, s3, s15
	s_mul_i32 s16, s2, s15
	s_mul_hi_i32 s19, s14, s17
	s_mul_i32 s18, s14, s17
	s_and_saveexec_b32 s14, vcc_lo
	s_cbranch_execz .LBB6_6
; %bb.1:
	s_clause 0x1
	s_load_b32 s26, s[0:1], 0x18
	s_load_b128 s[0:3], s[0:1], 0x8
	s_sub_i32 s17, 1, s20
	s_mul_i32 s25, s4, s24
	s_mul_hi_u32 s29, s4, s15
	s_mul_i32 s5, s5, s15
	s_mul_i32 s4, s4, s15
	v_add3_u32 v4, v3, 0, 0x80
	v_mov_b32_e32 v6, v0
	s_delay_alu instid0(VALU_DEP_2)
	v_mov_b32_e32 v5, v4
	s_waitcnt lgkmcnt(0)
	s_ashr_i32 s27, s26, 31
	v_mad_i64_i32 v[1:2], null, s26, v0, 0
	v_cmp_lt_i64_e64 s28, s[26:27], 1
	s_mul_i32 s17, s17, s26
	s_delay_alu instid0(VALU_DEP_1)
	s_and_b32 s28, s28, exec_lo
	s_cselect_b32 s28, s17, 0
	s_add_i32 s17, s29, s25
	s_ashr_i32 s29, s28, 31
	s_add_i32 s5, s17, s5
	s_lshl_b64 s[28:29], s[28:29], 2
	s_lshl_b64 s[2:3], s[2:3], 2
	;; [unrolled: 1-line block ×3, first 2 shown]
	v_lshlrev_b64 v[1:2], 2, v[1:2]
	s_add_u32 s0, s0, s28
	s_addc_u32 s1, s1, s29
	s_add_u32 s0, s0, s2
	s_addc_u32 s1, s1, s3
	;; [unrolled: 2-line block ×3, first 2 shown]
	v_add_co_u32 v1, s0, s0, v1
	s_delay_alu instid0(VALU_DEP_1)
	v_add_co_ci_u32_e64 v2, s0, s1, v2, s0
	s_mov_b32 s4, 0
	s_lshl_b64 s[2:3], s[26:27], 12
	.p2align	6
.LBB6_2:                                ; =>This Inner Loop Header: Depth=1
	global_load_b32 v7, v[1:2], off
	v_add_nc_u32_e32 v6, 0x400, v6
	v_add_co_u32 v1, s0, v1, s2
	s_delay_alu instid0(VALU_DEP_1) | instskip(NEXT) | instid1(VALU_DEP_3)
	v_add_co_ci_u32_e64 v2, s0, s3, v2, s0
	v_cmp_le_i32_e64 s1, s20, v6
	s_delay_alu instid0(VALU_DEP_1)
	s_or_b32 s4, s1, s4
	s_waitcnt vmcnt(0)
	ds_store_b32 v5, v7
	v_add_nc_u32_e32 v5, 0x1000, v5
	s_and_not1_b32 exec_lo, exec_lo, s4
	s_cbranch_execnz .LBB6_2
; %bb.3:
	s_or_b32 exec_lo, exec_lo, s4
	s_add_i32 s0, s22, s21
	v_dual_mov_b32 v6, v0 :: v_dual_lshlrev_b32 v1, 2, v0
	s_add_i32 s17, s0, s23
	s_lshl_b64 s[0:1], s[18:19], 2
	s_lshl_b64 s[2:3], s[16:17], 2
	v_mov_b32_e32 v5, 0
	s_add_u32 s2, s2, s0
	s_addc_u32 s3, s3, s1
	s_lshl_b64 s[0:1], s[12:13], 2
	s_delay_alu instid0(SALU_CYCLE_1) | instskip(SKIP_4) | instid1(VALU_DEP_1)
	s_add_u32 s0, s2, s0
	s_addc_u32 s1, s3, s1
	s_add_u32 s0, s10, s0
	s_addc_u32 s1, s11, s1
	v_add_co_u32 v1, s0, s0, v1
	v_add_co_ci_u32_e64 v2, null, s1, 0, s0
	s_mov_b32 s2, 0
	.p2align	6
.LBB6_4:                                ; =>This Inner Loop Header: Depth=1
	global_load_b32 v7, v[1:2], off
	ds_load_b32 v8, v4
	v_add_nc_u32_e32 v6, 0x400, v6
	v_add_co_u32 v1, s0, 0x1000, v1
	s_delay_alu instid0(VALU_DEP_1) | instskip(SKIP_3) | instid1(VALU_DEP_2)
	v_add_co_ci_u32_e64 v2, s0, 0, v2, s0
	s_waitcnt vmcnt(0) lgkmcnt(0)
	v_mul_f32_e32 v7, v7, v8
	v_cmp_le_i32_e64 s1, s20, v6
	v_dual_add_f32 v5, v5, v7 :: v_dual_add_nc_u32 v4, 0x1000, v4
	s_delay_alu instid0(VALU_DEP_2) | instskip(NEXT) | instid1(SALU_CYCLE_1)
	s_or_b32 s2, s1, s2
	s_and_not1_b32 exec_lo, exec_lo, s2
	s_cbranch_execnz .LBB6_4
; %bb.5:
	s_or_b32 exec_lo, exec_lo, s2
.LBB6_6:
	s_delay_alu instid0(SALU_CYCLE_1) | instskip(SKIP_2) | instid1(VALU_DEP_1)
	s_or_b32 exec_lo, exec_lo, s14
	v_mbcnt_lo_u32_b32 v1, -1, 0
	s_mov_b32 s1, exec_lo
	v_cmp_ne_u32_e64 s0, 31, v1
	s_delay_alu instid0(VALU_DEP_1) | instskip(SKIP_1) | instid1(VALU_DEP_2)
	v_add_co_ci_u32_e64 v2, s0, 0, v1, s0
	v_cmp_gt_u32_e64 s0, 30, v1
	v_lshlrev_b32_e32 v2, 2, v2
	s_delay_alu instid0(VALU_DEP_2) | instskip(SKIP_3) | instid1(VALU_DEP_1)
	v_cndmask_b32_e64 v4, 0, 1, s0
	v_cmp_gt_u32_e64 s0, 28, v1
	ds_bpermute_b32 v2, v2, v5
	v_lshlrev_b32_e32 v4, 1, v4
	v_add_lshl_u32 v4, v4, v1, 2
	s_waitcnt lgkmcnt(0)
	v_add_f32_e32 v2, v5, v2
	v_cndmask_b32_e64 v5, 0, 1, s0
	v_cmp_gt_u32_e64 s0, 24, v1
	s_delay_alu instid0(VALU_DEP_2)
	v_lshlrev_b32_e32 v5, 2, v5
	ds_bpermute_b32 v4, v4, v2
	v_add_lshl_u32 v5, v5, v1, 2
	s_waitcnt lgkmcnt(0)
	v_add_f32_e32 v2, v2, v4
	ds_bpermute_b32 v4, v5, v2
	v_cndmask_b32_e64 v5, 0, 1, s0
	v_cmp_gt_u32_e64 s0, 16, v1
	s_delay_alu instid0(VALU_DEP_2) | instskip(NEXT) | instid1(VALU_DEP_1)
	v_lshlrev_b32_e32 v5, 3, v5
	v_add_lshl_u32 v5, v5, v1, 2
	s_waitcnt lgkmcnt(0)
	v_add_f32_e32 v2, v2, v4
	ds_bpermute_b32 v4, v5, v2
	v_cndmask_b32_e64 v5, 0, 1, s0
	s_delay_alu instid0(VALU_DEP_1) | instskip(NEXT) | instid1(VALU_DEP_1)
	v_lshlrev_b32_e32 v5, 4, v5
	v_add_lshl_u32 v1, v5, v1, 2
	s_waitcnt lgkmcnt(0)
	v_add_f32_e32 v2, v2, v4
	v_and_b32_e32 v4, 31, v0
	ds_bpermute_b32 v1, v1, v2
	s_waitcnt lgkmcnt(0)
	v_add_f32_e32 v1, v2, v1
	v_cmpx_eq_u32_e32 0, v4
	s_cbranch_execz .LBB6_8
; %bb.7:
	v_lshrrev_b32_e32 v2, 3, v0
	s_delay_alu instid0(VALU_DEP_1)
	v_add_nc_u32_e32 v2, 0, v2
	ds_store_b32 v2, v1
.LBB6_8:
	s_or_b32 exec_lo, exec_lo, s1
	s_delay_alu instid0(SALU_CYCLE_1)
	s_mov_b32 s1, exec_lo
	s_waitcnt lgkmcnt(0)
	s_barrier
	buffer_gl0_inv
	v_cmpx_eq_u32_e32 0, v0
	s_cbranch_execz .LBB6_10
; %bb.9:
	v_mov_b32_e32 v12, 0
	ds_load_2addr_b32 v[4:5], v12 offset0:1 offset1:2
	ds_load_2addr_b32 v[6:7], v12 offset0:3 offset1:4
	;; [unrolled: 1-line block ×4, first 2 shown]
	s_waitcnt lgkmcnt(3)
	v_add_f32_e32 v1, v1, v4
	s_delay_alu instid0(VALU_DEP_1) | instskip(SKIP_1) | instid1(VALU_DEP_1)
	v_add_f32_e32 v1, v1, v5
	s_waitcnt lgkmcnt(2)
	v_add_f32_e32 v1, v1, v6
	s_delay_alu instid0(VALU_DEP_1) | instskip(SKIP_1) | instid1(VALU_DEP_1)
	v_add_f32_e32 v1, v1, v7
	s_waitcnt lgkmcnt(1)
	v_add_f32_e32 v4, v1, v8
	ds_load_2addr_b32 v[1:2], v12 offset0:9 offset1:10
	v_add_f32_e32 v4, v4, v9
	s_waitcnt lgkmcnt(1)
	s_delay_alu instid0(VALU_DEP_1)
	v_add_f32_e32 v6, v4, v10
	ds_load_2addr_b32 v[4:5], v12 offset0:11 offset1:12
	v_add_f32_e32 v10, v6, v11
	ds_load_2addr_b32 v[6:7], v12 offset0:13 offset1:14
	ds_load_2addr_b32 v[8:9], v12 offset0:15 offset1:16
	s_waitcnt lgkmcnt(3)
	v_add_f32_e32 v1, v10, v1
	s_delay_alu instid0(VALU_DEP_1) | instskip(SKIP_1) | instid1(VALU_DEP_1)
	v_add_f32_e32 v1, v1, v2
	s_waitcnt lgkmcnt(2)
	v_add_f32_e32 v1, v1, v4
	s_delay_alu instid0(VALU_DEP_1) | instskip(SKIP_1) | instid1(VALU_DEP_1)
	v_add_f32_e32 v1, v1, v5
	s_waitcnt lgkmcnt(1)
	v_add_f32_e32 v4, v1, v6
	ds_load_2addr_b32 v[1:2], v12 offset0:17 offset1:18
	v_add_f32_e32 v4, v4, v7
	s_waitcnt lgkmcnt(1)
	s_delay_alu instid0(VALU_DEP_1)
	v_add_f32_e32 v6, v4, v8
	ds_load_2addr_b32 v[4:5], v12 offset0:19 offset1:20
	v_add_f32_e32 v10, v6, v9
	ds_load_2addr_b32 v[6:7], v12 offset0:21 offset1:22
	ds_load_2addr_b32 v[8:9], v12 offset0:23 offset1:24
	s_waitcnt lgkmcnt(3)
	v_add_f32_e32 v1, v10, v1
	s_delay_alu instid0(VALU_DEP_1) | instskip(SKIP_1) | instid1(VALU_DEP_1)
	v_add_f32_e32 v1, v1, v2
	s_waitcnt lgkmcnt(2)
	v_add_f32_e32 v1, v1, v4
	s_delay_alu instid0(VALU_DEP_1) | instskip(SKIP_1) | instid1(VALU_DEP_1)
	v_add_f32_e32 v1, v1, v5
	s_waitcnt lgkmcnt(1)
	v_add_f32_e32 v4, v1, v6
	ds_load_2addr_b32 v[1:2], v12 offset0:25 offset1:26
	v_add_f32_e32 v4, v4, v7
	s_waitcnt lgkmcnt(1)
	s_delay_alu instid0(VALU_DEP_1)
	v_add_f32_e32 v6, v4, v8
	ds_load_2addr_b32 v[4:5], v12 offset0:27 offset1:28
	v_add_f32_e32 v8, v6, v9
	ds_load_2addr_b32 v[6:7], v12 offset0:29 offset1:30
	ds_load_b32 v9, v12 offset:124
	s_waitcnt lgkmcnt(3)
	v_add_f32_e32 v1, v8, v1
	s_delay_alu instid0(VALU_DEP_1) | instskip(SKIP_1) | instid1(VALU_DEP_1)
	v_add_f32_e32 v1, v1, v2
	s_waitcnt lgkmcnt(2)
	v_add_f32_e32 v1, v1, v4
	s_delay_alu instid0(VALU_DEP_1) | instskip(SKIP_1) | instid1(VALU_DEP_1)
	v_add_f32_e32 v1, v1, v5
	;; [unrolled: 4-line block ×3, first 2 shown]
	s_waitcnt lgkmcnt(0)
	v_add_f32_e32 v1, v1, v9
	ds_store_b32 v12, v1
.LBB6_10:
	s_or_b32 exec_lo, exec_lo, s1
	s_waitcnt lgkmcnt(0)
	s_barrier
	buffer_gl0_inv
	s_and_saveexec_b32 s0, vcc_lo
	s_cbranch_execz .LBB6_13
; %bb.11:
	s_mul_i32 s0, s15, s9
	s_mul_hi_u32 s1, s15, s8
	s_mul_i32 s2, s24, s8
	s_add_i32 s0, s1, s0
	v_mov_b32_e32 v1, 0
	s_add_i32 s1, s0, s2
	s_mul_i32 s0, s15, s8
	v_add3_u32 v4, v3, 0, 0x80
	s_lshl_b64 s[0:1], s[0:1], 2
	ds_load_b32 v1, v1
	s_add_u32 s0, s6, s0
	s_addc_u32 s1, s7, s1
	s_load_b32 s4, s[0:1], 0x0
	s_add_i32 s0, s22, s21
	s_delay_alu instid0(SALU_CYCLE_1) | instskip(SKIP_2) | instid1(SALU_CYCLE_1)
	s_add_i32 s17, s0, s23
	s_lshl_b64 s[0:1], s[18:19], 2
	s_lshl_b64 s[2:3], s[16:17], 2
	s_add_u32 s2, s2, s0
	s_addc_u32 s3, s3, s1
	s_lshl_b64 s[0:1], s[12:13], 2
	s_delay_alu instid0(SALU_CYCLE_1)
	s_add_u32 s0, s2, s0
	s_addc_u32 s1, s3, s1
	s_add_u32 s0, s10, s0
	s_addc_u32 s1, s11, s1
	s_waitcnt lgkmcnt(0)
	v_mul_f32_e64 v5, v1, -s4
	v_add_co_u32 v1, s0, s0, v3
	s_delay_alu instid0(VALU_DEP_1)
	v_add_co_ci_u32_e64 v2, null, s1, 0, s0
	s_mov_b32 s1, 0
	.p2align	6
.LBB6_12:                               ; =>This Inner Loop Header: Depth=1
	global_load_b32 v3, v[1:2], off
	ds_load_b32 v6, v4
	v_add_nc_u32_e32 v0, 0x400, v0
	s_waitcnt vmcnt(0) lgkmcnt(0)
	v_dual_fmac_f32 v3, v5, v6 :: v_dual_add_nc_u32 v4, 0x1000, v4
	s_delay_alu instid0(VALU_DEP_2) | instskip(SKIP_2) | instid1(VALU_DEP_1)
	v_cmp_le_i32_e32 vcc_lo, s20, v0
	global_store_b32 v[1:2], v3, off
	v_add_co_u32 v1, s0, 0x1000, v1
	v_add_co_ci_u32_e64 v2, s0, 0, v2, s0
	s_or_b32 s1, vcc_lo, s1
	s_delay_alu instid0(SALU_CYCLE_1)
	s_and_not1_b32 exec_lo, exec_lo, s1
	s_cbranch_execnz .LBB6_12
.LBB6_13:
	s_nop 0
	s_sendmsg sendmsg(MSG_DEALLOC_VGPRS)
	s_endpgm
	.section	.rodata,"a",@progbits
	.p2align	6, 0x0
	.amdhsa_kernel _ZN9rocsolver6v33100L16larf_left_kernelILi1024EfiPfEEvT1_S3_T2_lS3_lPKT0_lS4_lS3_l
		.amdhsa_group_segment_fixed_size 0
		.amdhsa_private_segment_fixed_size 0
		.amdhsa_kernarg_size 88
		.amdhsa_user_sgpr_count 13
		.amdhsa_user_sgpr_dispatch_ptr 0
		.amdhsa_user_sgpr_queue_ptr 0
		.amdhsa_user_sgpr_kernarg_segment_ptr 1
		.amdhsa_user_sgpr_dispatch_id 0
		.amdhsa_user_sgpr_private_segment_size 0
		.amdhsa_wavefront_size32 1
		.amdhsa_uses_dynamic_stack 0
		.amdhsa_enable_private_segment 0
		.amdhsa_system_sgpr_workgroup_id_x 1
		.amdhsa_system_sgpr_workgroup_id_y 1
		.amdhsa_system_sgpr_workgroup_id_z 1
		.amdhsa_system_sgpr_workgroup_info 0
		.amdhsa_system_vgpr_workitem_id 0
		.amdhsa_next_free_vgpr 13
		.amdhsa_next_free_sgpr 30
		.amdhsa_reserve_vcc 1
		.amdhsa_float_round_mode_32 0
		.amdhsa_float_round_mode_16_64 0
		.amdhsa_float_denorm_mode_32 3
		.amdhsa_float_denorm_mode_16_64 3
		.amdhsa_dx10_clamp 1
		.amdhsa_ieee_mode 1
		.amdhsa_fp16_overflow 0
		.amdhsa_workgroup_processor_mode 1
		.amdhsa_memory_ordered 1
		.amdhsa_forward_progress 0
		.amdhsa_shared_vgpr_count 0
		.amdhsa_exception_fp_ieee_invalid_op 0
		.amdhsa_exception_fp_denorm_src 0
		.amdhsa_exception_fp_ieee_div_zero 0
		.amdhsa_exception_fp_ieee_overflow 0
		.amdhsa_exception_fp_ieee_underflow 0
		.amdhsa_exception_fp_ieee_inexact 0
		.amdhsa_exception_int_div_zero 0
	.end_amdhsa_kernel
	.section	.text._ZN9rocsolver6v33100L16larf_left_kernelILi1024EfiPfEEvT1_S3_T2_lS3_lPKT0_lS4_lS3_l,"axG",@progbits,_ZN9rocsolver6v33100L16larf_left_kernelILi1024EfiPfEEvT1_S3_T2_lS3_lPKT0_lS4_lS3_l,comdat
.Lfunc_end6:
	.size	_ZN9rocsolver6v33100L16larf_left_kernelILi1024EfiPfEEvT1_S3_T2_lS3_lPKT0_lS4_lS3_l, .Lfunc_end6-_ZN9rocsolver6v33100L16larf_left_kernelILi1024EfiPfEEvT1_S3_T2_lS3_lPKT0_lS4_lS3_l
                                        ; -- End function
	.section	.AMDGPU.csdata,"",@progbits
; Kernel info:
; codeLenInByte = 1528
; NumSgprs: 32
; NumVgprs: 13
; ScratchSize: 0
; MemoryBound: 0
; FloatMode: 240
; IeeeMode: 1
; LDSByteSize: 0 bytes/workgroup (compile time only)
; SGPRBlocks: 3
; VGPRBlocks: 1
; NumSGPRsForWavesPerEU: 32
; NumVGPRsForWavesPerEU: 13
; Occupancy: 16
; WaveLimiterHint : 0
; COMPUTE_PGM_RSRC2:SCRATCH_EN: 0
; COMPUTE_PGM_RSRC2:USER_SGPR: 13
; COMPUTE_PGM_RSRC2:TRAP_HANDLER: 0
; COMPUTE_PGM_RSRC2:TGID_X_EN: 1
; COMPUTE_PGM_RSRC2:TGID_Y_EN: 1
; COMPUTE_PGM_RSRC2:TGID_Z_EN: 1
; COMPUTE_PGM_RSRC2:TIDIG_COMP_CNT: 0
	.section	.text._ZN9rocsolver6v33100L17larf_right_kernelILi1024EfiPfEEvT1_S3_T2_lS3_lPKT0_lS4_lS3_l,"axG",@progbits,_ZN9rocsolver6v33100L17larf_right_kernelILi1024EfiPfEEvT1_S3_T2_lS3_lPKT0_lS4_lS3_l,comdat
	.globl	_ZN9rocsolver6v33100L17larf_right_kernelILi1024EfiPfEEvT1_S3_T2_lS3_lPKT0_lS4_lS3_l ; -- Begin function _ZN9rocsolver6v33100L17larf_right_kernelILi1024EfiPfEEvT1_S3_T2_lS3_lPKT0_lS4_lS3_l
	.p2align	8
	.type	_ZN9rocsolver6v33100L17larf_right_kernelILi1024EfiPfEEvT1_S3_T2_lS3_lPKT0_lS4_lS3_l,@function
_ZN9rocsolver6v33100L17larf_right_kernelILi1024EfiPfEEvT1_S3_T2_lS3_lPKT0_lS4_lS3_l: ; @_ZN9rocsolver6v33100L17larf_right_kernelILi1024EfiPfEEvT1_S3_T2_lS3_lPKT0_lS4_lS3_l
; %bb.0:
	s_clause 0x4
	s_load_b32 s24, s[0:1], 0x4
	s_load_b64 s[16:17], s[0:1], 0x50
	s_load_b64 s[20:21], s[0:1], 0x40
	s_load_b32 s12, s[0:1], 0x48
	s_load_b256 s[4:11], s[0:1], 0x20
	v_mov_b32_e32 v5, 0
	v_lshlrev_b32_e32 v3, 2, v0
	s_mov_b32 s2, s15
	s_ashr_i32 s27, s15, 31
	s_ashr_i32 s15, s14, 31
	s_waitcnt lgkmcnt(0)
	v_cmp_gt_i32_e32 vcc_lo, s24, v0
	s_mul_i32 s3, s16, s27
	s_mul_hi_u32 s26, s16, s2
	s_mul_i32 s25, s17, s2
	s_mul_i32 s22, s16, s2
	s_and_saveexec_b32 s28, vcc_lo
	s_cbranch_execz .LBB7_6
; %bb.1:
	s_clause 0x1
	s_load_b32 s30, s[0:1], 0x18
	s_load_b128 s[16:19], s[0:1], 0x8
	s_sub_i32 s1, 1, s24
	s_mul_i32 s13, s4, s27
	s_mul_hi_u32 s29, s4, s2
	s_mul_i32 s0, s4, s2
	s_mul_i32 s33, s5, s2
	v_add3_u32 v4, v3, 0, 0x80
	v_mov_b32_e32 v6, v0
	s_delay_alu instid0(VALU_DEP_2)
	v_mov_b32_e32 v5, v4
	s_waitcnt lgkmcnt(0)
	s_ashr_i32 s31, s30, 31
	v_mad_i64_i32 v[1:2], null, s30, v0, 0
	v_cmp_lt_i64_e64 s23, s[30:31], 1
	s_mul_i32 s1, s1, s30
	s_delay_alu instid0(VALU_DEP_1)
	s_and_b32 s4, s23, exec_lo
	s_cselect_b32 s4, s1, 0
	s_add_i32 s1, s29, s13
	s_ashr_i32 s5, s4, 31
	s_add_i32 s1, s1, s33
	s_lshl_b64 s[4:5], s[4:5], 2
	s_lshl_b64 s[18:19], s[18:19], 2
	;; [unrolled: 1-line block ×3, first 2 shown]
	v_lshlrev_b64 v[1:2], 2, v[1:2]
	s_add_u32 s4, s16, s4
	s_addc_u32 s5, s17, s5
	s_add_u32 s4, s4, s18
	s_addc_u32 s5, s5, s19
	;; [unrolled: 2-line block ×3, first 2 shown]
	v_add_co_u32 v1, s0, s0, v1
	s_delay_alu instid0(VALU_DEP_1)
	v_add_co_ci_u32_e64 v2, s0, s1, v2, s0
	s_mov_b32 s13, 0
	s_lshl_b64 s[4:5], s[30:31], 12
	.p2align	6
.LBB7_2:                                ; =>This Inner Loop Header: Depth=1
	global_load_b32 v7, v[1:2], off
	v_add_nc_u32_e32 v6, 0x400, v6
	v_add_co_u32 v1, s0, v1, s4
	s_delay_alu instid0(VALU_DEP_1) | instskip(NEXT) | instid1(VALU_DEP_3)
	v_add_co_ci_u32_e64 v2, s0, s5, v2, s0
	v_cmp_le_i32_e64 s1, s24, v6
	s_delay_alu instid0(VALU_DEP_1)
	s_or_b32 s13, s1, s13
	s_waitcnt vmcnt(0)
	ds_store_b32 v5, v7
	v_add_nc_u32_e32 v5, 0x1000, v5
	s_and_not1_b32 exec_lo, exec_lo, s13
	s_cbranch_execnz .LBB7_2
; %bb.3:
	s_or_b32 exec_lo, exec_lo, s13
	v_mad_i64_i32 v[1:2], null, s12, v0, 0
	s_add_i32 s4, s26, s3
	s_ashr_i32 s13, s12, 31
	s_add_i32 s23, s4, s25
	s_lshl_b64 s[4:5], s[14:15], 2
	s_lshl_b64 s[0:1], s[20:21], 2
	;; [unrolled: 1-line block ×3, first 2 shown]
	s_delay_alu instid0(VALU_DEP_1)
	v_lshlrev_b64 v[1:2], 2, v[1:2]
	s_add_u32 s4, s10, s4
	s_addc_u32 s5, s11, s5
	s_add_u32 s0, s4, s0
	s_addc_u32 s1, s5, s1
	;; [unrolled: 2-line block ×3, first 2 shown]
	v_add_co_u32 v1, s0, s0, v1
	s_delay_alu instid0(VALU_DEP_1)
	v_add_co_ci_u32_e64 v2, s0, s1, v2, s0
	v_dual_mov_b32 v5, 0 :: v_dual_mov_b32 v6, v0
	s_lshl_b64 s[4:5], s[12:13], 12
	s_mov_b32 s13, 0
	.p2align	6
.LBB7_4:                                ; =>This Inner Loop Header: Depth=1
	global_load_b32 v7, v[1:2], off
	ds_load_b32 v8, v4
	v_add_nc_u32_e32 v6, 0x400, v6
	v_add_co_u32 v1, s0, v1, s4
	s_delay_alu instid0(VALU_DEP_1) | instskip(SKIP_3) | instid1(VALU_DEP_2)
	v_add_co_ci_u32_e64 v2, s0, s5, v2, s0
	s_waitcnt vmcnt(0) lgkmcnt(0)
	v_mul_f32_e32 v7, v7, v8
	v_cmp_le_i32_e64 s1, s24, v6
	v_dual_add_f32 v5, v5, v7 :: v_dual_add_nc_u32 v4, 0x1000, v4
	s_delay_alu instid0(VALU_DEP_2) | instskip(NEXT) | instid1(SALU_CYCLE_1)
	s_or_b32 s13, s1, s13
	s_and_not1_b32 exec_lo, exec_lo, s13
	s_cbranch_execnz .LBB7_4
; %bb.5:
	s_or_b32 exec_lo, exec_lo, s13
.LBB7_6:
	s_delay_alu instid0(SALU_CYCLE_1) | instskip(SKIP_2) | instid1(VALU_DEP_1)
	s_or_b32 exec_lo, exec_lo, s28
	v_mbcnt_lo_u32_b32 v1, -1, 0
	s_mov_b32 s1, exec_lo
	v_cmp_ne_u32_e64 s0, 31, v1
	s_delay_alu instid0(VALU_DEP_1) | instskip(SKIP_1) | instid1(VALU_DEP_2)
	v_add_co_ci_u32_e64 v2, s0, 0, v1, s0
	v_cmp_gt_u32_e64 s0, 30, v1
	v_lshlrev_b32_e32 v2, 2, v2
	s_delay_alu instid0(VALU_DEP_2) | instskip(SKIP_3) | instid1(VALU_DEP_1)
	v_cndmask_b32_e64 v4, 0, 1, s0
	v_cmp_gt_u32_e64 s0, 28, v1
	ds_bpermute_b32 v2, v2, v5
	v_lshlrev_b32_e32 v4, 1, v4
	v_add_lshl_u32 v4, v4, v1, 2
	s_waitcnt lgkmcnt(0)
	v_add_f32_e32 v2, v5, v2
	v_cndmask_b32_e64 v5, 0, 1, s0
	v_cmp_gt_u32_e64 s0, 24, v1
	s_delay_alu instid0(VALU_DEP_2)
	v_lshlrev_b32_e32 v5, 2, v5
	ds_bpermute_b32 v4, v4, v2
	v_add_lshl_u32 v5, v5, v1, 2
	s_waitcnt lgkmcnt(0)
	v_add_f32_e32 v2, v2, v4
	ds_bpermute_b32 v4, v5, v2
	v_cndmask_b32_e64 v5, 0, 1, s0
	v_cmp_gt_u32_e64 s0, 16, v1
	s_delay_alu instid0(VALU_DEP_2) | instskip(NEXT) | instid1(VALU_DEP_1)
	v_lshlrev_b32_e32 v5, 3, v5
	v_add_lshl_u32 v5, v5, v1, 2
	s_waitcnt lgkmcnt(0)
	v_add_f32_e32 v2, v2, v4
	ds_bpermute_b32 v4, v5, v2
	v_cndmask_b32_e64 v5, 0, 1, s0
	s_delay_alu instid0(VALU_DEP_1) | instskip(NEXT) | instid1(VALU_DEP_1)
	v_lshlrev_b32_e32 v5, 4, v5
	v_add_lshl_u32 v1, v5, v1, 2
	s_waitcnt lgkmcnt(0)
	v_add_f32_e32 v2, v2, v4
	v_and_b32_e32 v4, 31, v0
	ds_bpermute_b32 v1, v1, v2
	s_waitcnt lgkmcnt(0)
	v_add_f32_e32 v1, v2, v1
	v_cmpx_eq_u32_e32 0, v4
	s_cbranch_execz .LBB7_8
; %bb.7:
	v_lshrrev_b32_e32 v2, 3, v0
	s_delay_alu instid0(VALU_DEP_1)
	v_add_nc_u32_e32 v2, 0, v2
	ds_store_b32 v2, v1
.LBB7_8:
	s_or_b32 exec_lo, exec_lo, s1
	s_delay_alu instid0(SALU_CYCLE_1)
	s_mov_b32 s1, exec_lo
	s_waitcnt lgkmcnt(0)
	s_barrier
	buffer_gl0_inv
	v_cmpx_eq_u32_e32 0, v0
	s_cbranch_execz .LBB7_10
; %bb.9:
	v_mov_b32_e32 v12, 0
	ds_load_2addr_b32 v[4:5], v12 offset0:1 offset1:2
	ds_load_2addr_b32 v[6:7], v12 offset0:3 offset1:4
	;; [unrolled: 1-line block ×4, first 2 shown]
	s_waitcnt lgkmcnt(3)
	v_add_f32_e32 v1, v1, v4
	s_delay_alu instid0(VALU_DEP_1) | instskip(SKIP_1) | instid1(VALU_DEP_1)
	v_add_f32_e32 v1, v1, v5
	s_waitcnt lgkmcnt(2)
	v_add_f32_e32 v1, v1, v6
	s_delay_alu instid0(VALU_DEP_1) | instskip(SKIP_1) | instid1(VALU_DEP_1)
	v_add_f32_e32 v1, v1, v7
	s_waitcnt lgkmcnt(1)
	v_add_f32_e32 v4, v1, v8
	ds_load_2addr_b32 v[1:2], v12 offset0:9 offset1:10
	v_add_f32_e32 v4, v4, v9
	s_waitcnt lgkmcnt(1)
	s_delay_alu instid0(VALU_DEP_1)
	v_add_f32_e32 v6, v4, v10
	ds_load_2addr_b32 v[4:5], v12 offset0:11 offset1:12
	v_add_f32_e32 v10, v6, v11
	ds_load_2addr_b32 v[6:7], v12 offset0:13 offset1:14
	ds_load_2addr_b32 v[8:9], v12 offset0:15 offset1:16
	s_waitcnt lgkmcnt(3)
	v_add_f32_e32 v1, v10, v1
	s_delay_alu instid0(VALU_DEP_1) | instskip(SKIP_1) | instid1(VALU_DEP_1)
	v_add_f32_e32 v1, v1, v2
	s_waitcnt lgkmcnt(2)
	v_add_f32_e32 v1, v1, v4
	s_delay_alu instid0(VALU_DEP_1) | instskip(SKIP_1) | instid1(VALU_DEP_1)
	v_add_f32_e32 v1, v1, v5
	s_waitcnt lgkmcnt(1)
	v_add_f32_e32 v4, v1, v6
	ds_load_2addr_b32 v[1:2], v12 offset0:17 offset1:18
	v_add_f32_e32 v4, v4, v7
	s_waitcnt lgkmcnt(1)
	s_delay_alu instid0(VALU_DEP_1)
	v_add_f32_e32 v6, v4, v8
	ds_load_2addr_b32 v[4:5], v12 offset0:19 offset1:20
	v_add_f32_e32 v10, v6, v9
	ds_load_2addr_b32 v[6:7], v12 offset0:21 offset1:22
	ds_load_2addr_b32 v[8:9], v12 offset0:23 offset1:24
	s_waitcnt lgkmcnt(3)
	v_add_f32_e32 v1, v10, v1
	s_delay_alu instid0(VALU_DEP_1) | instskip(SKIP_1) | instid1(VALU_DEP_1)
	v_add_f32_e32 v1, v1, v2
	s_waitcnt lgkmcnt(2)
	v_add_f32_e32 v1, v1, v4
	s_delay_alu instid0(VALU_DEP_1) | instskip(SKIP_1) | instid1(VALU_DEP_1)
	v_add_f32_e32 v1, v1, v5
	s_waitcnt lgkmcnt(1)
	v_add_f32_e32 v4, v1, v6
	ds_load_2addr_b32 v[1:2], v12 offset0:25 offset1:26
	v_add_f32_e32 v4, v4, v7
	s_waitcnt lgkmcnt(1)
	s_delay_alu instid0(VALU_DEP_1)
	v_add_f32_e32 v6, v4, v8
	ds_load_2addr_b32 v[4:5], v12 offset0:27 offset1:28
	v_add_f32_e32 v8, v6, v9
	ds_load_2addr_b32 v[6:7], v12 offset0:29 offset1:30
	ds_load_b32 v9, v12 offset:124
	s_waitcnt lgkmcnt(3)
	v_add_f32_e32 v1, v8, v1
	s_delay_alu instid0(VALU_DEP_1) | instskip(SKIP_1) | instid1(VALU_DEP_1)
	v_add_f32_e32 v1, v1, v2
	s_waitcnt lgkmcnt(2)
	v_add_f32_e32 v1, v1, v4
	s_delay_alu instid0(VALU_DEP_1) | instskip(SKIP_1) | instid1(VALU_DEP_1)
	v_add_f32_e32 v1, v1, v5
	;; [unrolled: 4-line block ×3, first 2 shown]
	s_waitcnt lgkmcnt(0)
	v_add_f32_e32 v1, v1, v9
	ds_store_b32 v12, v1
.LBB7_10:
	s_or_b32 exec_lo, exec_lo, s1
	s_waitcnt lgkmcnt(0)
	s_barrier
	buffer_gl0_inv
	s_and_saveexec_b32 s0, vcc_lo
	s_cbranch_execz .LBB7_13
; %bb.11:
	s_mul_i32 s0, s2, s9
	s_mul_hi_u32 s1, s2, s8
	s_mul_i32 s4, s27, s8
	s_add_i32 s0, s1, s0
	v_mov_b32_e32 v1, 0
	s_add_i32 s1, s0, s4
	s_mul_i32 s0, s2, s8
	v_add3_u32 v3, v3, 0, 0x80
	s_lshl_b64 s[0:1], s[0:1], 2
	ds_load_b32 v4, v1
	s_add_u32 s0, s6, s0
	s_addc_u32 s1, s7, s1
	v_mad_i64_i32 v[1:2], null, s12, v0, 0
	s_load_b32 s6, s[0:1], 0x0
	s_add_i32 s2, s26, s3
	s_ashr_i32 s13, s12, 31
	s_add_i32 s23, s2, s25
	s_lshl_b64 s[2:3], s[14:15], 2
	s_lshl_b64 s[0:1], s[20:21], 2
	;; [unrolled: 1-line block ×3, first 2 shown]
	v_lshlrev_b64 v[1:2], 2, v[1:2]
	s_add_u32 s2, s10, s2
	s_addc_u32 s3, s11, s3
	s_add_u32 s0, s2, s0
	s_addc_u32 s1, s3, s1
	;; [unrolled: 2-line block ×3, first 2 shown]
	v_add_co_u32 v1, vcc_lo, s0, v1
	v_add_co_ci_u32_e32 v2, vcc_lo, s1, v2, vcc_lo
	s_mov_b32 s1, 0
	s_lshl_b64 s[2:3], s[12:13], 12
	s_waitcnt lgkmcnt(0)
	v_mul_f32_e64 v4, v4, -s6
	.p2align	6
.LBB7_12:                               ; =>This Inner Loop Header: Depth=1
	global_load_b32 v5, v[1:2], off
	ds_load_b32 v6, v3
	v_add_nc_u32_e32 v0, 0x400, v0
	v_add_nc_u32_e32 v3, 0x1000, v3
	s_waitcnt vmcnt(0) lgkmcnt(0)
	v_fmac_f32_e32 v5, v4, v6
	s_delay_alu instid0(VALU_DEP_3) | instskip(SKIP_2) | instid1(VALU_DEP_1)
	v_cmp_le_i32_e32 vcc_lo, s24, v0
	global_store_b32 v[1:2], v5, off
	v_add_co_u32 v1, s0, v1, s2
	v_add_co_ci_u32_e64 v2, s0, s3, v2, s0
	s_or_b32 s1, vcc_lo, s1
	s_delay_alu instid0(SALU_CYCLE_1)
	s_and_not1_b32 exec_lo, exec_lo, s1
	s_cbranch_execnz .LBB7_12
.LBB7_13:
	s_nop 0
	s_sendmsg sendmsg(MSG_DEALLOC_VGPRS)
	s_endpgm
	.section	.rodata,"a",@progbits
	.p2align	6, 0x0
	.amdhsa_kernel _ZN9rocsolver6v33100L17larf_right_kernelILi1024EfiPfEEvT1_S3_T2_lS3_lPKT0_lS4_lS3_l
		.amdhsa_group_segment_fixed_size 0
		.amdhsa_private_segment_fixed_size 0
		.amdhsa_kernarg_size 88
		.amdhsa_user_sgpr_count 13
		.amdhsa_user_sgpr_dispatch_ptr 0
		.amdhsa_user_sgpr_queue_ptr 0
		.amdhsa_user_sgpr_kernarg_segment_ptr 1
		.amdhsa_user_sgpr_dispatch_id 0
		.amdhsa_user_sgpr_private_segment_size 0
		.amdhsa_wavefront_size32 1
		.amdhsa_uses_dynamic_stack 0
		.amdhsa_enable_private_segment 0
		.amdhsa_system_sgpr_workgroup_id_x 1
		.amdhsa_system_sgpr_workgroup_id_y 1
		.amdhsa_system_sgpr_workgroup_id_z 1
		.amdhsa_system_sgpr_workgroup_info 0
		.amdhsa_system_vgpr_workitem_id 0
		.amdhsa_next_free_vgpr 13
		.amdhsa_next_free_sgpr 34
		.amdhsa_reserve_vcc 1
		.amdhsa_float_round_mode_32 0
		.amdhsa_float_round_mode_16_64 0
		.amdhsa_float_denorm_mode_32 3
		.amdhsa_float_denorm_mode_16_64 3
		.amdhsa_dx10_clamp 1
		.amdhsa_ieee_mode 1
		.amdhsa_fp16_overflow 0
		.amdhsa_workgroup_processor_mode 1
		.amdhsa_memory_ordered 1
		.amdhsa_forward_progress 0
		.amdhsa_shared_vgpr_count 0
		.amdhsa_exception_fp_ieee_invalid_op 0
		.amdhsa_exception_fp_denorm_src 0
		.amdhsa_exception_fp_ieee_div_zero 0
		.amdhsa_exception_fp_ieee_overflow 0
		.amdhsa_exception_fp_ieee_underflow 0
		.amdhsa_exception_fp_ieee_inexact 0
		.amdhsa_exception_int_div_zero 0
	.end_amdhsa_kernel
	.section	.text._ZN9rocsolver6v33100L17larf_right_kernelILi1024EfiPfEEvT1_S3_T2_lS3_lPKT0_lS4_lS3_l,"axG",@progbits,_ZN9rocsolver6v33100L17larf_right_kernelILi1024EfiPfEEvT1_S3_T2_lS3_lPKT0_lS4_lS3_l,comdat
.Lfunc_end7:
	.size	_ZN9rocsolver6v33100L17larf_right_kernelILi1024EfiPfEEvT1_S3_T2_lS3_lPKT0_lS4_lS3_l, .Lfunc_end7-_ZN9rocsolver6v33100L17larf_right_kernelILi1024EfiPfEEvT1_S3_T2_lS3_lPKT0_lS4_lS3_l
                                        ; -- End function
	.section	.AMDGPU.csdata,"",@progbits
; Kernel info:
; codeLenInByte = 1552
; NumSgprs: 36
; NumVgprs: 13
; ScratchSize: 0
; MemoryBound: 0
; FloatMode: 240
; IeeeMode: 1
; LDSByteSize: 0 bytes/workgroup (compile time only)
; SGPRBlocks: 4
; VGPRBlocks: 1
; NumSGPRsForWavesPerEU: 36
; NumVGPRsForWavesPerEU: 13
; Occupancy: 16
; WaveLimiterHint : 0
; COMPUTE_PGM_RSRC2:SCRATCH_EN: 0
; COMPUTE_PGM_RSRC2:USER_SGPR: 13
; COMPUTE_PGM_RSRC2:TRAP_HANDLER: 0
; COMPUTE_PGM_RSRC2:TGID_X_EN: 1
; COMPUTE_PGM_RSRC2:TGID_Y_EN: 1
; COMPUTE_PGM_RSRC2:TGID_Z_EN: 1
; COMPUTE_PGM_RSRC2:TIDIG_COMP_CNT: 0
	.section	.text._ZN9rocsolver6v33100L12restore_diagIfifPfEEvPT1_llT2_lT0_lS6_,"axG",@progbits,_ZN9rocsolver6v33100L12restore_diagIfifPfEEvPT1_llT2_lT0_lS6_,comdat
	.globl	_ZN9rocsolver6v33100L12restore_diagIfifPfEEvPT1_llT2_lT0_lS6_ ; -- Begin function _ZN9rocsolver6v33100L12restore_diagIfifPfEEvPT1_llT2_lT0_lS6_
	.p2align	8
	.type	_ZN9rocsolver6v33100L12restore_diagIfifPfEEvPT1_llT2_lT0_lS6_,@function
_ZN9rocsolver6v33100L12restore_diagIfifPfEEvPT1_llT2_lT0_lS6_: ; @_ZN9rocsolver6v33100L12restore_diagIfifPfEEvPT1_llT2_lT0_lS6_
; %bb.0:
	s_clause 0x1
	s_load_b32 s2, s[0:1], 0x4c
	s_load_b32 s3, s[0:1], 0x38
	v_bfe_u32 v2, v0, 10, 10
	s_waitcnt lgkmcnt(0)
	s_lshr_b32 s2, s2, 16
	s_delay_alu instid0(VALU_DEP_1) | instid1(SALU_CYCLE_1)
	v_mad_u64_u32 v[0:1], null, s15, s2, v[2:3]
	s_mov_b32 s2, exec_lo
	s_delay_alu instid0(VALU_DEP_1)
	v_cmpx_gt_i32_e64 s3, v0
	s_cbranch_execz .LBB8_2
; %bb.1:
	s_clause 0x3
	s_load_b64 s[2:3], s[0:1], 0x30
	s_load_b256 s[4:11], s[0:1], 0x0
	s_load_b32 s12, s[0:1], 0x28
	s_load_b64 s[0:1], s[0:1], 0x20
	s_ashr_i32 s13, s14, 31
	s_waitcnt lgkmcnt(0)
	s_mul_i32 s3, s14, s3
	s_mul_hi_u32 s15, s14, s2
	s_mul_i32 s16, s13, s2
	s_add_i32 s3, s15, s3
	s_mul_i32 s2, s14, s2
	s_add_i32 s3, s3, s16
	s_mul_i32 s9, s14, s9
	s_lshl_b64 s[2:3], s[2:3], 2
	s_mul_hi_u32 s15, s14, s8
	s_add_u32 s2, s10, s2
	s_addc_u32 s3, s11, s3
	s_lshl_b64 s[0:1], s[0:1], 2
	s_mul_i32 s13, s13, s8
	s_add_u32 s2, s2, s0
	v_mad_u64_u32 v[2:3], null, v0, s12, v[0:1]
	v_ashrrev_i32_e32 v1, 31, v0
	s_addc_u32 s3, s3, s1
	s_add_i32 s1, s15, s9
	s_mul_i32 s0, s14, s8
	s_add_i32 s1, s1, s13
	v_lshlrev_b64 v[0:1], 2, v[0:1]
	s_lshl_b64 s[0:1], s[0:1], 2
	v_ashrrev_i32_e32 v3, 31, v2
	s_add_u32 s4, s4, s0
	s_addc_u32 s5, s5, s1
	s_lshl_b64 s[0:1], s[6:7], 2
	s_delay_alu instid0(SALU_CYCLE_1)
	s_add_u32 s0, s4, s0
	s_addc_u32 s1, s5, s1
	v_add_co_u32 v0, vcc_lo, s0, v0
	v_add_co_ci_u32_e32 v1, vcc_lo, s1, v1, vcc_lo
	global_load_b32 v4, v[0:1], off
	v_lshlrev_b64 v[0:1], 2, v[2:3]
	s_delay_alu instid0(VALU_DEP_1) | instskip(NEXT) | instid1(VALU_DEP_2)
	v_add_co_u32 v0, vcc_lo, s2, v0
	v_add_co_ci_u32_e32 v1, vcc_lo, s3, v1, vcc_lo
	s_waitcnt vmcnt(0)
	global_store_b32 v[0:1], v4, off
.LBB8_2:
	s_nop 0
	s_sendmsg sendmsg(MSG_DEALLOC_VGPRS)
	s_endpgm
	.section	.rodata,"a",@progbits
	.p2align	6, 0x0
	.amdhsa_kernel _ZN9rocsolver6v33100L12restore_diagIfifPfEEvPT1_llT2_lT0_lS6_
		.amdhsa_group_segment_fixed_size 0
		.amdhsa_private_segment_fixed_size 0
		.amdhsa_kernarg_size 320
		.amdhsa_user_sgpr_count 14
		.amdhsa_user_sgpr_dispatch_ptr 0
		.amdhsa_user_sgpr_queue_ptr 0
		.amdhsa_user_sgpr_kernarg_segment_ptr 1
		.amdhsa_user_sgpr_dispatch_id 0
		.amdhsa_user_sgpr_private_segment_size 0
		.amdhsa_wavefront_size32 1
		.amdhsa_uses_dynamic_stack 0
		.amdhsa_enable_private_segment 0
		.amdhsa_system_sgpr_workgroup_id_x 1
		.amdhsa_system_sgpr_workgroup_id_y 1
		.amdhsa_system_sgpr_workgroup_id_z 0
		.amdhsa_system_sgpr_workgroup_info 0
		.amdhsa_system_vgpr_workitem_id 1
		.amdhsa_next_free_vgpr 5
		.amdhsa_next_free_sgpr 17
		.amdhsa_reserve_vcc 1
		.amdhsa_float_round_mode_32 0
		.amdhsa_float_round_mode_16_64 0
		.amdhsa_float_denorm_mode_32 3
		.amdhsa_float_denorm_mode_16_64 3
		.amdhsa_dx10_clamp 1
		.amdhsa_ieee_mode 1
		.amdhsa_fp16_overflow 0
		.amdhsa_workgroup_processor_mode 1
		.amdhsa_memory_ordered 1
		.amdhsa_forward_progress 0
		.amdhsa_shared_vgpr_count 0
		.amdhsa_exception_fp_ieee_invalid_op 0
		.amdhsa_exception_fp_denorm_src 0
		.amdhsa_exception_fp_ieee_div_zero 0
		.amdhsa_exception_fp_ieee_overflow 0
		.amdhsa_exception_fp_ieee_underflow 0
		.amdhsa_exception_fp_ieee_inexact 0
		.amdhsa_exception_int_div_zero 0
	.end_amdhsa_kernel
	.section	.text._ZN9rocsolver6v33100L12restore_diagIfifPfEEvPT1_llT2_lT0_lS6_,"axG",@progbits,_ZN9rocsolver6v33100L12restore_diagIfifPfEEvPT1_llT2_lT0_lS6_,comdat
.Lfunc_end8:
	.size	_ZN9rocsolver6v33100L12restore_diagIfifPfEEvPT1_llT2_lT0_lS6_, .Lfunc_end8-_ZN9rocsolver6v33100L12restore_diagIfifPfEEvPT1_llT2_lT0_lS6_
                                        ; -- End function
	.section	.AMDGPU.csdata,"",@progbits
; Kernel info:
; codeLenInByte = 304
; NumSgprs: 19
; NumVgprs: 5
; ScratchSize: 0
; MemoryBound: 0
; FloatMode: 240
; IeeeMode: 1
; LDSByteSize: 0 bytes/workgroup (compile time only)
; SGPRBlocks: 2
; VGPRBlocks: 0
; NumSGPRsForWavesPerEU: 19
; NumVGPRsForWavesPerEU: 5
; Occupancy: 16
; WaveLimiterHint : 0
; COMPUTE_PGM_RSRC2:SCRATCH_EN: 0
; COMPUTE_PGM_RSRC2:USER_SGPR: 14
; COMPUTE_PGM_RSRC2:TRAP_HANDLER: 0
; COMPUTE_PGM_RSRC2:TGID_X_EN: 1
; COMPUTE_PGM_RSRC2:TGID_Y_EN: 1
; COMPUTE_PGM_RSRC2:TGID_Z_EN: 0
; COMPUTE_PGM_RSRC2:TIDIG_COMP_CNT: 1
	.section	.text._ZN9rocsolver6v33100L14set_triangularIfPfTnNSt9enable_ifIXnt18rocblas_is_complexIT_EEiE4typeELi0EEEviiT0_iilPS4_lS8_il15rocblas_direct_15rocblas_storev_b,"axG",@progbits,_ZN9rocsolver6v33100L14set_triangularIfPfTnNSt9enable_ifIXnt18rocblas_is_complexIT_EEiE4typeELi0EEEviiT0_iilPS4_lS8_il15rocblas_direct_15rocblas_storev_b,comdat
	.globl	_ZN9rocsolver6v33100L14set_triangularIfPfTnNSt9enable_ifIXnt18rocblas_is_complexIT_EEiE4typeELi0EEEviiT0_iilPS4_lS8_il15rocblas_direct_15rocblas_storev_b ; -- Begin function _ZN9rocsolver6v33100L14set_triangularIfPfTnNSt9enable_ifIXnt18rocblas_is_complexIT_EEiE4typeELi0EEEviiT0_iilPS4_lS8_il15rocblas_direct_15rocblas_storev_b
	.p2align	8
	.type	_ZN9rocsolver6v33100L14set_triangularIfPfTnNSt9enable_ifIXnt18rocblas_is_complexIT_EEiE4typeELi0EEEviiT0_iilPS4_lS8_il15rocblas_direct_15rocblas_storev_b,@function
_ZN9rocsolver6v33100L14set_triangularIfPfTnNSt9enable_ifIXnt18rocblas_is_complexIT_EEiE4typeELi0EEEviiT0_iilPS4_lS8_il15rocblas_direct_15rocblas_storev_b: ; @_ZN9rocsolver6v33100L14set_triangularIfPfTnNSt9enable_ifIXnt18rocblas_is_complexIT_EEiE4typeELi0EEEviiT0_iilPS4_lS8_il15rocblas_direct_15rocblas_storev_b
; %bb.0:
	s_clause 0x1
	s_load_b32 s2, s[0:1], 0x64
	s_load_b64 s[16:17], s[0:1], 0x0
	v_and_b32_e32 v2, 0x3ff, v0
	v_bfe_u32 v4, v0, 10, 10
	s_waitcnt lgkmcnt(0)
	s_lshr_b32 s3, s2, 16
	s_and_b32 s2, s2, 0xffff
	s_delay_alu instid0(SALU_CYCLE_1) | instskip(SKIP_2) | instid1(VALU_DEP_1)
	v_mad_u64_u32 v[0:1], null, s13, s2, v[2:3]
	v_mad_u64_u32 v[2:3], null, s14, s3, v[4:5]
	s_mov_b32 s2, exec_lo
	v_max_u32_e32 v1, v0, v2
	s_delay_alu instid0(VALU_DEP_1)
	v_cmpx_gt_u32_e64 s17, v1
	s_cbranch_execz .LBB9_36
; %bb.1:
	s_clause 0x2
	s_load_b256 s[4:11], s[0:1], 0x18
	s_load_b64 s[2:3], s[0:1], 0x40
	s_load_b32 s12, s[0:1], 0x38
	s_waitcnt lgkmcnt(0)
	s_mul_i32 s9, s15, s9
	s_mul_hi_u32 s13, s15, s8
	s_mul_i32 s8, s15, s8
	s_add_i32 s9, s13, s9
	s_mul_i32 s3, s15, s3
	s_lshl_b64 s[8:9], s[8:9], 2
	s_mul_hi_u32 s18, s15, s2
	s_add_u32 s13, s6, s8
	s_mul_i32 s2, s15, s2
	s_addc_u32 s14, s7, s9
	s_add_i32 s3, s18, s3
	s_delay_alu instid0(SALU_CYCLE_1) | instskip(NEXT) | instid1(SALU_CYCLE_1)
	s_lshl_b64 s[2:3], s[2:3], 2
	s_add_u32 s6, s10, s2
	s_addc_u32 s7, s11, s3
	s_mov_b32 s2, exec_lo
	v_cmpx_ne_u32_e64 v2, v0
	s_xor_b32 s18, exec_lo, s2
	s_cbranch_execz .LBB9_34
; %bb.2:
	s_clause 0x1
	s_load_b128 s[8:11], s[0:1], 0x8
	s_load_b128 s[0:3], s[0:1], 0x48
	s_waitcnt lgkmcnt(0)
	s_mul_i32 s3, s15, s5
	s_mul_hi_u32 s5, s15, s4
	s_mul_i32 s4, s15, s4
	s_add_i32 s5, s5, s3
	v_mov_b32_e32 v1, 0
	s_lshl_b64 s[4:5], s[4:5], 2
	s_ashr_i32 s21, s10, 31
	s_mov_b32 s20, s10
	s_add_u32 s3, s8, s4
	s_addc_u32 s8, s9, s5
	s_lshl_b64 s[4:5], s[20:21], 2
	s_delay_alu instid0(SALU_CYCLE_1) | instskip(SKIP_3) | instid1(SALU_CYCLE_1)
	s_add_u32 s3, s3, s4
	s_addc_u32 s4, s8, s5
	s_bitcmp1_b32 s2, 0
	s_cselect_b32 s2, -1, 0
	s_xor_b32 s2, s2, -1
	s_cmpk_lg_i32 s0, 0xab
	s_mov_b32 s0, -1
	s_cbranch_scc0 .LBB9_18
; %bb.3:
	s_mov_b32 s0, exec_lo
	v_cmpx_le_u32_e64 v2, v0
	s_xor_b32 s0, exec_lo, s0
	s_cbranch_execz .LBB9_5
; %bb.4:
	v_mad_u64_u32 v[4:5], null, v0, s12, 0
	s_ashr_i32 s5, s12, 31
	s_delay_alu instid0(VALU_DEP_1) | instskip(NEXT) | instid1(VALU_DEP_1)
	v_mov_b32_e32 v3, v5
	v_mad_u64_u32 v[5:6], null, v0, s5, v[3:4]
	v_mov_b32_e32 v3, 0
	s_delay_alu instid0(VALU_DEP_1) | instskip(NEXT) | instid1(VALU_DEP_3)
	v_lshlrev_b64 v[6:7], 2, v[2:3]
	v_lshlrev_b64 v[4:5], 2, v[4:5]
	s_delay_alu instid0(VALU_DEP_1) | instskip(NEXT) | instid1(VALU_DEP_2)
	v_add_co_u32 v4, vcc_lo, s6, v4
	v_add_co_ci_u32_e32 v5, vcc_lo, s7, v5, vcc_lo
	s_delay_alu instid0(VALU_DEP_2) | instskip(NEXT) | instid1(VALU_DEP_2)
	v_add_co_u32 v4, vcc_lo, v4, v6
	v_add_co_ci_u32_e32 v5, vcc_lo, v5, v7, vcc_lo
	global_store_b32 v[4:5], v3, off
.LBB9_5:
	s_and_not1_saveexec_b32 s0, s0
	s_cbranch_execz .LBB9_17
; %bb.6:
	v_lshlrev_b64 v[3:4], 2, v[0:1]
	s_cmpk_lg_i32 s1, 0xb5
	s_mov_b32 s5, -1
	s_delay_alu instid0(VALU_DEP_1) | instskip(NEXT) | instid1(VALU_DEP_2)
	v_add_co_u32 v3, vcc_lo, s13, v3
	v_add_co_ci_u32_e32 v4, vcc_lo, s14, v4, vcc_lo
	global_load_b32 v5, v[3:4], off
	s_cbranch_scc0 .LBB9_12
; %bb.7:
	v_mov_b32_e32 v3, 0
	s_and_not1_b32 vcc_lo, exec_lo, s2
	s_delay_alu instid0(VALU_DEP_1)
	v_lshlrev_b64 v[3:4], 2, v[2:3]
	s_cbranch_vccnz .LBB9_9
; %bb.8:
	s_sub_i32 s5, s16, s17
	s_delay_alu instid0(SALU_CYCLE_1) | instskip(SKIP_1) | instid1(VALU_DEP_1)
	v_add_nc_u32_e32 v10, s5, v0
	s_ashr_i32 s5, s11, 31
	v_mad_u64_u32 v[6:7], null, v10, s11, 0
	s_delay_alu instid0(VALU_DEP_1) | instskip(SKIP_1) | instid1(VALU_DEP_1)
	v_mad_u64_u32 v[8:9], null, v10, s5, v[7:8]
	s_ashr_i32 s5, s12, 31
	v_mov_b32_e32 v7, v8
	s_delay_alu instid0(VALU_DEP_1) | instskip(NEXT) | instid1(VALU_DEP_1)
	v_lshlrev_b64 v[6:7], 2, v[6:7]
	v_add_co_u32 v6, vcc_lo, s3, v6
	s_delay_alu instid0(VALU_DEP_2) | instskip(NEXT) | instid1(VALU_DEP_2)
	v_add_co_ci_u32_e32 v7, vcc_lo, s4, v7, vcc_lo
	v_add_co_u32 v6, vcc_lo, v6, v3
	s_delay_alu instid0(VALU_DEP_2) | instskip(SKIP_2) | instid1(VALU_DEP_1)
	v_add_co_ci_u32_e32 v7, vcc_lo, v7, v4, vcc_lo
	global_load_b32 v10, v[6:7], off
	v_mad_u64_u32 v[6:7], null, v0, s12, 0
	v_mad_u64_u32 v[8:9], null, v0, s5, v[7:8]
	s_mov_b32 s5, 0
	s_delay_alu instid0(VALU_DEP_1) | instskip(NEXT) | instid1(VALU_DEP_1)
	v_mov_b32_e32 v7, v8
	v_lshlrev_b64 v[6:7], 2, v[6:7]
	s_delay_alu instid0(VALU_DEP_1) | instskip(NEXT) | instid1(VALU_DEP_2)
	v_add_co_u32 v6, vcc_lo, s6, v6
	v_add_co_ci_u32_e32 v7, vcc_lo, s7, v7, vcc_lo
	s_delay_alu instid0(VALU_DEP_2) | instskip(NEXT) | instid1(VALU_DEP_2)
	v_add_co_u32 v6, vcc_lo, v6, v3
	v_add_co_ci_u32_e32 v7, vcc_lo, v7, v4, vcc_lo
	s_waitcnt vmcnt(0)
	v_mul_f32_e64 v8, v10, -v5
	global_store_b32 v[6:7], v8, off
.LBB9_9:
	s_and_not1_b32 vcc_lo, exec_lo, s5
	s_cbranch_vccnz .LBB9_11
; %bb.10:
	s_sub_i32 s5, s16, s17
	v_mad_u64_u32 v[6:7], null, v0, s12, 0
	v_add_nc_u32_e32 v13, s5, v0
	s_ashr_i32 s5, s12, 31
	s_delay_alu instid0(VALU_DEP_1) | instskip(NEXT) | instid1(VALU_DEP_1)
	v_mad_u64_u32 v[8:9], null, v13, s11, 0
	v_mad_u64_u32 v[10:11], null, v0, s5, v[7:8]
	s_ashr_i32 s5, s11, 31
	s_delay_alu instid0(VALU_DEP_1) | instid1(SALU_CYCLE_1)
	v_mad_u64_u32 v[11:12], null, v13, s5, v[9:10]
	v_mov_b32_e32 v7, v10
	s_delay_alu instid0(VALU_DEP_1) | instskip(NEXT) | instid1(VALU_DEP_3)
	v_lshlrev_b64 v[6:7], 2, v[6:7]
	v_mov_b32_e32 v9, v11
	s_delay_alu instid0(VALU_DEP_2) | instskip(NEXT) | instid1(VALU_DEP_2)
	v_add_co_u32 v6, vcc_lo, s6, v6
	v_lshlrev_b64 v[8:9], 2, v[8:9]
	s_delay_alu instid0(VALU_DEP_4) | instskip(NEXT) | instid1(VALU_DEP_2)
	v_add_co_ci_u32_e32 v7, vcc_lo, s7, v7, vcc_lo
	v_add_co_u32 v8, vcc_lo, s3, v8
	s_delay_alu instid0(VALU_DEP_3) | instskip(SKIP_1) | instid1(VALU_DEP_4)
	v_add_co_ci_u32_e32 v9, vcc_lo, s4, v9, vcc_lo
	v_add_co_u32 v6, vcc_lo, v6, v3
	v_add_co_ci_u32_e32 v7, vcc_lo, v7, v4, vcc_lo
	s_delay_alu instid0(VALU_DEP_4) | instskip(NEXT) | instid1(VALU_DEP_4)
	v_add_co_u32 v3, vcc_lo, v8, v3
	v_add_co_ci_u32_e32 v4, vcc_lo, v9, v4, vcc_lo
	global_load_b32 v8, v[6:7], off
	global_load_b32 v3, v[3:4], off
	s_waitcnt vmcnt(0)
	v_add_f32_e32 v3, v8, v3
	s_delay_alu instid0(VALU_DEP_1)
	v_mul_f32_e64 v3, v3, -v5
	global_store_b32 v[6:7], v3, off
.LBB9_11:
	s_mov_b32 s5, 0
.LBB9_12:
	s_delay_alu instid0(SALU_CYCLE_1)
	s_and_not1_b32 vcc_lo, exec_lo, s5
	s_cbranch_vccnz .LBB9_17
; %bb.13:
	s_and_not1_b32 vcc_lo, exec_lo, s2
	s_mov_b32 s5, -1
	s_cbranch_vccnz .LBB9_15
; %bb.14:
	v_mad_u64_u32 v[3:4], null, v2, s11, 0
	s_ashr_i32 s5, s11, 31
	s_waitcnt vmcnt(0)
	s_delay_alu instid0(VALU_DEP_1) | instskip(SKIP_1) | instid1(VALU_DEP_1)
	v_mad_u64_u32 v[6:7], null, v2, s5, v[4:5]
	s_sub_i32 s5, s16, s17
	v_dual_mov_b32 v7, 0 :: v_dual_mov_b32 v4, v6
	v_add_nc_u32_e32 v6, s5, v0
	s_ashr_i32 s5, s12, 31
	s_delay_alu instid0(VALU_DEP_2) | instskip(NEXT) | instid1(VALU_DEP_2)
	v_lshlrev_b64 v[3:4], 2, v[3:4]
	v_lshlrev_b64 v[8:9], 2, v[6:7]
	s_delay_alu instid0(VALU_DEP_2) | instskip(NEXT) | instid1(VALU_DEP_3)
	v_add_co_u32 v3, vcc_lo, s3, v3
	v_add_co_ci_u32_e32 v4, vcc_lo, s4, v4, vcc_lo
	s_delay_alu instid0(VALU_DEP_2) | instskip(NEXT) | instid1(VALU_DEP_2)
	v_add_co_u32 v3, vcc_lo, v3, v8
	v_add_co_ci_u32_e32 v4, vcc_lo, v4, v9, vcc_lo
	v_mad_u64_u32 v[8:9], null, v0, s12, 0
	global_load_b32 v11, v[3:4], off
	v_mov_b32_e32 v3, v9
	s_delay_alu instid0(VALU_DEP_1) | instskip(SKIP_2) | instid1(VALU_DEP_1)
	v_mad_u64_u32 v[9:10], null, v0, s5, v[3:4]
	v_mov_b32_e32 v3, v7
	s_mov_b32 s5, 0
	v_lshlrev_b64 v[3:4], 2, v[2:3]
	s_delay_alu instid0(VALU_DEP_3) | instskip(NEXT) | instid1(VALU_DEP_1)
	v_lshlrev_b64 v[6:7], 2, v[8:9]
	v_add_co_u32 v6, vcc_lo, s6, v6
	s_delay_alu instid0(VALU_DEP_2) | instskip(NEXT) | instid1(VALU_DEP_2)
	v_add_co_ci_u32_e32 v7, vcc_lo, s7, v7, vcc_lo
	v_add_co_u32 v3, vcc_lo, v6, v3
	s_delay_alu instid0(VALU_DEP_2)
	v_add_co_ci_u32_e32 v4, vcc_lo, v7, v4, vcc_lo
	s_waitcnt vmcnt(0)
	v_mul_f32_e64 v8, v11, -v5
	global_store_b32 v[3:4], v8, off
.LBB9_15:
	s_and_not1_b32 vcc_lo, exec_lo, s5
	s_cbranch_vccnz .LBB9_17
; %bb.16:
	v_mad_u64_u32 v[6:7], null, v0, s12, 0
	v_mad_u64_u32 v[8:9], null, v2, s11, 0
	s_ashr_i32 s5, s12, 31
	s_delay_alu instid0(VALU_DEP_1) | instskip(NEXT) | instid1(VALU_DEP_1)
	v_dual_mov_b32 v3, v7 :: v_dual_mov_b32 v4, v9
	v_mad_u64_u32 v[9:10], null, v0, s5, v[3:4]
	s_ashr_i32 s5, s11, 31
	v_mov_b32_e32 v3, 0
	s_waitcnt vmcnt(0)
	v_mad_u64_u32 v[10:11], null, v2, s5, v[4:5]
	s_sub_i32 s5, s16, s17
	s_delay_alu instid0(VALU_DEP_2) | instskip(SKIP_2) | instid1(VALU_DEP_4)
	v_dual_mov_b32 v7, v9 :: v_dual_mov_b32 v12, v3
	v_add_nc_u32_e32 v11, s5, v0
	v_lshlrev_b64 v[3:4], 2, v[2:3]
	v_mov_b32_e32 v9, v10
	s_delay_alu instid0(VALU_DEP_4) | instskip(NEXT) | instid1(VALU_DEP_4)
	v_lshlrev_b64 v[6:7], 2, v[6:7]
	v_lshlrev_b64 v[10:11], 2, v[11:12]
	s_delay_alu instid0(VALU_DEP_3) | instskip(NEXT) | instid1(VALU_DEP_3)
	v_lshlrev_b64 v[8:9], 2, v[8:9]
	v_add_co_u32 v6, vcc_lo, s6, v6
	s_delay_alu instid0(VALU_DEP_4) | instskip(NEXT) | instid1(VALU_DEP_3)
	v_add_co_ci_u32_e32 v7, vcc_lo, s7, v7, vcc_lo
	v_add_co_u32 v8, vcc_lo, s3, v8
	s_delay_alu instid0(VALU_DEP_4) | instskip(NEXT) | instid1(VALU_DEP_4)
	v_add_co_ci_u32_e32 v9, vcc_lo, s4, v9, vcc_lo
	v_add_co_u32 v3, vcc_lo, v6, v3
	s_delay_alu instid0(VALU_DEP_4) | instskip(NEXT) | instid1(VALU_DEP_4)
	v_add_co_ci_u32_e32 v4, vcc_lo, v7, v4, vcc_lo
	v_add_co_u32 v6, vcc_lo, v8, v10
	s_delay_alu instid0(VALU_DEP_4) | instskip(SKIP_4) | instid1(VALU_DEP_1)
	v_add_co_ci_u32_e32 v7, vcc_lo, v9, v11, vcc_lo
	global_load_b32 v8, v[3:4], off
	global_load_b32 v6, v[6:7], off
	s_waitcnt vmcnt(0)
	v_add_f32_e32 v6, v8, v6
	v_mul_f32_e64 v5, v6, -v5
	global_store_b32 v[3:4], v5, off
.LBB9_17:
	s_or_b32 exec_lo, exec_lo, s0
	s_mov_b32 s0, 0
.LBB9_18:
	s_delay_alu instid0(SALU_CYCLE_1)
	s_and_not1_b32 vcc_lo, exec_lo, s0
	s_cbranch_vccnz .LBB9_34
; %bb.19:
	s_mov_b32 s0, exec_lo
	v_cmpx_ge_u32_e64 v2, v0
	s_xor_b32 s0, exec_lo, s0
	s_cbranch_execz .LBB9_21
; %bb.20:
	s_waitcnt vmcnt(0)
	v_mad_u64_u32 v[4:5], null, v0, s12, 0
	s_ashr_i32 s5, s12, 31
	v_mov_b32_e32 v3, 0
	s_delay_alu instid0(VALU_DEP_2) | instskip(NEXT) | instid1(VALU_DEP_1)
	v_mov_b32_e32 v1, v5
	v_mad_u64_u32 v[5:6], null, v0, s5, v[1:2]
	s_delay_alu instid0(VALU_DEP_1) | instskip(NEXT) | instid1(VALU_DEP_4)
	v_lshlrev_b64 v[0:1], 2, v[4:5]
	v_lshlrev_b64 v[4:5], 2, v[2:3]
	s_delay_alu instid0(VALU_DEP_2) | instskip(NEXT) | instid1(VALU_DEP_3)
	v_add_co_u32 v0, vcc_lo, s6, v0
	v_add_co_ci_u32_e32 v1, vcc_lo, s7, v1, vcc_lo
	s_delay_alu instid0(VALU_DEP_2) | instskip(NEXT) | instid1(VALU_DEP_2)
	v_add_co_u32 v0, vcc_lo, v0, v4
	v_add_co_ci_u32_e32 v1, vcc_lo, v1, v5, vcc_lo
	global_store_b32 v[0:1], v3, off
                                        ; implicit-def: $vgpr0_vgpr1
                                        ; implicit-def: $vgpr2_vgpr3
.LBB9_21:
	s_and_not1_saveexec_b32 s0, s0
	s_cbranch_execz .LBB9_33
; %bb.22:
	s_waitcnt vmcnt(0)
	v_lshlrev_b64 v[4:5], 2, v[0:1]
	v_mov_b32_e32 v3, 0
	s_cmpk_lg_i32 s1, 0xb5
	s_mov_b32 s1, -1
	s_delay_alu instid0(VALU_DEP_2) | instskip(NEXT) | instid1(VALU_DEP_3)
	v_add_co_u32 v6, vcc_lo, s13, v4
	v_add_co_ci_u32_e32 v7, vcc_lo, s14, v5, vcc_lo
	global_load_b32 v1, v[6:7], off
	v_cndmask_b32_e64 v6, 0, 1, s2
	s_delay_alu instid0(VALU_DEP_1)
	v_cmp_ne_u32_e32 vcc_lo, 1, v6
	s_cbranch_scc0 .LBB9_28
; %bb.23:
	s_and_b32 vcc_lo, exec_lo, vcc_lo
	s_cbranch_vccnz .LBB9_25
; %bb.24:
	v_mad_u64_u32 v[6:7], null, v0, s11, 0
	s_ashr_i32 s1, s11, 31
	s_delay_alu instid0(VALU_DEP_1) | instid1(SALU_CYCLE_1)
	v_mad_u64_u32 v[8:9], null, v0, s1, v[7:8]
	s_ashr_i32 s1, s12, 31
	s_delay_alu instid0(VALU_DEP_1) | instskip(SKIP_1) | instid1(VALU_DEP_2)
	v_mov_b32_e32 v7, v8
	v_lshlrev_b64 v[8:9], 2, v[2:3]
	v_lshlrev_b64 v[6:7], 2, v[6:7]
	s_delay_alu instid0(VALU_DEP_1) | instskip(NEXT) | instid1(VALU_DEP_2)
	v_add_co_u32 v6, vcc_lo, s3, v6
	v_add_co_ci_u32_e32 v7, vcc_lo, s4, v7, vcc_lo
	s_delay_alu instid0(VALU_DEP_2) | instskip(NEXT) | instid1(VALU_DEP_2)
	v_add_co_u32 v6, vcc_lo, v6, v8
	v_add_co_ci_u32_e32 v7, vcc_lo, v7, v9, vcc_lo
	global_load_b32 v12, v[6:7], off
	v_mad_u64_u32 v[6:7], null, v0, s12, 0
	s_delay_alu instid0(VALU_DEP_1) | instskip(SKIP_1) | instid1(VALU_DEP_1)
	v_mad_u64_u32 v[10:11], null, v0, s1, v[7:8]
	s_mov_b32 s1, 0
	v_mov_b32_e32 v7, v10
	s_delay_alu instid0(VALU_DEP_1) | instskip(NEXT) | instid1(VALU_DEP_1)
	v_lshlrev_b64 v[6:7], 2, v[6:7]
	v_add_co_u32 v6, vcc_lo, s6, v6
	s_delay_alu instid0(VALU_DEP_2) | instskip(NEXT) | instid1(VALU_DEP_2)
	v_add_co_ci_u32_e32 v7, vcc_lo, s7, v7, vcc_lo
	v_add_co_u32 v6, vcc_lo, v6, v8
	s_delay_alu instid0(VALU_DEP_2)
	v_add_co_ci_u32_e32 v7, vcc_lo, v7, v9, vcc_lo
	s_waitcnt vmcnt(0)
	v_mul_f32_e64 v10, v12, -v1
	global_store_b32 v[6:7], v10, off
.LBB9_25:
	s_and_not1_b32 vcc_lo, exec_lo, s1
	s_cbranch_vccnz .LBB9_27
; %bb.26:
	v_mad_u64_u32 v[6:7], null, v0, s12, 0
	v_mad_u64_u32 v[8:9], null, v0, s11, 0
	s_ashr_i32 s1, s12, 31
	s_delay_alu instid0(VALU_DEP_1) | instid1(SALU_CYCLE_1)
	v_mad_u64_u32 v[10:11], null, v0, s1, v[7:8]
	s_ashr_i32 s1, s11, 31
	s_delay_alu instid0(VALU_DEP_1) | instid1(SALU_CYCLE_1)
	v_mad_u64_u32 v[11:12], null, v0, s1, v[9:10]
	v_mov_b32_e32 v7, v10
	s_delay_alu instid0(VALU_DEP_1) | instskip(NEXT) | instid1(VALU_DEP_3)
	v_lshlrev_b64 v[6:7], 2, v[6:7]
	v_mov_b32_e32 v9, v11
	v_lshlrev_b64 v[10:11], 2, v[2:3]
	s_delay_alu instid0(VALU_DEP_3) | instskip(NEXT) | instid1(VALU_DEP_3)
	v_add_co_u32 v6, vcc_lo, s6, v6
	v_lshlrev_b64 v[8:9], 2, v[8:9]
	v_add_co_ci_u32_e32 v7, vcc_lo, s7, v7, vcc_lo
	s_delay_alu instid0(VALU_DEP_2) | instskip(NEXT) | instid1(VALU_DEP_3)
	v_add_co_u32 v8, vcc_lo, s3, v8
	v_add_co_ci_u32_e32 v9, vcc_lo, s4, v9, vcc_lo
	v_add_co_u32 v6, vcc_lo, v6, v10
	s_delay_alu instid0(VALU_DEP_4) | instskip(NEXT) | instid1(VALU_DEP_4)
	v_add_co_ci_u32_e32 v7, vcc_lo, v7, v11, vcc_lo
	v_add_co_u32 v8, vcc_lo, v8, v10
	s_delay_alu instid0(VALU_DEP_4) | instskip(SKIP_4) | instid1(VALU_DEP_1)
	v_add_co_ci_u32_e32 v9, vcc_lo, v9, v11, vcc_lo
	global_load_b32 v10, v[6:7], off
	global_load_b32 v8, v[8:9], off
	s_waitcnt vmcnt(0)
	v_add_f32_e32 v8, v10, v8
	v_mul_f32_e64 v8, v8, -v1
	global_store_b32 v[6:7], v8, off
.LBB9_27:
	s_mov_b32 s1, 0
.LBB9_28:
	s_delay_alu instid0(SALU_CYCLE_1)
	s_and_not1_b32 vcc_lo, exec_lo, s1
	s_cbranch_vccnz .LBB9_33
; %bb.29:
	v_lshlrev_b64 v[6:7], 2, v[2:3]
	s_and_not1_b32 vcc_lo, exec_lo, s2
	s_mov_b32 s1, -1
	s_cbranch_vccnz .LBB9_31
; %bb.30:
	v_mad_u64_u32 v[8:9], null, v2, s11, 0
	s_ashr_i32 s1, s11, 31
	s_delay_alu instid0(VALU_DEP_1) | instskip(NEXT) | instid1(VALU_DEP_1)
	v_mov_b32_e32 v3, v9
	v_mad_u64_u32 v[9:10], null, v2, s1, v[3:4]
	s_ashr_i32 s1, s12, 31
	s_delay_alu instid0(VALU_DEP_1) | instskip(NEXT) | instid1(VALU_DEP_1)
	v_lshlrev_b64 v[8:9], 2, v[8:9]
	v_add_co_u32 v3, vcc_lo, s3, v8
	s_delay_alu instid0(VALU_DEP_2) | instskip(NEXT) | instid1(VALU_DEP_2)
	v_add_co_ci_u32_e32 v9, vcc_lo, s4, v9, vcc_lo
	v_add_co_u32 v8, vcc_lo, v3, v4
	s_delay_alu instid0(VALU_DEP_2) | instskip(SKIP_2) | instid1(VALU_DEP_1)
	v_add_co_ci_u32_e32 v9, vcc_lo, v9, v5, vcc_lo
	global_load_b32 v11, v[8:9], off
	v_mad_u64_u32 v[8:9], null, v0, s12, 0
	v_mov_b32_e32 v3, v9
	s_delay_alu instid0(VALU_DEP_1) | instskip(SKIP_1) | instid1(VALU_DEP_1)
	v_mad_u64_u32 v[9:10], null, v0, s1, v[3:4]
	s_mov_b32 s1, 0
	v_lshlrev_b64 v[8:9], 2, v[8:9]
	s_delay_alu instid0(VALU_DEP_1) | instskip(NEXT) | instid1(VALU_DEP_2)
	v_add_co_u32 v3, vcc_lo, s6, v8
	v_add_co_ci_u32_e32 v9, vcc_lo, s7, v9, vcc_lo
	s_delay_alu instid0(VALU_DEP_2) | instskip(NEXT) | instid1(VALU_DEP_2)
	v_add_co_u32 v8, vcc_lo, v3, v6
	v_add_co_ci_u32_e32 v9, vcc_lo, v9, v7, vcc_lo
	s_waitcnt vmcnt(0)
	v_mul_f32_e64 v10, v11, -v1
	global_store_b32 v[8:9], v10, off
.LBB9_31:
	s_and_not1_b32 vcc_lo, exec_lo, s1
	s_cbranch_vccnz .LBB9_33
; %bb.32:
	v_mad_u64_u32 v[8:9], null, v0, s12, 0
	v_mad_u64_u32 v[10:11], null, v2, s11, 0
	s_ashr_i32 s1, s12, 31
	s_delay_alu instid0(VALU_DEP_2) | instskip(NEXT) | instid1(VALU_DEP_2)
	v_mov_b32_e32 v3, v9
	v_mov_b32_e32 v9, v11
	s_delay_alu instid0(VALU_DEP_2)
	v_mad_u64_u32 v[11:12], null, v0, s1, v[3:4]
	s_ashr_i32 s1, s11, 31
	s_delay_alu instid0(VALU_DEP_2) | instid1(SALU_CYCLE_1)
	v_mad_u64_u32 v[12:13], null, v2, s1, v[9:10]
	s_delay_alu instid0(VALU_DEP_2) | instskip(NEXT) | instid1(VALU_DEP_2)
	v_mov_b32_e32 v9, v11
	v_mov_b32_e32 v11, v12
	s_delay_alu instid0(VALU_DEP_2) | instskip(NEXT) | instid1(VALU_DEP_2)
	v_lshlrev_b64 v[2:3], 2, v[8:9]
	v_lshlrev_b64 v[8:9], 2, v[10:11]
	s_delay_alu instid0(VALU_DEP_2) | instskip(NEXT) | instid1(VALU_DEP_3)
	v_add_co_u32 v0, vcc_lo, s6, v2
	v_add_co_ci_u32_e32 v3, vcc_lo, s7, v3, vcc_lo
	s_delay_alu instid0(VALU_DEP_3) | instskip(NEXT) | instid1(VALU_DEP_4)
	v_add_co_u32 v8, vcc_lo, s3, v8
	v_add_co_ci_u32_e32 v9, vcc_lo, s4, v9, vcc_lo
	s_delay_alu instid0(VALU_DEP_4) | instskip(NEXT) | instid1(VALU_DEP_4)
	v_add_co_u32 v2, vcc_lo, v0, v6
	v_add_co_ci_u32_e32 v3, vcc_lo, v3, v7, vcc_lo
	s_delay_alu instid0(VALU_DEP_4) | instskip(NEXT) | instid1(VALU_DEP_4)
	v_add_co_u32 v4, vcc_lo, v8, v4
	v_add_co_ci_u32_e32 v5, vcc_lo, v9, v5, vcc_lo
	global_load_b32 v0, v[2:3], off
	global_load_b32 v4, v[4:5], off
	s_waitcnt vmcnt(0)
	v_add_f32_e32 v0, v0, v4
	s_delay_alu instid0(VALU_DEP_1)
	v_mul_f32_e64 v0, v0, -v1
	global_store_b32 v[2:3], v0, off
.LBB9_33:
	s_or_b32 exec_lo, exec_lo, s0
                                        ; implicit-def: $vgpr0_vgpr1
.LBB9_34:
	s_and_not1_saveexec_b32 s0, s18
	s_cbranch_execz .LBB9_36
; %bb.35:
	s_waitcnt vmcnt(0)
	v_mov_b32_e32 v1, 0
	s_ashr_i32 s0, s12, 31
	s_delay_alu instid0(VALU_DEP_1) | instskip(NEXT) | instid1(VALU_DEP_1)
	v_lshlrev_b64 v[1:2], 2, v[0:1]
	v_add_co_u32 v3, vcc_lo, s13, v1
	s_delay_alu instid0(VALU_DEP_2) | instskip(SKIP_2) | instid1(VALU_DEP_1)
	v_add_co_ci_u32_e32 v4, vcc_lo, s14, v2, vcc_lo
	global_load_b32 v7, v[3:4], off
	v_mad_u64_u32 v[3:4], null, v0, s12, 0
	v_mad_u64_u32 v[5:6], null, v0, s0, v[4:5]
	s_delay_alu instid0(VALU_DEP_1) | instskip(NEXT) | instid1(VALU_DEP_1)
	v_mov_b32_e32 v4, v5
	v_lshlrev_b64 v[3:4], 2, v[3:4]
	s_delay_alu instid0(VALU_DEP_1) | instskip(NEXT) | instid1(VALU_DEP_2)
	v_add_co_u32 v0, vcc_lo, s6, v3
	v_add_co_ci_u32_e32 v3, vcc_lo, s7, v4, vcc_lo
	s_delay_alu instid0(VALU_DEP_2) | instskip(NEXT) | instid1(VALU_DEP_2)
	v_add_co_u32 v0, vcc_lo, v0, v1
	v_add_co_ci_u32_e32 v1, vcc_lo, v3, v2, vcc_lo
	s_waitcnt vmcnt(0)
	global_store_b32 v[0:1], v7, off
.LBB9_36:
	s_nop 0
	s_sendmsg sendmsg(MSG_DEALLOC_VGPRS)
	s_endpgm
	.section	.rodata,"a",@progbits
	.p2align	6, 0x0
	.amdhsa_kernel _ZN9rocsolver6v33100L14set_triangularIfPfTnNSt9enable_ifIXnt18rocblas_is_complexIT_EEiE4typeELi0EEEviiT0_iilPS4_lS8_il15rocblas_direct_15rocblas_storev_b
		.amdhsa_group_segment_fixed_size 0
		.amdhsa_private_segment_fixed_size 0
		.amdhsa_kernarg_size 344
		.amdhsa_user_sgpr_count 13
		.amdhsa_user_sgpr_dispatch_ptr 0
		.amdhsa_user_sgpr_queue_ptr 0
		.amdhsa_user_sgpr_kernarg_segment_ptr 1
		.amdhsa_user_sgpr_dispatch_id 0
		.amdhsa_user_sgpr_private_segment_size 0
		.amdhsa_wavefront_size32 1
		.amdhsa_uses_dynamic_stack 0
		.amdhsa_enable_private_segment 0
		.amdhsa_system_sgpr_workgroup_id_x 1
		.amdhsa_system_sgpr_workgroup_id_y 1
		.amdhsa_system_sgpr_workgroup_id_z 1
		.amdhsa_system_sgpr_workgroup_info 0
		.amdhsa_system_vgpr_workitem_id 1
		.amdhsa_next_free_vgpr 14
		.amdhsa_next_free_sgpr 22
		.amdhsa_reserve_vcc 1
		.amdhsa_float_round_mode_32 0
		.amdhsa_float_round_mode_16_64 0
		.amdhsa_float_denorm_mode_32 3
		.amdhsa_float_denorm_mode_16_64 3
		.amdhsa_dx10_clamp 1
		.amdhsa_ieee_mode 1
		.amdhsa_fp16_overflow 0
		.amdhsa_workgroup_processor_mode 1
		.amdhsa_memory_ordered 1
		.amdhsa_forward_progress 0
		.amdhsa_shared_vgpr_count 0
		.amdhsa_exception_fp_ieee_invalid_op 0
		.amdhsa_exception_fp_denorm_src 0
		.amdhsa_exception_fp_ieee_div_zero 0
		.amdhsa_exception_fp_ieee_overflow 0
		.amdhsa_exception_fp_ieee_underflow 0
		.amdhsa_exception_fp_ieee_inexact 0
		.amdhsa_exception_int_div_zero 0
	.end_amdhsa_kernel
	.section	.text._ZN9rocsolver6v33100L14set_triangularIfPfTnNSt9enable_ifIXnt18rocblas_is_complexIT_EEiE4typeELi0EEEviiT0_iilPS4_lS8_il15rocblas_direct_15rocblas_storev_b,"axG",@progbits,_ZN9rocsolver6v33100L14set_triangularIfPfTnNSt9enable_ifIXnt18rocblas_is_complexIT_EEiE4typeELi0EEEviiT0_iilPS4_lS8_il15rocblas_direct_15rocblas_storev_b,comdat
.Lfunc_end9:
	.size	_ZN9rocsolver6v33100L14set_triangularIfPfTnNSt9enable_ifIXnt18rocblas_is_complexIT_EEiE4typeELi0EEEviiT0_iilPS4_lS8_il15rocblas_direct_15rocblas_storev_b, .Lfunc_end9-_ZN9rocsolver6v33100L14set_triangularIfPfTnNSt9enable_ifIXnt18rocblas_is_complexIT_EEiE4typeELi0EEEviiT0_iilPS4_lS8_il15rocblas_direct_15rocblas_storev_b
                                        ; -- End function
	.section	.AMDGPU.csdata,"",@progbits
; Kernel info:
; codeLenInByte = 2524
; NumSgprs: 24
; NumVgprs: 14
; ScratchSize: 0
; MemoryBound: 0
; FloatMode: 240
; IeeeMode: 1
; LDSByteSize: 0 bytes/workgroup (compile time only)
; SGPRBlocks: 2
; VGPRBlocks: 1
; NumSGPRsForWavesPerEU: 24
; NumVGPRsForWavesPerEU: 14
; Occupancy: 16
; WaveLimiterHint : 0
; COMPUTE_PGM_RSRC2:SCRATCH_EN: 0
; COMPUTE_PGM_RSRC2:USER_SGPR: 13
; COMPUTE_PGM_RSRC2:TRAP_HANDLER: 0
; COMPUTE_PGM_RSRC2:TGID_X_EN: 1
; COMPUTE_PGM_RSRC2:TGID_Y_EN: 1
; COMPUTE_PGM_RSRC2:TGID_Z_EN: 1
; COMPUTE_PGM_RSRC2:TIDIG_COMP_CNT: 1
	.section	.text._ZN9rocsolver6v33100L7set_tauIfEEviPT_l,"axG",@progbits,_ZN9rocsolver6v33100L7set_tauIfEEviPT_l,comdat
	.globl	_ZN9rocsolver6v33100L7set_tauIfEEviPT_l ; -- Begin function _ZN9rocsolver6v33100L7set_tauIfEEviPT_l
	.p2align	8
	.type	_ZN9rocsolver6v33100L7set_tauIfEEviPT_l,@function
_ZN9rocsolver6v33100L7set_tauIfEEviPT_l: ; @_ZN9rocsolver6v33100L7set_tauIfEEviPT_l
; %bb.0:
	s_clause 0x1
	s_load_b32 s2, s[0:1], 0x24
	s_load_b32 s3, s[0:1], 0x0
	s_waitcnt lgkmcnt(0)
	s_and_b32 s2, s2, 0xffff
	s_delay_alu instid0(SALU_CYCLE_1) | instskip(SKIP_1) | instid1(VALU_DEP_1)
	v_mad_u64_u32 v[1:2], null, s14, s2, v[0:1]
	s_mov_b32 s2, exec_lo
	v_cmpx_gt_u32_e64 s3, v1
	s_cbranch_execz .LBB10_2
; %bb.1:
	s_load_b128 s[0:3], s[0:1], 0x8
	v_mov_b32_e32 v2, 0
	s_delay_alu instid0(VALU_DEP_1)
	v_lshlrev_b64 v[0:1], 2, v[1:2]
	s_waitcnt lgkmcnt(0)
	s_mul_i32 s3, s15, s3
	s_mul_hi_u32 s4, s15, s2
	s_mul_i32 s2, s15, s2
	s_add_i32 s3, s4, s3
	s_delay_alu instid0(SALU_CYCLE_1) | instskip(NEXT) | instid1(SALU_CYCLE_1)
	s_lshl_b64 s[2:3], s[2:3], 2
	s_add_u32 s0, s0, s2
	s_addc_u32 s1, s1, s3
	v_add_co_u32 v0, vcc_lo, s0, v0
	v_add_co_ci_u32_e32 v1, vcc_lo, s1, v1, vcc_lo
	global_load_b32 v2, v[0:1], off
	s_waitcnt vmcnt(0)
	v_xor_b32_e32 v2, 0x80000000, v2
	global_store_b32 v[0:1], v2, off
.LBB10_2:
	s_nop 0
	s_sendmsg sendmsg(MSG_DEALLOC_VGPRS)
	s_endpgm
	.section	.rodata,"a",@progbits
	.p2align	6, 0x0
	.amdhsa_kernel _ZN9rocsolver6v33100L7set_tauIfEEviPT_l
		.amdhsa_group_segment_fixed_size 0
		.amdhsa_private_segment_fixed_size 0
		.amdhsa_kernarg_size 280
		.amdhsa_user_sgpr_count 14
		.amdhsa_user_sgpr_dispatch_ptr 0
		.amdhsa_user_sgpr_queue_ptr 0
		.amdhsa_user_sgpr_kernarg_segment_ptr 1
		.amdhsa_user_sgpr_dispatch_id 0
		.amdhsa_user_sgpr_private_segment_size 0
		.amdhsa_wavefront_size32 1
		.amdhsa_uses_dynamic_stack 0
		.amdhsa_enable_private_segment 0
		.amdhsa_system_sgpr_workgroup_id_x 1
		.amdhsa_system_sgpr_workgroup_id_y 1
		.amdhsa_system_sgpr_workgroup_id_z 0
		.amdhsa_system_sgpr_workgroup_info 0
		.amdhsa_system_vgpr_workitem_id 0
		.amdhsa_next_free_vgpr 3
		.amdhsa_next_free_sgpr 16
		.amdhsa_reserve_vcc 1
		.amdhsa_float_round_mode_32 0
		.amdhsa_float_round_mode_16_64 0
		.amdhsa_float_denorm_mode_32 3
		.amdhsa_float_denorm_mode_16_64 3
		.amdhsa_dx10_clamp 1
		.amdhsa_ieee_mode 1
		.amdhsa_fp16_overflow 0
		.amdhsa_workgroup_processor_mode 1
		.amdhsa_memory_ordered 1
		.amdhsa_forward_progress 0
		.amdhsa_shared_vgpr_count 0
		.amdhsa_exception_fp_ieee_invalid_op 0
		.amdhsa_exception_fp_denorm_src 0
		.amdhsa_exception_fp_ieee_div_zero 0
		.amdhsa_exception_fp_ieee_overflow 0
		.amdhsa_exception_fp_ieee_underflow 0
		.amdhsa_exception_fp_ieee_inexact 0
		.amdhsa_exception_int_div_zero 0
	.end_amdhsa_kernel
	.section	.text._ZN9rocsolver6v33100L7set_tauIfEEviPT_l,"axG",@progbits,_ZN9rocsolver6v33100L7set_tauIfEEviPT_l,comdat
.Lfunc_end10:
	.size	_ZN9rocsolver6v33100L7set_tauIfEEviPT_l, .Lfunc_end10-_ZN9rocsolver6v33100L7set_tauIfEEviPT_l
                                        ; -- End function
	.section	.AMDGPU.csdata,"",@progbits
; Kernel info:
; codeLenInByte = 172
; NumSgprs: 18
; NumVgprs: 3
; ScratchSize: 0
; MemoryBound: 0
; FloatMode: 240
; IeeeMode: 1
; LDSByteSize: 0 bytes/workgroup (compile time only)
; SGPRBlocks: 2
; VGPRBlocks: 0
; NumSGPRsForWavesPerEU: 18
; NumVGPRsForWavesPerEU: 3
; Occupancy: 16
; WaveLimiterHint : 0
; COMPUTE_PGM_RSRC2:SCRATCH_EN: 0
; COMPUTE_PGM_RSRC2:USER_SGPR: 14
; COMPUTE_PGM_RSRC2:TRAP_HANDLER: 0
; COMPUTE_PGM_RSRC2:TGID_X_EN: 1
; COMPUTE_PGM_RSRC2:TGID_Y_EN: 1
; COMPUTE_PGM_RSRC2:TGID_Z_EN: 0
; COMPUTE_PGM_RSRC2:TIDIG_COMP_CNT: 0
	.section	.text._ZN9rocsolver6v33100L20larft_kernel_forwardIfPfEEv15rocblas_storev_iiT0_iilPT_lS6_il,"axG",@progbits,_ZN9rocsolver6v33100L20larft_kernel_forwardIfPfEEv15rocblas_storev_iiT0_iilPT_lS6_il,comdat
	.globl	_ZN9rocsolver6v33100L20larft_kernel_forwardIfPfEEv15rocblas_storev_iiT0_iilPT_lS6_il ; -- Begin function _ZN9rocsolver6v33100L20larft_kernel_forwardIfPfEEv15rocblas_storev_iiT0_iilPT_lS6_il
	.p2align	8
	.type	_ZN9rocsolver6v33100L20larft_kernel_forwardIfPfEEv15rocblas_storev_iiT0_iilPT_lS6_il,@function
_ZN9rocsolver6v33100L20larft_kernel_forwardIfPfEEv15rocblas_storev_iiT0_iilPT_lS6_il: ; @_ZN9rocsolver6v33100L20larft_kernel_forwardIfPfEEv15rocblas_storev_iiT0_iilPT_lS6_il
; %bb.0:
	s_clause 0x4
	s_load_b64 s[20:21], s[0:1], 0x48
	s_load_b128 s[16:19], s[0:1], 0x0
	s_load_b32 s13, s[0:1], 0x5c
	s_load_b256 s[4:11], s[0:1], 0x20
	s_load_b32 s3, s[0:1], 0x40
	s_ashr_i32 s12, s15, 31
	v_lshlrev_b32_e32 v6, 2, v0
	s_waitcnt lgkmcnt(0)
	s_mul_i32 s2, s15, s21
	s_mul_hi_u32 s14, s15, s20
	s_mul_i32 s19, s12, s20
	s_add_i32 s2, s14, s2
	s_mul_i32 s20, s15, s20
	s_add_i32 s21, s2, s19
	v_cmp_gt_i32_e64 s2, s18, v0
	s_lshl_b64 s[20:21], s[20:21], 2
	s_and_b32 s14, s13, 0xffff
	s_add_u32 s19, s10, s20
	s_addc_u32 s24, s11, s21
	s_and_saveexec_b32 s10, s2
	s_cbranch_execz .LBB11_5
; %bb.1:
	v_add_nc_u32_e32 v1, 4, v6
	s_lshl_b32 s13, s18, 2
	v_mov_b32_e32 v5, v0
	s_add_i32 s20, s13, 4
	s_add_i32 s21, s3, 1
	v_mul_lo_u32 v3, s18, v1
	v_mad_u64_u32 v[1:2], null, v0, s3, v[0:1]
	s_mov_b32 s11, 0
	s_mul_i32 s20, s20, s14
	s_mul_i32 s21, s21, s14
	s_delay_alu instid0(VALU_DEP_2)
	v_add3_u32 v4, v3, v6, 0
	.p2align	6
.LBB11_2:                               ; =>This Loop Header: Depth=1
                                        ;     Child Loop BB11_3 Depth 2
	s_delay_alu instid0(VALU_DEP_1)
	v_dual_mov_b32 v2, v1 :: v_dual_mov_b32 v7, v4
	v_mov_b32_e32 v8, v5
	s_mov_b32 s22, 0
	.p2align	6
.LBB11_3:                               ;   Parent Loop BB11_2 Depth=1
                                        ; =>  This Inner Loop Header: Depth=2
	s_delay_alu instid0(VALU_DEP_2) | instskip(NEXT) | instid1(VALU_DEP_2)
	v_ashrrev_i32_e32 v3, 31, v2
	v_add_nc_u32_e32 v8, 1, v8
	s_delay_alu instid0(VALU_DEP_2) | instskip(SKIP_1) | instid1(VALU_DEP_2)
	v_lshlrev_b64 v[9:10], 2, v[2:3]
	v_add_nc_u32_e32 v2, s3, v2
	v_add_co_u32 v9, vcc_lo, s19, v9
	s_delay_alu instid0(VALU_DEP_3)
	v_add_co_ci_u32_e32 v10, vcc_lo, s24, v10, vcc_lo
	v_cmp_le_i32_e32 vcc_lo, s18, v8
	global_load_b32 v3, v[9:10], off
	s_or_b32 s22, vcc_lo, s22
	s_waitcnt vmcnt(0)
	ds_store_b32 v7, v3
	v_add_nc_u32_e32 v7, s13, v7
	s_and_not1_b32 exec_lo, exec_lo, s22
	s_cbranch_execnz .LBB11_3
; %bb.4:                                ;   in Loop: Header=BB11_2 Depth=1
	s_or_b32 exec_lo, exec_lo, s22
	v_add_nc_u32_e32 v5, s14, v5
	v_add_nc_u32_e32 v4, s20, v4
	;; [unrolled: 1-line block ×3, first 2 shown]
	s_delay_alu instid0(VALU_DEP_3) | instskip(SKIP_1) | instid1(SALU_CYCLE_1)
	v_cmp_le_i32_e32 vcc_lo, s18, v5
	s_or_b32 s11, vcc_lo, s11
	s_and_not1_b32 exec_lo, exec_lo, s11
	s_cbranch_execnz .LBB11_2
.LBB11_5:
	s_or_b32 exec_lo, exec_lo, s10
	s_cmp_lt_i32 s18, 2
	s_waitcnt lgkmcnt(0)
	s_barrier
	buffer_gl0_inv
	s_cbranch_scc1 .LBB11_30
; %bb.6:
	s_load_b128 s[20:23], s[0:1], 0x10
	s_mul_i32 s1, s15, s9
	s_mul_hi_u32 s10, s15, s8
	s_mul_i32 s11, s12, s8
	s_add_i32 s1, s10, s1
	s_mul_i32 s0, s15, s8
	s_add_i32 s1, s1, s11
	s_mul_i32 s11, s5, s15
	s_lshl_b64 s[0:1], s[0:1], 2
	s_mul_hi_u32 s10, s4, s15
	s_mul_i32 s12, s4, s12
	v_add_nc_u32_e32 v3, 4, v6
	v_add_nc_u32_e32 v9, 0, v6
	s_mov_b32 s9, 0
	s_mov_b32 s8, 1
	s_delay_alu instid0(VALU_DEP_2)
	v_mul_lo_u32 v3, s18, v3
	s_waitcnt lgkmcnt(0)
	s_ashr_i32 s5, s22, 31
	s_add_u32 s25, s6, s0
	s_addc_u32 s26, s7, s1
	s_lshl_b32 s27, s18, 2
	s_mul_i32 s0, s4, s15
	s_add_i32 s15, s27, 0
	s_cmpk_lg_i32 s16, 0xb5
	s_mov_b32 s4, s22
	s_cselect_b32 s16, -1, 0
	s_add_i32 s1, s10, s12
	s_mov_b32 s6, s23
	s_add_i32 s1, s1, s11
	v_mul_lo_u32 v7, v0, s23
	s_lshl_b64 s[0:1], s[0:1], 2
	v_add3_u32 v8, v3, v6, 0
	s_add_u32 s22, s0, 4
	s_addc_u32 s28, s1, 0
	s_lshl_b64 s[10:11], s[4:5], 2
	v_add_co_u32 v1, s4, s0, v6
	s_add_u32 s29, s20, s10
	s_addc_u32 s30, s21, s11
	s_ashr_i32 s7, s23, 31
	v_add_co_ci_u32_e64 v2, null, s1, 0, s4
	s_lshl_b32 s4, s23, 1
	s_lshl_b32 s31, s14, 2
	s_lshl_b64 s[6:7], s[6:7], 2
	s_add_u32 s0, s0, s10
	s_addc_u32 s1, s1, s11
	s_add_u32 s0, s0, s20
	s_addc_u32 s1, s1, s21
	;; [unrolled: 2-line block ×3, first 2 shown]
	s_add_i32 s34, s27, 4
	s_mul_i32 s33, s23, s14
	s_mul_i32 s34, s34, s14
	s_mov_b32 s10, s23
	s_branch .LBB11_8
.LBB11_7:                               ;   in Loop: Header=BB11_8 Depth=1
	s_or_b32 exec_lo, exec_lo, s0
	s_add_i32 s8, s8, 1
	s_add_u32 s22, s22, 4
	s_addc_u32 s28, s28, 0
	s_add_i32 s4, s4, s23
	s_add_u32 s20, s20, 4
	s_addc_u32 s21, s21, 0
	s_add_i32 s10, s10, s23
	s_cmp_eq_u32 s8, s18
	s_waitcnt lgkmcnt(0)
	s_barrier
	buffer_gl0_inv
	s_cbranch_scc1 .LBB11_30
.LBB11_8:                               ; =>This Loop Header: Depth=1
                                        ;     Child Loop BB11_12 Depth 2
                                        ;       Child Loop BB11_14 Depth 3
                                        ;     Child Loop BB11_21 Depth 2
                                        ;       Child Loop BB11_23 Depth 3
	;; [unrolled: 2-line block ×3, first 2 shown]
	s_mul_i32 s0, s8, s18
	s_not_b32 s36, s8
	s_lshl_b32 s0, s0, 2
	s_add_i32 s36, s36, s17
	s_add_i32 s35, s15, s0
	v_cmp_gt_u32_e64 s0, s8, v0
	s_and_b32 vcc_lo, exec_lo, s16
	s_mov_b32 s1, -1
	s_cbranch_vccz .LBB11_16
; %bb.9:                                ;   in Loop: Header=BB11_8 Depth=1
	s_delay_alu instid0(VALU_DEP_1)
	s_and_saveexec_b32 s11, s0
	s_cbranch_execz .LBB11_15
; %bb.10:                               ;   in Loop: Header=BB11_8 Depth=1
	s_ashr_i32 s5, s4, 31
	v_dual_mov_b32 v4, v2 :: v_dual_mov_b32 v3, v1
	s_lshl_b64 s[0:1], s[4:5], 2
	v_mov_b32_e32 v5, v0
	s_add_u32 s12, s29, s0
	s_addc_u32 s13, s30, s1
	s_cmp_gt_i32 s36, 0
	s_mov_b32 s38, 0
	s_cselect_b32 s5, -1, 0
	s_lshl_b64 s[0:1], s[8:9], 2
	s_delay_alu instid0(SALU_CYCLE_1)
	s_add_u32 s0, s25, s0
	s_addc_u32 s1, s26, s1
	s_load_b32 s37, s[0:1], 0x0
	s_set_inst_prefetch_distance 0x1
	s_branch .LBB11_12
	.p2align	6
.LBB11_11:                              ;   in Loop: Header=BB11_12 Depth=2
	v_lshlrev_b32_e32 v11, 2, v5
	v_add_nc_u32_e32 v5, s14, v5
	v_add_co_u32 v3, s0, v3, s31
	s_delay_alu instid0(VALU_DEP_1) | instskip(NEXT) | instid1(VALU_DEP_4)
	v_add_co_ci_u32_e64 v4, s0, 0, v4, s0
	v_add_nc_u32_e32 v12, s35, v11
	s_delay_alu instid0(VALU_DEP_4)
	v_cmp_le_u32_e32 vcc_lo, s8, v5
	ds_load_b32 v12, v12
	s_or_b32 s38, vcc_lo, s38
	s_waitcnt lgkmcnt(0)
	v_dual_fmac_f32 v12, s37, v10 :: v_dual_add_nc_u32 v11, 0, v11
	ds_store_b32 v11, v12
	s_and_not1_b32 exec_lo, exec_lo, s38
	s_cbranch_execz .LBB11_15
.LBB11_12:                              ;   Parent Loop BB11_8 Depth=1
                                        ; =>  This Loop Header: Depth=2
                                        ;       Child Loop BB11_14 Depth 3
	v_mov_b32_e32 v10, 0
	s_and_not1_b32 vcc_lo, exec_lo, s5
	s_cbranch_vccnz .LBB11_11
; %bb.13:                               ;   in Loop: Header=BB11_12 Depth=2
	s_mov_b32 s39, 0
	s_mov_b64 s[0:1], s[12:13]
.LBB11_14:                              ;   Parent Loop BB11_8 Depth=1
                                        ;     Parent Loop BB11_12 Depth=2
                                        ; =>    This Inner Loop Header: Depth=3
	s_delay_alu instid0(SALU_CYCLE_1)
	v_add_co_u32 v11, vcc_lo, s0, v3
	v_add_co_ci_u32_e32 v12, vcc_lo, s1, v4, vcc_lo
	s_add_u32 s40, s0, s22
	s_addc_u32 s41, s1, s28
	s_add_i32 s39, s39, 1
	global_load_b32 v11, v[11:12], off
	s_load_b32 s40, s[40:41], 0x0
	s_add_u32 s0, s0, s6
	s_addc_u32 s1, s1, s7
	s_cmp_ge_i32 s39, s36
	s_waitcnt vmcnt(0) lgkmcnt(0)
	v_fmac_f32_e32 v10, s40, v11
	s_cbranch_scc0 .LBB11_14
	s_branch .LBB11_11
.LBB11_15:                              ;   in Loop: Header=BB11_8 Depth=1
	s_set_inst_prefetch_distance 0x2
	s_or_b32 exec_lo, exec_lo, s11
	s_mov_b32 s1, 0
.LBB11_16:                              ;   in Loop: Header=BB11_8 Depth=1
	s_delay_alu instid0(SALU_CYCLE_1)
	s_and_not1_b32 vcc_lo, exec_lo, s1
	s_cbranch_vccnz .LBB11_25
; %bb.17:                               ;   in Loop: Header=BB11_8 Depth=1
	s_mov_b32 s5, exec_lo
	v_cmpx_gt_u32_e64 s8, v0
	s_cbranch_execz .LBB11_24
; %bb.18:                               ;   in Loop: Header=BB11_8 Depth=1
	s_ashr_i32 s11, s10, 31
	v_dual_mov_b32 v3, v7 :: v_dual_mov_b32 v10, v0
	s_lshl_b64 s[0:1], s[10:11], 2
	s_mov_b32 s38, 0
	s_add_u32 s0, s20, s0
	s_addc_u32 s1, s21, s1
	s_cmp_gt_i32 s36, 0
	s_cselect_b32 s11, -1, 0
	s_lshl_b64 s[12:13], s[8:9], 2
	s_delay_alu instid0(SALU_CYCLE_1)
	s_add_u32 s12, s25, s12
	s_addc_u32 s13, s26, s13
	s_load_b32 s37, s[12:13], 0x0
	s_set_inst_prefetch_distance 0x1
	s_branch .LBB11_21
	.p2align	6
.LBB11_19:                              ;   in Loop: Header=BB11_21 Depth=2
	v_mov_b32_e32 v11, 0
.LBB11_20:                              ;   in Loop: Header=BB11_21 Depth=2
	v_lshlrev_b32_e32 v4, 2, v10
	v_add_nc_u32_e32 v10, s14, v10
	v_add_nc_u32_e32 v3, s33, v3
	s_delay_alu instid0(VALU_DEP_3) | instskip(NEXT) | instid1(VALU_DEP_3)
	v_add_nc_u32_e32 v5, s35, v4
	v_cmp_le_u32_e32 vcc_lo, s8, v10
	ds_load_b32 v5, v5
	s_or_b32 s38, vcc_lo, s38
	s_waitcnt lgkmcnt(0)
	v_dual_fmac_f32 v5, s37, v11 :: v_dual_add_nc_u32 v4, 0, v4
	ds_store_b32 v4, v5
	s_and_not1_b32 exec_lo, exec_lo, s38
	s_cbranch_execz .LBB11_24
.LBB11_21:                              ;   Parent Loop BB11_8 Depth=1
                                        ; =>  This Loop Header: Depth=2
                                        ;       Child Loop BB11_23 Depth 3
	s_and_not1_b32 vcc_lo, exec_lo, s11
	s_cbranch_vccnz .LBB11_19
; %bb.22:                               ;   in Loop: Header=BB11_21 Depth=2
	v_ashrrev_i32_e32 v4, 31, v3
	v_mov_b32_e32 v11, 0
	s_mov_b32 s39, 0
	s_mov_b64 s[12:13], s[0:1]
	s_delay_alu instid0(VALU_DEP_2) | instskip(NEXT) | instid1(VALU_DEP_1)
	v_lshlrev_b64 v[4:5], 2, v[3:4]
	v_add_co_u32 v4, vcc_lo, s20, v4
	s_delay_alu instid0(VALU_DEP_2)
	v_add_co_ci_u32_e32 v5, vcc_lo, s21, v5, vcc_lo
.LBB11_23:                              ;   Parent Loop BB11_8 Depth=1
                                        ;     Parent Loop BB11_21 Depth=2
                                        ; =>    This Inner Loop Header: Depth=3
	global_load_b32 v12, v[4:5], off
	s_load_b32 s40, s[12:13], 0x0
	v_add_co_u32 v4, vcc_lo, v4, 4
	s_add_i32 s39, s39, 1
	v_add_co_ci_u32_e32 v5, vcc_lo, 0, v5, vcc_lo
	s_add_u32 s12, s12, 4
	s_addc_u32 s13, s13, 0
	s_cmp_ge_i32 s39, s36
	s_waitcnt vmcnt(0) lgkmcnt(0)
	v_fmac_f32_e32 v11, s40, v12
	s_cbranch_scc0 .LBB11_23
	s_branch .LBB11_20
.LBB11_24:                              ;   in Loop: Header=BB11_8 Depth=1
	s_set_inst_prefetch_distance 0x2
	s_or_b32 exec_lo, exec_lo, s5
.LBB11_25:                              ;   in Loop: Header=BB11_8 Depth=1
	s_delay_alu instid0(SALU_CYCLE_1)
	s_mov_b32 s0, exec_lo
	s_waitcnt lgkmcnt(0)
	s_barrier
	buffer_gl0_inv
	v_cmpx_gt_u32_e64 s8, v0
	s_cbranch_execz .LBB11_7
; %bb.26:                               ;   in Loop: Header=BB11_8 Depth=1
	v_dual_mov_b32 v3, v9 :: v_dual_mov_b32 v4, v8
	v_mov_b32_e32 v5, v0
	s_mov_b32 s1, 0
	.p2align	6
.LBB11_27:                              ;   Parent Loop BB11_8 Depth=1
                                        ; =>  This Loop Header: Depth=2
                                        ;       Child Loop BB11_28 Depth 3
	s_delay_alu instid0(VALU_DEP_2) | instskip(NEXT) | instid1(VALU_DEP_2)
	v_dual_mov_b32 v10, 0 :: v_dual_mov_b32 v11, v3
	v_dual_mov_b32 v12, v4 :: v_dual_mov_b32 v13, v5
	s_mov_b32 s5, 0
.LBB11_28:                              ;   Parent Loop BB11_8 Depth=1
                                        ;     Parent Loop BB11_27 Depth=2
                                        ; =>    This Inner Loop Header: Depth=3
	ds_load_b32 v14, v12
	ds_load_b32 v15, v11
	v_add_nc_u32_e32 v13, 1, v13
	v_add_nc_u32_e32 v12, s27, v12
	;; [unrolled: 1-line block ×3, first 2 shown]
	s_waitcnt lgkmcnt(0)
	v_fmac_f32_e32 v10, v14, v15
	v_cmp_le_u32_e32 vcc_lo, s8, v13
	s_or_b32 s5, vcc_lo, s5
	s_delay_alu instid0(SALU_CYCLE_1)
	s_and_not1_b32 exec_lo, exec_lo, s5
	s_cbranch_execnz .LBB11_28
; %bb.29:                               ;   in Loop: Header=BB11_27 Depth=2
	s_or_b32 exec_lo, exec_lo, s5
	v_lshl_add_u32 v11, v5, 2, s35
	v_add_nc_u32_e32 v5, s14, v5
	v_add_nc_u32_e32 v4, s34, v4
	;; [unrolled: 1-line block ×3, first 2 shown]
	ds_store_b32 v11, v10
	v_cmp_le_u32_e32 vcc_lo, s8, v5
	s_or_b32 s1, vcc_lo, s1
	s_delay_alu instid0(SALU_CYCLE_1)
	s_and_not1_b32 exec_lo, exec_lo, s1
	s_cbranch_execnz .LBB11_27
	s_branch .LBB11_7
.LBB11_30:
	s_and_saveexec_b32 s0, s2
	s_cbranch_execz .LBB11_35
; %bb.31:
	v_add_nc_u32_e32 v1, 4, v6
	s_lshl_b32 s2, s18, 2
	s_add_i32 s1, s3, 1
	s_add_i32 s5, s2, 4
	s_mul_i32 s1, s1, s14
	v_mul_lo_u32 v3, s18, v1
	v_mad_u64_u32 v[1:2], null, v0, s3, v[0:1]
	s_mov_b32 s4, 0
	s_mul_i32 s5, s5, s14
	s_delay_alu instid0(VALU_DEP_2)
	v_add3_u32 v4, v3, v6, 0
	.p2align	6
.LBB11_32:                              ; =>This Loop Header: Depth=1
                                        ;     Child Loop BB11_33 Depth 2
	s_delay_alu instid0(VALU_DEP_1)
	v_dual_mov_b32 v5, v4 :: v_dual_mov_b32 v2, v1
	v_mov_b32_e32 v6, v0
	s_mov_b32 s6, 0
	.p2align	6
.LBB11_33:                              ;   Parent Loop BB11_32 Depth=1
                                        ; =>  This Inner Loop Header: Depth=2
	ds_load_b32 v9, v5
	v_ashrrev_i32_e32 v3, 31, v2
	v_add_nc_u32_e32 v6, 1, v6
	v_add_nc_u32_e32 v5, s2, v5
	s_delay_alu instid0(VALU_DEP_3) | instskip(NEXT) | instid1(VALU_DEP_3)
	v_lshlrev_b64 v[7:8], 2, v[2:3]
	v_cmp_le_i32_e32 vcc_lo, s18, v6
	v_add_nc_u32_e32 v2, s3, v2
	s_or_b32 s6, vcc_lo, s6
	s_delay_alu instid0(VALU_DEP_3) | instskip(NEXT) | instid1(VALU_DEP_1)
	v_add_co_u32 v7, s0, s19, v7
	v_add_co_ci_u32_e64 v8, s0, s24, v8, s0
	s_waitcnt lgkmcnt(0)
	global_store_b32 v[7:8], v9, off
	s_and_not1_b32 exec_lo, exec_lo, s6
	s_cbranch_execnz .LBB11_33
; %bb.34:                               ;   in Loop: Header=BB11_32 Depth=1
	s_or_b32 exec_lo, exec_lo, s6
	v_add_nc_u32_e32 v0, s14, v0
	v_add_nc_u32_e32 v1, s1, v1
	;; [unrolled: 1-line block ×3, first 2 shown]
	s_delay_alu instid0(VALU_DEP_3) | instskip(SKIP_1) | instid1(SALU_CYCLE_1)
	v_cmp_le_i32_e32 vcc_lo, s18, v0
	s_or_b32 s4, vcc_lo, s4
	s_and_not1_b32 exec_lo, exec_lo, s4
	s_cbranch_execnz .LBB11_32
.LBB11_35:
	s_nop 0
	s_sendmsg sendmsg(MSG_DEALLOC_VGPRS)
	s_endpgm
	.section	.rodata,"a",@progbits
	.p2align	6, 0x0
	.amdhsa_kernel _ZN9rocsolver6v33100L20larft_kernel_forwardIfPfEEv15rocblas_storev_iiT0_iilPT_lS6_il
		.amdhsa_group_segment_fixed_size 0
		.amdhsa_private_segment_fixed_size 0
		.amdhsa_kernarg_size 336
		.amdhsa_user_sgpr_count 14
		.amdhsa_user_sgpr_dispatch_ptr 0
		.amdhsa_user_sgpr_queue_ptr 0
		.amdhsa_user_sgpr_kernarg_segment_ptr 1
		.amdhsa_user_sgpr_dispatch_id 0
		.amdhsa_user_sgpr_private_segment_size 0
		.amdhsa_wavefront_size32 1
		.amdhsa_uses_dynamic_stack 0
		.amdhsa_enable_private_segment 0
		.amdhsa_system_sgpr_workgroup_id_x 1
		.amdhsa_system_sgpr_workgroup_id_y 1
		.amdhsa_system_sgpr_workgroup_id_z 0
		.amdhsa_system_sgpr_workgroup_info 0
		.amdhsa_system_vgpr_workitem_id 0
		.amdhsa_next_free_vgpr 16
		.amdhsa_next_free_sgpr 42
		.amdhsa_reserve_vcc 1
		.amdhsa_float_round_mode_32 0
		.amdhsa_float_round_mode_16_64 0
		.amdhsa_float_denorm_mode_32 3
		.amdhsa_float_denorm_mode_16_64 3
		.amdhsa_dx10_clamp 1
		.amdhsa_ieee_mode 1
		.amdhsa_fp16_overflow 0
		.amdhsa_workgroup_processor_mode 1
		.amdhsa_memory_ordered 1
		.amdhsa_forward_progress 0
		.amdhsa_shared_vgpr_count 0
		.amdhsa_exception_fp_ieee_invalid_op 0
		.amdhsa_exception_fp_denorm_src 0
		.amdhsa_exception_fp_ieee_div_zero 0
		.amdhsa_exception_fp_ieee_overflow 0
		.amdhsa_exception_fp_ieee_underflow 0
		.amdhsa_exception_fp_ieee_inexact 0
		.amdhsa_exception_int_div_zero 0
	.end_amdhsa_kernel
	.section	.text._ZN9rocsolver6v33100L20larft_kernel_forwardIfPfEEv15rocblas_storev_iiT0_iilPT_lS6_il,"axG",@progbits,_ZN9rocsolver6v33100L20larft_kernel_forwardIfPfEEv15rocblas_storev_iiT0_iilPT_lS6_il,comdat
.Lfunc_end11:
	.size	_ZN9rocsolver6v33100L20larft_kernel_forwardIfPfEEv15rocblas_storev_iiT0_iilPT_lS6_il, .Lfunc_end11-_ZN9rocsolver6v33100L20larft_kernel_forwardIfPfEEv15rocblas_storev_iiT0_iilPT_lS6_il
                                        ; -- End function
	.section	.AMDGPU.csdata,"",@progbits
; Kernel info:
; codeLenInByte = 1640
; NumSgprs: 44
; NumVgprs: 16
; ScratchSize: 0
; MemoryBound: 0
; FloatMode: 240
; IeeeMode: 1
; LDSByteSize: 0 bytes/workgroup (compile time only)
; SGPRBlocks: 5
; VGPRBlocks: 1
; NumSGPRsForWavesPerEU: 44
; NumVGPRsForWavesPerEU: 16
; Occupancy: 16
; WaveLimiterHint : 0
; COMPUTE_PGM_RSRC2:SCRATCH_EN: 0
; COMPUTE_PGM_RSRC2:USER_SGPR: 14
; COMPUTE_PGM_RSRC2:TRAP_HANDLER: 0
; COMPUTE_PGM_RSRC2:TGID_X_EN: 1
; COMPUTE_PGM_RSRC2:TGID_Y_EN: 1
; COMPUTE_PGM_RSRC2:TGID_Z_EN: 0
; COMPUTE_PGM_RSRC2:TIDIG_COMP_CNT: 0
	.section	.text._ZN9rocsolver6v33100L21larft_kernel_backwardIfPfEEv15rocblas_storev_iiT0_iilPT_lS6_il,"axG",@progbits,_ZN9rocsolver6v33100L21larft_kernel_backwardIfPfEEv15rocblas_storev_iiT0_iilPT_lS6_il,comdat
	.globl	_ZN9rocsolver6v33100L21larft_kernel_backwardIfPfEEv15rocblas_storev_iiT0_iilPT_lS6_il ; -- Begin function _ZN9rocsolver6v33100L21larft_kernel_backwardIfPfEEv15rocblas_storev_iiT0_iilPT_lS6_il
	.p2align	8
	.type	_ZN9rocsolver6v33100L21larft_kernel_backwardIfPfEEv15rocblas_storev_iiT0_iilPT_lS6_il,@function
_ZN9rocsolver6v33100L21larft_kernel_backwardIfPfEEv15rocblas_storev_iiT0_iilPT_lS6_il: ; @_ZN9rocsolver6v33100L21larft_kernel_backwardIfPfEEv15rocblas_storev_iiT0_iilPT_lS6_il
; %bb.0:
	s_clause 0x4
	s_load_b64 s[20:21], s[0:1], 0x48
	s_load_b128 s[16:19], s[0:1], 0x0
	s_load_b32 s13, s[0:1], 0x5c
	s_load_b256 s[4:11], s[0:1], 0x20
	s_load_b32 s3, s[0:1], 0x40
	s_ashr_i32 s12, s15, 31
	v_add_nc_u32_e32 v6, 1, v0
	v_lshlrev_b32_e32 v7, 2, v0
	s_waitcnt lgkmcnt(0)
	s_mul_i32 s2, s15, s21
	s_mul_hi_u32 s14, s15, s20
	s_mul_i32 s19, s12, s20
	s_add_i32 s2, s14, s2
	s_mul_i32 s20, s15, s20
	s_add_i32 s21, s2, s19
	v_cmp_gt_i32_e64 s2, s18, v0
	s_lshl_b64 s[20:21], s[20:21], 2
	s_and_b32 s14, s13, 0xffff
	s_add_u32 s19, s10, s20
	s_addc_u32 s24, s11, s21
	s_and_saveexec_b32 s10, s2
	s_cbranch_execz .LBB12_5
; %bb.1:
	s_lshl_b32 s11, s18, 2
	v_add_nc_u32_e32 v3, 1, v0
	v_add3_u32 v4, 0, s11, v7
	v_mov_b32_e32 v5, v0
	s_mov_b32 s13, 0
	s_lshl_b32 s20, s14, 2
	.p2align	6
.LBB12_2:                               ; =>This Loop Header: Depth=1
                                        ;     Child Loop BB12_3 Depth 2
	s_delay_alu instid0(VALU_DEP_1)
	v_dual_mov_b32 v1, v5 :: v_dual_mov_b32 v8, v4
	s_mov_b32 s21, 0
	s_mov_b32 s22, 0
	.p2align	6
.LBB12_3:                               ;   Parent Loop BB12_2 Depth=1
                                        ; =>  This Inner Loop Header: Depth=2
	s_delay_alu instid0(VALU_DEP_1) | instskip(SKIP_1) | instid1(VALU_DEP_1)
	v_ashrrev_i32_e32 v2, 31, v1
	s_add_i32 s22, s22, 1
	v_lshlrev_b64 v[9:10], 2, v[1:2]
	v_add_nc_u32_e32 v1, s3, v1
	s_delay_alu instid0(VALU_DEP_2) | instskip(NEXT) | instid1(VALU_DEP_3)
	v_add_co_u32 v9, vcc_lo, s19, v9
	v_add_co_ci_u32_e32 v10, vcc_lo, s24, v10, vcc_lo
	v_cmp_eq_u32_e32 vcc_lo, s22, v3
	global_load_b32 v2, v[9:10], off
	s_or_b32 s21, vcc_lo, s21
	s_waitcnt vmcnt(0)
	ds_store_b32 v8, v2
	v_add_nc_u32_e32 v8, s11, v8
	s_and_not1_b32 exec_lo, exec_lo, s21
	s_cbranch_execnz .LBB12_3
; %bb.4:                                ;   in Loop: Header=BB12_2 Depth=1
	s_or_b32 exec_lo, exec_lo, s21
	v_add_nc_u32_e32 v5, s14, v5
	v_add_nc_u32_e32 v3, s14, v3
	;; [unrolled: 1-line block ×3, first 2 shown]
	s_delay_alu instid0(VALU_DEP_3) | instskip(SKIP_1) | instid1(SALU_CYCLE_1)
	v_cmp_le_i32_e32 vcc_lo, s18, v5
	s_or_b32 s13, vcc_lo, s13
	s_and_not1_b32 exec_lo, exec_lo, s13
	s_cbranch_execnz .LBB12_2
.LBB12_5:
	s_or_b32 exec_lo, exec_lo, s10
	s_cmp_lt_i32 s18, 2
	s_waitcnt lgkmcnt(0)
	s_barrier
	buffer_gl0_inv
	s_cbranch_scc1 .LBB12_30
; %bb.6:
	s_load_b128 s[20:23], s[0:1], 0x10
	s_mul_i32 s1, s15, s9
	s_mul_hi_u32 s9, s15, s8
	s_mul_i32 s10, s12, s8
	s_add_i32 s1, s9, s1
	s_mul_i32 s0, s15, s8
	s_add_i32 s1, s1, s10
	s_mul_i32 s10, s5, s15
	s_lshl_b64 s[0:1], s[0:1], 2
	s_mul_i32 s8, s4, s12
	s_mul_hi_u32 s9, s4, s15
	s_waitcnt lgkmcnt(0)
	s_ashr_i32 s5, s22, 31
	s_add_u32 s25, s6, s0
	s_addc_u32 s26, s7, s1
	s_lshl_b32 s27, s18, 2
	s_add_i32 s6, s18, -2
	s_sub_i32 s17, s17, s18
	s_add_i32 s28, s27, 0
	s_cmpk_lg_i32 s16, 0xb5
	s_mul_i32 s0, s4, s15
	s_cselect_b32 s15, -1, 0
	s_add_i32 s1, s9, s8
	s_mov_b32 s4, s22
	s_add_i32 s1, s1, s10
	s_lshl_b64 s[4:5], s[4:5], 2
	s_lshl_b64 s[0:1], s[0:1], 2
	s_mov_b32 s7, 0
	s_add_u32 s8, s0, s4
	s_addc_u32 s9, s1, s5
	s_lshl_b64 s[0:1], s[6:7], 2
	s_mov_b32 s4, s23
	s_add_u32 s5, s8, s0
	s_addc_u32 s10, s9, s1
	s_add_u32 s16, s20, s5
	s_addc_u32 s22, s21, s10
	s_ashr_i32 s5, s23, 31
	v_mul_lo_u32 v8, v0, s23
	s_lshl_b64 s[4:5], s[4:5], 2
	s_add_u32 s20, s20, s8
	s_addc_u32 s21, s21, s9
	s_add_u32 s0, s20, s0
	s_addc_u32 s1, s21, s1
	v_add_co_u32 v1, s0, s0, v7
	s_add_i32 s9, s27, 4
	v_add_co_ci_u32_e64 v2, null, s1, 0, s0
	s_mul_i32 s0, s18, s9
	s_delay_alu instid0(VALU_DEP_2) | instskip(SKIP_1) | instid1(VALU_DEP_2)
	v_add_co_u32 v1, vcc_lo, v1, 4
	s_add_i32 s0, s0, 0
	v_add_co_ci_u32_e32 v2, vcc_lo, 0, v2, vcc_lo
	v_add3_u32 v9, s0, v7, -4
	s_add_i32 s8, s18, -1
	s_lshl_b32 s29, s14, 2
	s_mul_i32 s8, s23, s8
	s_mul_i32 s30, s23, s14
	;; [unrolled: 1-line block ×3, first 2 shown]
	s_xor_b32 s31, s27, -4
	s_branch .LBB12_8
.LBB12_7:                               ;   in Loop: Header=BB12_8 Depth=1
	s_or_b32 exec_lo, exec_lo, s0
	v_add_co_u32 v1, vcc_lo, v1, -4
	s_add_i32 s0, s6, -1
	v_add_co_ci_u32_e32 v2, vcc_lo, -1, v2, vcc_lo
	v_add_nc_u32_e32 v9, s31, v9
	s_add_u32 s16, s16, -4
	s_addc_u32 s22, s22, -1
	s_sub_i32 s8, s8, s23
	s_sub_i32 s10, s10, s23
	s_cmp_lt_i32 s6, 1
	s_mov_b32 s6, s0
	s_waitcnt lgkmcnt(0)
	s_barrier
	buffer_gl0_inv
	s_cbranch_scc1 .LBB12_30
.LBB12_8:                               ; =>This Loop Header: Depth=1
                                        ;     Child Loop BB12_12 Depth 2
                                        ;       Child Loop BB12_14 Depth 3
                                        ;     Child Loop BB12_21 Depth 2
                                        ;       Child Loop BB12_23 Depth 3
	;; [unrolled: 2-line block ×3, first 2 shown]
	s_not_b32 s33, s6
	s_lshl_b32 s0, s6, 2
	s_mul_i32 s1, s6, s18
	s_add_i32 s33, s33, s18
	s_add_i32 s34, s28, s0
	s_lshl_b32 s0, s1, 2
	s_add_i32 s35, s6, s17
	s_add_i32 s34, s34, s0
	v_cmp_gt_i32_e64 s0, s33, v0
	s_and_b32 vcc_lo, exec_lo, s15
	s_mov_b32 s1, -1
	s_cbranch_vccz .LBB12_16
; %bb.9:                                ;   in Loop: Header=BB12_8 Depth=1
	s_delay_alu instid0(VALU_DEP_1)
	s_and_saveexec_b32 s9, s0
	s_cbranch_execz .LBB12_15
; %bb.10:                               ;   in Loop: Header=BB12_8 Depth=1
	s_cmp_gt_i32 s35, 0
	v_dual_mov_b32 v4, v2 :: v_dual_mov_b32 v3, v1
	s_cselect_b32 s11, -1, 0
	s_lshl_b64 s[0:1], s[6:7], 2
	v_mov_b32_e32 v5, v0
	s_add_u32 s0, s25, s0
	s_addc_u32 s1, s26, s1
	s_mov_b32 s13, 0
	s_load_b32 s12, s[0:1], 0x0
	s_add_i32 s36, s34, 4
	s_set_inst_prefetch_distance 0x1
	s_branch .LBB12_12
	.p2align	6
.LBB12_11:                              ;   in Loop: Header=BB12_12 Depth=2
	v_lshlrev_b32_e32 v11, 2, v5
	v_add_nc_u32_e32 v5, s14, v5
	v_add_co_u32 v3, s0, v3, s29
	s_delay_alu instid0(VALU_DEP_1) | instskip(NEXT) | instid1(VALU_DEP_4)
	v_add_co_ci_u32_e64 v4, s0, 0, v4, s0
	v_add_nc_u32_e32 v12, s36, v11
	s_delay_alu instid0(VALU_DEP_4)
	v_cmp_le_i32_e32 vcc_lo, s33, v5
	ds_load_b32 v12, v12
	s_or_b32 s13, vcc_lo, s13
	s_waitcnt lgkmcnt(0)
	v_dual_fmac_f32 v12, s12, v10 :: v_dual_add_nc_u32 v11, 0, v11
	ds_store_b32 v11, v12
	s_and_not1_b32 exec_lo, exec_lo, s13
	s_cbranch_execz .LBB12_15
.LBB12_12:                              ;   Parent Loop BB12_8 Depth=1
                                        ; =>  This Loop Header: Depth=2
                                        ;       Child Loop BB12_14 Depth 3
	v_mov_b32_e32 v10, 0
	s_and_not1_b32 vcc_lo, exec_lo, s11
	s_cbranch_vccnz .LBB12_11
; %bb.13:                               ;   in Loop: Header=BB12_12 Depth=2
	s_mov_b32 s37, 0
	s_mov_b64 s[0:1], 0
.LBB12_14:                              ;   Parent Loop BB12_8 Depth=1
                                        ;     Parent Loop BB12_12 Depth=2
                                        ; =>    This Inner Loop Header: Depth=3
	s_delay_alu instid0(SALU_CYCLE_1)
	v_add_co_u32 v11, vcc_lo, v3, s0
	v_add_co_ci_u32_e32 v12, vcc_lo, s1, v4, vcc_lo
	s_add_u32 s38, s16, s0
	s_addc_u32 s39, s22, s1
	s_add_i32 s37, s37, 1
	global_load_b32 v11, v[11:12], off
	s_load_b32 s38, s[38:39], 0x0
	s_add_u32 s0, s0, s4
	s_addc_u32 s1, s1, s5
	s_cmp_ge_i32 s37, s35
	s_waitcnt vmcnt(0) lgkmcnt(0)
	v_fmac_f32_e32 v10, s38, v11
	s_cbranch_scc0 .LBB12_14
	s_branch .LBB12_11
.LBB12_15:                              ;   in Loop: Header=BB12_8 Depth=1
	s_set_inst_prefetch_distance 0x2
	s_or_b32 exec_lo, exec_lo, s9
	s_mov_b32 s1, 0
.LBB12_16:                              ;   in Loop: Header=BB12_8 Depth=1
	s_delay_alu instid0(SALU_CYCLE_1)
	s_and_not1_b32 vcc_lo, exec_lo, s1
	s_cbranch_vccnz .LBB12_25
; %bb.17:                               ;   in Loop: Header=BB12_8 Depth=1
	s_mov_b32 s36, exec_lo
	v_cmpx_gt_i32_e64 s33, v0
	s_cbranch_execz .LBB12_24
; %bb.18:                               ;   in Loop: Header=BB12_8 Depth=1
	s_ashr_i32 s11, s10, 31
	s_ashr_i32 s9, s8, 31
	s_lshl_b64 s[0:1], s[10:11], 2
	s_lshl_b64 s[12:13], s[8:9], 2
	s_add_u32 s0, s20, s0
	s_addc_u32 s1, s21, s1
	s_cmp_gt_i32 s35, 0
	v_mov_b32_e32 v3, v8
	s_cselect_b32 s9, -1, 0
	s_lshl_b64 s[38:39], s[6:7], 2
	v_mov_b32_e32 v10, v0
	s_add_u32 s38, s25, s38
	s_addc_u32 s39, s26, s39
	s_mov_b32 s37, 0
	s_load_b32 s11, s[38:39], 0x0
	s_add_i32 s38, s34, 4
	s_add_u32 s39, s20, s12
	s_addc_u32 s40, s21, s13
	s_set_inst_prefetch_distance 0x1
	s_branch .LBB12_21
	.p2align	6
.LBB12_19:                              ;   in Loop: Header=BB12_21 Depth=2
	v_mov_b32_e32 v11, 0
.LBB12_20:                              ;   in Loop: Header=BB12_21 Depth=2
	v_lshlrev_b32_e32 v4, 2, v10
	v_add_nc_u32_e32 v10, s14, v10
	v_add_nc_u32_e32 v3, s30, v3
	s_delay_alu instid0(VALU_DEP_3) | instskip(NEXT) | instid1(VALU_DEP_3)
	v_add_nc_u32_e32 v5, s38, v4
	v_cmp_le_i32_e32 vcc_lo, s33, v10
	ds_load_b32 v5, v5
	s_or_b32 s37, vcc_lo, s37
	s_waitcnt lgkmcnt(0)
	v_dual_fmac_f32 v5, s11, v11 :: v_dual_add_nc_u32 v4, 0, v4
	ds_store_b32 v4, v5
	s_and_not1_b32 exec_lo, exec_lo, s37
	s_cbranch_execz .LBB12_24
.LBB12_21:                              ;   Parent Loop BB12_8 Depth=1
                                        ; =>  This Loop Header: Depth=2
                                        ;       Child Loop BB12_23 Depth 3
	s_and_not1_b32 vcc_lo, exec_lo, s9
	s_cbranch_vccnz .LBB12_19
; %bb.22:                               ;   in Loop: Header=BB12_21 Depth=2
	v_ashrrev_i32_e32 v4, 31, v3
	v_mov_b32_e32 v11, 0
	s_mov_b32 s41, 0
	s_mov_b64 s[12:13], s[0:1]
	s_delay_alu instid0(VALU_DEP_2) | instskip(NEXT) | instid1(VALU_DEP_1)
	v_lshlrev_b64 v[4:5], 2, v[3:4]
	v_add_co_u32 v4, vcc_lo, s39, v4
	s_delay_alu instid0(VALU_DEP_2)
	v_add_co_ci_u32_e32 v5, vcc_lo, s40, v5, vcc_lo
.LBB12_23:                              ;   Parent Loop BB12_8 Depth=1
                                        ;     Parent Loop BB12_21 Depth=2
                                        ; =>    This Inner Loop Header: Depth=3
	global_load_b32 v12, v[4:5], off
	s_load_b32 s42, s[12:13], 0x0
	v_add_co_u32 v4, vcc_lo, v4, 4
	s_add_i32 s41, s41, 1
	v_add_co_ci_u32_e32 v5, vcc_lo, 0, v5, vcc_lo
	s_add_u32 s12, s12, 4
	s_addc_u32 s13, s13, 0
	s_cmp_ge_i32 s41, s35
	s_waitcnt vmcnt(0) lgkmcnt(0)
	v_fmac_f32_e32 v11, s42, v12
	s_cbranch_scc0 .LBB12_23
	s_branch .LBB12_20
.LBB12_24:                              ;   in Loop: Header=BB12_8 Depth=1
	s_set_inst_prefetch_distance 0x2
	s_or_b32 exec_lo, exec_lo, s36
.LBB12_25:                              ;   in Loop: Header=BB12_8 Depth=1
	s_delay_alu instid0(SALU_CYCLE_1)
	s_mov_b32 s0, exec_lo
	s_waitcnt lgkmcnt(0)
	s_barrier
	buffer_gl0_inv
	v_cmpx_gt_i32_e64 s33, v0
	s_cbranch_execz .LBB12_7
; %bb.26:                               ;   in Loop: Header=BB12_8 Depth=1
	v_dual_mov_b32 v3, v9 :: v_dual_mov_b32 v4, v0
	s_add_i32 s34, s34, 4
	s_mov_b32 s1, 0
	.p2align	6
.LBB12_27:                              ;   Parent Loop BB12_8 Depth=1
                                        ; =>  This Loop Header: Depth=2
                                        ;       Child Loop BB12_28 Depth 3
	s_delay_alu instid0(VALU_DEP_1)
	v_dual_mov_b32 v5, 0 :: v_dual_mov_b32 v10, v3
	s_mov_b32 s11, -1
	s_mov_b32 s9, 0
	s_mov_b32 s12, 0
.LBB12_28:                              ;   Parent Loop BB12_8 Depth=1
                                        ;     Parent Loop BB12_27 Depth=2
                                        ; =>    This Inner Loop Header: Depth=3
	s_delay_alu instid0(SALU_CYCLE_1)
	v_mov_b32_e32 v11, s12
	s_add_i32 s11, s11, 1
	s_add_i32 s12, s12, 4
	v_cmp_eq_u32_e32 vcc_lo, s11, v4
	ds_load_b32 v12, v10
	ds_load_b32 v11, v11
	v_add_nc_u32_e32 v10, s27, v10
	s_or_b32 s9, vcc_lo, s9
	s_waitcnt lgkmcnt(0)
	v_fmac_f32_e32 v5, v12, v11
	s_and_not1_b32 exec_lo, exec_lo, s9
	s_cbranch_execnz .LBB12_28
; %bb.29:                               ;   in Loop: Header=BB12_27 Depth=2
	s_or_b32 exec_lo, exec_lo, s9
	v_lshl_add_u32 v10, v4, 2, s34
	v_add_nc_u32_e32 v4, s14, v4
	v_add_nc_u32_e32 v3, s29, v3
	ds_store_b32 v10, v5
	v_cmp_le_i32_e32 vcc_lo, s33, v4
	s_or_b32 s1, vcc_lo, s1
	s_delay_alu instid0(SALU_CYCLE_1)
	s_and_not1_b32 exec_lo, exec_lo, s1
	s_cbranch_execnz .LBB12_27
	s_branch .LBB12_7
.LBB12_30:
	s_and_saveexec_b32 s0, s2
	s_cbranch_execz .LBB12_35
; %bb.31:
	s_lshl_b32 s1, s18, 2
	s_mov_b32 s2, 0
	v_add3_u32 v3, 0, s1, v7
	s_lshl_b32 s4, s14, 2
	.p2align	6
.LBB12_32:                              ; =>This Loop Header: Depth=1
                                        ;     Child Loop BB12_33 Depth 2
	s_delay_alu instid0(VALU_DEP_1)
	v_dual_mov_b32 v4, v3 :: v_dual_mov_b32 v1, v0
	s_mov_b32 s5, 0
	s_mov_b32 s6, 0
	.p2align	6
.LBB12_33:                              ;   Parent Loop BB12_32 Depth=1
                                        ; =>  This Inner Loop Header: Depth=2
	ds_load_b32 v5, v4
	v_ashrrev_i32_e32 v2, 31, v1
	s_add_i32 s6, s6, 1
	v_add_nc_u32_e32 v4, s1, v4
	v_cmp_eq_u32_e32 vcc_lo, s6, v6
	s_delay_alu instid0(VALU_DEP_3) | instskip(SKIP_2) | instid1(VALU_DEP_2)
	v_lshlrev_b64 v[7:8], 2, v[1:2]
	v_add_nc_u32_e32 v1, s3, v1
	s_or_b32 s5, vcc_lo, s5
	v_add_co_u32 v7, s0, s19, v7
	s_delay_alu instid0(VALU_DEP_1)
	v_add_co_ci_u32_e64 v8, s0, s24, v8, s0
	s_waitcnt lgkmcnt(0)
	global_store_b32 v[7:8], v5, off
	s_and_not1_b32 exec_lo, exec_lo, s5
	s_cbranch_execnz .LBB12_33
; %bb.34:                               ;   in Loop: Header=BB12_32 Depth=1
	s_or_b32 exec_lo, exec_lo, s5
	v_add_nc_u32_e32 v0, s14, v0
	v_add_nc_u32_e32 v6, s14, v6
	;; [unrolled: 1-line block ×3, first 2 shown]
	s_delay_alu instid0(VALU_DEP_3) | instskip(SKIP_1) | instid1(SALU_CYCLE_1)
	v_cmp_le_i32_e32 vcc_lo, s18, v0
	s_or_b32 s2, vcc_lo, s2
	s_and_not1_b32 exec_lo, exec_lo, s2
	s_cbranch_execnz .LBB12_32
.LBB12_35:
	s_nop 0
	s_sendmsg sendmsg(MSG_DEALLOC_VGPRS)
	s_endpgm
	.section	.rodata,"a",@progbits
	.p2align	6, 0x0
	.amdhsa_kernel _ZN9rocsolver6v33100L21larft_kernel_backwardIfPfEEv15rocblas_storev_iiT0_iilPT_lS6_il
		.amdhsa_group_segment_fixed_size 0
		.amdhsa_private_segment_fixed_size 0
		.amdhsa_kernarg_size 336
		.amdhsa_user_sgpr_count 14
		.amdhsa_user_sgpr_dispatch_ptr 0
		.amdhsa_user_sgpr_queue_ptr 0
		.amdhsa_user_sgpr_kernarg_segment_ptr 1
		.amdhsa_user_sgpr_dispatch_id 0
		.amdhsa_user_sgpr_private_segment_size 0
		.amdhsa_wavefront_size32 1
		.amdhsa_uses_dynamic_stack 0
		.amdhsa_enable_private_segment 0
		.amdhsa_system_sgpr_workgroup_id_x 1
		.amdhsa_system_sgpr_workgroup_id_y 1
		.amdhsa_system_sgpr_workgroup_id_z 0
		.amdhsa_system_sgpr_workgroup_info 0
		.amdhsa_system_vgpr_workitem_id 0
		.amdhsa_next_free_vgpr 13
		.amdhsa_next_free_sgpr 43
		.amdhsa_reserve_vcc 1
		.amdhsa_float_round_mode_32 0
		.amdhsa_float_round_mode_16_64 0
		.amdhsa_float_denorm_mode_32 3
		.amdhsa_float_denorm_mode_16_64 3
		.amdhsa_dx10_clamp 1
		.amdhsa_ieee_mode 1
		.amdhsa_fp16_overflow 0
		.amdhsa_workgroup_processor_mode 1
		.amdhsa_memory_ordered 1
		.amdhsa_forward_progress 0
		.amdhsa_shared_vgpr_count 0
		.amdhsa_exception_fp_ieee_invalid_op 0
		.amdhsa_exception_fp_denorm_src 0
		.amdhsa_exception_fp_ieee_div_zero 0
		.amdhsa_exception_fp_ieee_overflow 0
		.amdhsa_exception_fp_ieee_underflow 0
		.amdhsa_exception_fp_ieee_inexact 0
		.amdhsa_exception_int_div_zero 0
	.end_amdhsa_kernel
	.section	.text._ZN9rocsolver6v33100L21larft_kernel_backwardIfPfEEv15rocblas_storev_iiT0_iilPT_lS6_il,"axG",@progbits,_ZN9rocsolver6v33100L21larft_kernel_backwardIfPfEEv15rocblas_storev_iiT0_iilPT_lS6_il,comdat
.Lfunc_end12:
	.size	_ZN9rocsolver6v33100L21larft_kernel_backwardIfPfEEv15rocblas_storev_iiT0_iilPT_lS6_il, .Lfunc_end12-_ZN9rocsolver6v33100L21larft_kernel_backwardIfPfEEv15rocblas_storev_iiT0_iilPT_lS6_il
                                        ; -- End function
	.section	.AMDGPU.csdata,"",@progbits
; Kernel info:
; codeLenInByte = 1612
; NumSgprs: 45
; NumVgprs: 13
; ScratchSize: 0
; MemoryBound: 0
; FloatMode: 240
; IeeeMode: 1
; LDSByteSize: 0 bytes/workgroup (compile time only)
; SGPRBlocks: 5
; VGPRBlocks: 1
; NumSGPRsForWavesPerEU: 45
; NumVGPRsForWavesPerEU: 13
; Occupancy: 16
; WaveLimiterHint : 0
; COMPUTE_PGM_RSRC2:SCRATCH_EN: 0
; COMPUTE_PGM_RSRC2:USER_SGPR: 14
; COMPUTE_PGM_RSRC2:TRAP_HANDLER: 0
; COMPUTE_PGM_RSRC2:TGID_X_EN: 1
; COMPUTE_PGM_RSRC2:TGID_Y_EN: 1
; COMPUTE_PGM_RSRC2:TGID_Z_EN: 0
; COMPUTE_PGM_RSRC2:TIDIG_COMP_CNT: 0
	.section	.text._ZN9rocsolver6v33100L9copymatA1IfPfEEviiT0_iilPT_,"axG",@progbits,_ZN9rocsolver6v33100L9copymatA1IfPfEEviiT0_iilPT_,comdat
	.globl	_ZN9rocsolver6v33100L9copymatA1IfPfEEviiT0_iilPT_ ; -- Begin function _ZN9rocsolver6v33100L9copymatA1IfPfEEviiT0_iilPT_
	.p2align	8
	.type	_ZN9rocsolver6v33100L9copymatA1IfPfEEviiT0_iilPT_,@function
_ZN9rocsolver6v33100L9copymatA1IfPfEEviiT0_iilPT_: ; @_ZN9rocsolver6v33100L9copymatA1IfPfEEviiT0_iilPT_
; %bb.0:
	s_clause 0x1
	s_load_b32 s2, s[0:1], 0x34
	s_load_b64 s[8:9], s[0:1], 0x0
	v_bfe_u32 v2, v0, 10, 10
	v_and_b32_e32 v3, 0x3ff, v0
	s_waitcnt lgkmcnt(0)
	s_lshr_b32 s3, s2, 16
	s_and_b32 s2, s2, 0xffff
	s_delay_alu instid0(VALU_DEP_1) | instskip(SKIP_1) | instid1(VALU_DEP_2)
	v_mad_u64_u32 v[0:1], null, s14, s3, v[2:3]
	v_mad_u64_u32 v[1:2], null, s13, s2, v[3:4]
	v_cmp_gt_u32_e32 vcc_lo, s8, v0
	s_delay_alu instid0(VALU_DEP_2) | instskip(NEXT) | instid1(VALU_DEP_1)
	v_cmp_gt_u32_e64 s2, s9, v1
	s_and_b32 s2, s2, vcc_lo
	s_delay_alu instid0(SALU_CYCLE_1)
	s_and_saveexec_b32 s3, s2
	s_cbranch_execz .LBB13_2
; %bb.1:
	s_load_b256 s[0:7], s[0:1], 0x8
	s_ashr_i32 s10, s8, 31
	s_ashr_i32 s11, s9, 31
	s_mul_hi_u32 s12, s8, s15
	s_mul_i32 s13, s8, s15
	s_mul_i32 s10, s10, s15
	s_mul_i32 s11, s13, s11
	s_mul_hi_u32 s14, s13, s9
	s_add_i32 s10, s12, s10
	s_add_i32 s11, s14, s11
	s_mul_i32 s12, s10, s9
	s_mul_i32 s10, s13, s9
	s_add_i32 s11, s11, s12
	s_delay_alu instid0(SALU_CYCLE_1)
	s_lshl_b64 s[10:11], s[10:11], 2
	s_waitcnt lgkmcnt(0)
	v_mad_u64_u32 v[2:3], null, v1, s3, v[0:1]
	s_add_u32 s9, s6, s10
	s_mul_i32 s5, s15, s5
	s_mul_hi_u32 s10, s15, s4
	v_mov_b32_e32 v3, 0
	s_mul_i32 s4, s15, s4
	s_addc_u32 s3, s7, s11
	s_add_i32 s5, s10, s5
	s_mov_b32 s6, s2
	s_lshl_b64 s[4:5], s[4:5], 2
	s_ashr_i32 s7, s2, 31
	v_lshlrev_b64 v[4:5], 2, v[2:3]
	s_add_u32 s2, s0, s4
	s_addc_u32 s4, s1, s5
	s_lshl_b64 s[0:1], s[6:7], 2
	s_delay_alu instid0(SALU_CYCLE_1)
	s_add_u32 s0, s2, s0
	s_addc_u32 s1, s4, s1
	v_add_co_u32 v4, vcc_lo, s0, v4
	v_add_co_ci_u32_e32 v5, vcc_lo, s1, v5, vcc_lo
	global_load_b32 v2, v[4:5], off
	v_mad_u64_u32 v[4:5], null, v1, s8, v[0:1]
	v_mov_b32_e32 v5, v3
	s_delay_alu instid0(VALU_DEP_1) | instskip(NEXT) | instid1(VALU_DEP_1)
	v_lshlrev_b64 v[0:1], 2, v[4:5]
	v_add_co_u32 v0, vcc_lo, s9, v0
	s_delay_alu instid0(VALU_DEP_2)
	v_add_co_ci_u32_e32 v1, vcc_lo, s3, v1, vcc_lo
	s_waitcnt vmcnt(0)
	global_store_b32 v[0:1], v2, off
.LBB13_2:
	s_nop 0
	s_sendmsg sendmsg(MSG_DEALLOC_VGPRS)
	s_endpgm
	.section	.rodata,"a",@progbits
	.p2align	6, 0x0
	.amdhsa_kernel _ZN9rocsolver6v33100L9copymatA1IfPfEEviiT0_iilPT_
		.amdhsa_group_segment_fixed_size 0
		.amdhsa_private_segment_fixed_size 0
		.amdhsa_kernarg_size 296
		.amdhsa_user_sgpr_count 13
		.amdhsa_user_sgpr_dispatch_ptr 0
		.amdhsa_user_sgpr_queue_ptr 0
		.amdhsa_user_sgpr_kernarg_segment_ptr 1
		.amdhsa_user_sgpr_dispatch_id 0
		.amdhsa_user_sgpr_private_segment_size 0
		.amdhsa_wavefront_size32 1
		.amdhsa_uses_dynamic_stack 0
		.amdhsa_enable_private_segment 0
		.amdhsa_system_sgpr_workgroup_id_x 1
		.amdhsa_system_sgpr_workgroup_id_y 1
		.amdhsa_system_sgpr_workgroup_id_z 1
		.amdhsa_system_sgpr_workgroup_info 0
		.amdhsa_system_vgpr_workitem_id 1
		.amdhsa_next_free_vgpr 6
		.amdhsa_next_free_sgpr 16
		.amdhsa_reserve_vcc 1
		.amdhsa_float_round_mode_32 0
		.amdhsa_float_round_mode_16_64 0
		.amdhsa_float_denorm_mode_32 3
		.amdhsa_float_denorm_mode_16_64 3
		.amdhsa_dx10_clamp 1
		.amdhsa_ieee_mode 1
		.amdhsa_fp16_overflow 0
		.amdhsa_workgroup_processor_mode 1
		.amdhsa_memory_ordered 1
		.amdhsa_forward_progress 0
		.amdhsa_shared_vgpr_count 0
		.amdhsa_exception_fp_ieee_invalid_op 0
		.amdhsa_exception_fp_denorm_src 0
		.amdhsa_exception_fp_ieee_div_zero 0
		.amdhsa_exception_fp_ieee_overflow 0
		.amdhsa_exception_fp_ieee_underflow 0
		.amdhsa_exception_fp_ieee_inexact 0
		.amdhsa_exception_int_div_zero 0
	.end_amdhsa_kernel
	.section	.text._ZN9rocsolver6v33100L9copymatA1IfPfEEviiT0_iilPT_,"axG",@progbits,_ZN9rocsolver6v33100L9copymatA1IfPfEEviiT0_iilPT_,comdat
.Lfunc_end13:
	.size	_ZN9rocsolver6v33100L9copymatA1IfPfEEviiT0_iilPT_, .Lfunc_end13-_ZN9rocsolver6v33100L9copymatA1IfPfEEviiT0_iilPT_
                                        ; -- End function
	.section	.AMDGPU.csdata,"",@progbits
; Kernel info:
; codeLenInByte = 336
; NumSgprs: 18
; NumVgprs: 6
; ScratchSize: 0
; MemoryBound: 0
; FloatMode: 240
; IeeeMode: 1
; LDSByteSize: 0 bytes/workgroup (compile time only)
; SGPRBlocks: 2
; VGPRBlocks: 0
; NumSGPRsForWavesPerEU: 18
; NumVGPRsForWavesPerEU: 6
; Occupancy: 16
; WaveLimiterHint : 0
; COMPUTE_PGM_RSRC2:SCRATCH_EN: 0
; COMPUTE_PGM_RSRC2:USER_SGPR: 13
; COMPUTE_PGM_RSRC2:TRAP_HANDLER: 0
; COMPUTE_PGM_RSRC2:TGID_X_EN: 1
; COMPUTE_PGM_RSRC2:TGID_Y_EN: 1
; COMPUTE_PGM_RSRC2:TGID_Z_EN: 1
; COMPUTE_PGM_RSRC2:TIDIG_COMP_CNT: 1
	.section	.text._ZN9rocsolver6v33100L8addmatA1IfPfEEviiT0_iilPT_,"axG",@progbits,_ZN9rocsolver6v33100L8addmatA1IfPfEEviiT0_iilPT_,comdat
	.globl	_ZN9rocsolver6v33100L8addmatA1IfPfEEviiT0_iilPT_ ; -- Begin function _ZN9rocsolver6v33100L8addmatA1IfPfEEviiT0_iilPT_
	.p2align	8
	.type	_ZN9rocsolver6v33100L8addmatA1IfPfEEviiT0_iilPT_,@function
_ZN9rocsolver6v33100L8addmatA1IfPfEEviiT0_iilPT_: ; @_ZN9rocsolver6v33100L8addmatA1IfPfEEviiT0_iilPT_
; %bb.0:
	s_clause 0x1
	s_load_b32 s2, s[0:1], 0x34
	s_load_b64 s[8:9], s[0:1], 0x0
	v_bfe_u32 v2, v0, 10, 10
	v_and_b32_e32 v3, 0x3ff, v0
	s_waitcnt lgkmcnt(0)
	s_lshr_b32 s3, s2, 16
	s_and_b32 s2, s2, 0xffff
	s_delay_alu instid0(VALU_DEP_1) | instskip(SKIP_1) | instid1(VALU_DEP_2)
	v_mad_u64_u32 v[0:1], null, s14, s3, v[2:3]
	v_mad_u64_u32 v[1:2], null, s13, s2, v[3:4]
	v_cmp_gt_u32_e32 vcc_lo, s8, v0
	s_delay_alu instid0(VALU_DEP_2) | instskip(NEXT) | instid1(VALU_DEP_1)
	v_cmp_gt_u32_e64 s2, s9, v1
	s_and_b32 s2, s2, vcc_lo
	s_delay_alu instid0(SALU_CYCLE_1)
	s_and_saveexec_b32 s3, s2
	s_cbranch_execz .LBB14_2
; %bb.1:
	s_load_b256 s[0:7], s[0:1], 0x8
	s_ashr_i32 s10, s8, 31
	s_ashr_i32 s11, s9, 31
	s_mul_hi_u32 s12, s8, s15
	s_mul_i32 s13, s8, s15
	s_mul_i32 s10, s10, s15
	;; [unrolled: 1-line block ×3, first 2 shown]
	s_mul_hi_u32 s14, s13, s9
	s_add_i32 s10, s12, s10
	s_add_i32 s11, s14, s11
	s_mul_i32 s12, s10, s9
	v_mad_u64_u32 v[2:3], null, v1, s8, v[0:1]
	v_mov_b32_e32 v3, 0
	s_mul_i32 s10, s13, s9
	s_add_i32 s11, s11, s12
	s_delay_alu instid0(SALU_CYCLE_1)
	s_lshl_b64 s[8:9], s[10:11], 2
	s_waitcnt lgkmcnt(0)
	v_mad_u64_u32 v[4:5], null, v1, s3, v[0:1]
	s_add_u32 s8, s6, s8
	s_mul_i32 s5, s15, s5
	s_mul_hi_u32 s6, s15, s4
	v_mov_b32_e32 v5, v3
	s_mul_i32 s4, s15, s4
	s_addc_u32 s9, s7, s9
	s_add_i32 s5, s6, s5
	v_lshlrev_b64 v[0:1], 2, v[2:3]
	s_lshl_b64 s[4:5], s[4:5], 2
	s_mov_b32 s6, s2
	s_ashr_i32 s7, s2, 31
	v_lshlrev_b64 v[2:3], 2, v[4:5]
	s_add_u32 s2, s0, s4
	s_addc_u32 s3, s1, s5
	s_lshl_b64 s[0:1], s[6:7], 2
	v_add_co_u32 v0, vcc_lo, s8, v0
	s_add_u32 s0, s2, s0
	v_add_co_ci_u32_e32 v1, vcc_lo, s9, v1, vcc_lo
	s_addc_u32 s1, s3, s1
	v_add_co_u32 v2, vcc_lo, s0, v2
	v_add_co_ci_u32_e32 v3, vcc_lo, s1, v3, vcc_lo
	global_load_b32 v0, v[0:1], off
	global_load_b32 v1, v[2:3], off
	s_waitcnt vmcnt(0)
	v_sub_f32_e32 v0, v1, v0
	global_store_b32 v[2:3], v0, off
.LBB14_2:
	s_nop 0
	s_sendmsg sendmsg(MSG_DEALLOC_VGPRS)
	s_endpgm
	.section	.rodata,"a",@progbits
	.p2align	6, 0x0
	.amdhsa_kernel _ZN9rocsolver6v33100L8addmatA1IfPfEEviiT0_iilPT_
		.amdhsa_group_segment_fixed_size 0
		.amdhsa_private_segment_fixed_size 0
		.amdhsa_kernarg_size 296
		.amdhsa_user_sgpr_count 13
		.amdhsa_user_sgpr_dispatch_ptr 0
		.amdhsa_user_sgpr_queue_ptr 0
		.amdhsa_user_sgpr_kernarg_segment_ptr 1
		.amdhsa_user_sgpr_dispatch_id 0
		.amdhsa_user_sgpr_private_segment_size 0
		.amdhsa_wavefront_size32 1
		.amdhsa_uses_dynamic_stack 0
		.amdhsa_enable_private_segment 0
		.amdhsa_system_sgpr_workgroup_id_x 1
		.amdhsa_system_sgpr_workgroup_id_y 1
		.amdhsa_system_sgpr_workgroup_id_z 1
		.amdhsa_system_sgpr_workgroup_info 0
		.amdhsa_system_vgpr_workitem_id 1
		.amdhsa_next_free_vgpr 6
		.amdhsa_next_free_sgpr 16
		.amdhsa_reserve_vcc 1
		.amdhsa_float_round_mode_32 0
		.amdhsa_float_round_mode_16_64 0
		.amdhsa_float_denorm_mode_32 3
		.amdhsa_float_denorm_mode_16_64 3
		.amdhsa_dx10_clamp 1
		.amdhsa_ieee_mode 1
		.amdhsa_fp16_overflow 0
		.amdhsa_workgroup_processor_mode 1
		.amdhsa_memory_ordered 1
		.amdhsa_forward_progress 0
		.amdhsa_shared_vgpr_count 0
		.amdhsa_exception_fp_ieee_invalid_op 0
		.amdhsa_exception_fp_denorm_src 0
		.amdhsa_exception_fp_ieee_div_zero 0
		.amdhsa_exception_fp_ieee_overflow 0
		.amdhsa_exception_fp_ieee_underflow 0
		.amdhsa_exception_fp_ieee_inexact 0
		.amdhsa_exception_int_div_zero 0
	.end_amdhsa_kernel
	.section	.text._ZN9rocsolver6v33100L8addmatA1IfPfEEviiT0_iilPT_,"axG",@progbits,_ZN9rocsolver6v33100L8addmatA1IfPfEEviiT0_iilPT_,comdat
.Lfunc_end14:
	.size	_ZN9rocsolver6v33100L8addmatA1IfPfEEviiT0_iilPT_, .Lfunc_end14-_ZN9rocsolver6v33100L8addmatA1IfPfEEviiT0_iilPT_
                                        ; -- End function
	.section	.AMDGPU.csdata,"",@progbits
; Kernel info:
; codeLenInByte = 336
; NumSgprs: 18
; NumVgprs: 6
; ScratchSize: 0
; MemoryBound: 0
; FloatMode: 240
; IeeeMode: 1
; LDSByteSize: 0 bytes/workgroup (compile time only)
; SGPRBlocks: 2
; VGPRBlocks: 0
; NumSGPRsForWavesPerEU: 18
; NumVGPRsForWavesPerEU: 6
; Occupancy: 16
; WaveLimiterHint : 0
; COMPUTE_PGM_RSRC2:SCRATCH_EN: 0
; COMPUTE_PGM_RSRC2:USER_SGPR: 13
; COMPUTE_PGM_RSRC2:TRAP_HANDLER: 0
; COMPUTE_PGM_RSRC2:TGID_X_EN: 1
; COMPUTE_PGM_RSRC2:TGID_Y_EN: 1
; COMPUTE_PGM_RSRC2:TGID_Z_EN: 1
; COMPUTE_PGM_RSRC2:TIDIG_COMP_CNT: 1
	.section	.text._ZN9rocsolver6v33100L8set_zeroIfPfEEviiT0_iil13rocblas_fill_,"axG",@progbits,_ZN9rocsolver6v33100L8set_zeroIfPfEEviiT0_iil13rocblas_fill_,comdat
	.globl	_ZN9rocsolver6v33100L8set_zeroIfPfEEviiT0_iil13rocblas_fill_ ; -- Begin function _ZN9rocsolver6v33100L8set_zeroIfPfEEviiT0_iil13rocblas_fill_
	.p2align	8
	.type	_ZN9rocsolver6v33100L8set_zeroIfPfEEviiT0_iil13rocblas_fill_,@function
_ZN9rocsolver6v33100L8set_zeroIfPfEEviiT0_iil13rocblas_fill_: ; @_ZN9rocsolver6v33100L8set_zeroIfPfEEviiT0_iil13rocblas_fill_
; %bb.0:
	s_clause 0x1
	s_load_b32 s4, s[0:1], 0x34
	s_load_b64 s[2:3], s[0:1], 0x0
	v_and_b32_e32 v2, 0x3ff, v0
	v_bfe_u32 v3, v0, 10, 10
	s_waitcnt lgkmcnt(0)
	s_lshr_b32 s5, s4, 16
	s_and_b32 s4, s4, 0xffff
	s_delay_alu instid0(VALU_DEP_1) | instid1(SALU_CYCLE_1)
	v_mad_u64_u32 v[0:1], null, s13, s4, v[2:3]
	v_mad_u64_u32 v[1:2], null, s14, s5, v[3:4]
	s_delay_alu instid0(VALU_DEP_2) | instskip(NEXT) | instid1(VALU_DEP_2)
	v_cmp_gt_u32_e32 vcc_lo, s2, v0
	v_cmp_gt_u32_e64 s2, s3, v1
	s_delay_alu instid0(VALU_DEP_1) | instskip(NEXT) | instid1(SALU_CYCLE_1)
	s_and_b32 s2, vcc_lo, s2
	s_and_saveexec_b32 s3, s2
	s_cbranch_execz .LBB15_12
; %bb.1:
	s_load_b32 s3, s[0:1], 0x20
	s_waitcnt lgkmcnt(0)
	s_cmpk_lt_i32 s3, 0x7a
	s_cbranch_scc1 .LBB15_4
; %bb.2:
	s_cmpk_gt_i32 s3, 0x7a
	s_cbranch_scc0 .LBB15_5
; %bb.3:
	s_cmpk_eq_i32 s3, 0x7b
	s_cselect_b32 s2, -1, 0
	s_cbranch_execz .LBB15_6
	s_branch .LBB15_7
.LBB15_4:
	s_mov_b32 s2, 0
	s_cbranch_execnz .LBB15_8
	s_branch .LBB15_10
.LBB15_5:
	s_mov_b32 s2, 0
.LBB15_6:
	v_cmp_gt_u32_e32 vcc_lo, v1, v0
	s_and_not1_b32 s2, s2, exec_lo
	s_and_b32 s4, vcc_lo, exec_lo
	s_delay_alu instid0(SALU_CYCLE_1)
	s_or_b32 s2, s2, s4
.LBB15_7:
	s_branch .LBB15_10
.LBB15_8:
	s_cmpk_eq_i32 s3, 0x79
	s_cbranch_scc0 .LBB15_10
; %bb.9:
	v_cmp_gt_u32_e32 vcc_lo, v0, v1
	s_and_not1_b32 s2, s2, exec_lo
	s_and_b32 s3, vcc_lo, exec_lo
	s_delay_alu instid0(SALU_CYCLE_1)
	s_or_b32 s2, s2, s3
.LBB15_10:
	s_delay_alu instid0(SALU_CYCLE_1)
	s_and_b32 exec_lo, exec_lo, s2
	s_cbranch_execz .LBB15_12
; %bb.11:
	s_clause 0x1
	s_load_b128 s[4:7], s[0:1], 0x8
	s_load_b64 s[0:1], s[0:1], 0x18
	s_waitcnt lgkmcnt(0)
	v_mad_u64_u32 v[2:3], null, v1, s7, v[0:1]
	s_mul_i32 s1, s15, s1
	s_mul_hi_u32 s2, s15, s0
	v_mov_b32_e32 v3, 0
	s_mul_i32 s0, s15, s0
	s_add_i32 s1, s2, s1
	s_ashr_i32 s3, s6, 31
	s_lshl_b64 s[0:1], s[0:1], 2
	s_mov_b32 s2, s6
	v_lshlrev_b64 v[0:1], 2, v[2:3]
	s_add_u32 s4, s4, s0
	s_addc_u32 s5, s5, s1
	s_lshl_b64 s[0:1], s[2:3], 2
	s_delay_alu instid0(SALU_CYCLE_1)
	s_add_u32 s0, s4, s0
	s_addc_u32 s1, s5, s1
	v_add_co_u32 v0, vcc_lo, s0, v0
	v_add_co_ci_u32_e32 v1, vcc_lo, s1, v1, vcc_lo
	global_store_b32 v[0:1], v3, off
.LBB15_12:
	s_nop 0
	s_sendmsg sendmsg(MSG_DEALLOC_VGPRS)
	s_endpgm
	.section	.rodata,"a",@progbits
	.p2align	6, 0x0
	.amdhsa_kernel _ZN9rocsolver6v33100L8set_zeroIfPfEEviiT0_iil13rocblas_fill_
		.amdhsa_group_segment_fixed_size 0
		.amdhsa_private_segment_fixed_size 0
		.amdhsa_kernarg_size 296
		.amdhsa_user_sgpr_count 13
		.amdhsa_user_sgpr_dispatch_ptr 0
		.amdhsa_user_sgpr_queue_ptr 0
		.amdhsa_user_sgpr_kernarg_segment_ptr 1
		.amdhsa_user_sgpr_dispatch_id 0
		.amdhsa_user_sgpr_private_segment_size 0
		.amdhsa_wavefront_size32 1
		.amdhsa_uses_dynamic_stack 0
		.amdhsa_enable_private_segment 0
		.amdhsa_system_sgpr_workgroup_id_x 1
		.amdhsa_system_sgpr_workgroup_id_y 1
		.amdhsa_system_sgpr_workgroup_id_z 1
		.amdhsa_system_sgpr_workgroup_info 0
		.amdhsa_system_vgpr_workitem_id 1
		.amdhsa_next_free_vgpr 5
		.amdhsa_next_free_sgpr 16
		.amdhsa_reserve_vcc 1
		.amdhsa_float_round_mode_32 0
		.amdhsa_float_round_mode_16_64 0
		.amdhsa_float_denorm_mode_32 3
		.amdhsa_float_denorm_mode_16_64 3
		.amdhsa_dx10_clamp 1
		.amdhsa_ieee_mode 1
		.amdhsa_fp16_overflow 0
		.amdhsa_workgroup_processor_mode 1
		.amdhsa_memory_ordered 1
		.amdhsa_forward_progress 0
		.amdhsa_shared_vgpr_count 0
		.amdhsa_exception_fp_ieee_invalid_op 0
		.amdhsa_exception_fp_denorm_src 0
		.amdhsa_exception_fp_ieee_div_zero 0
		.amdhsa_exception_fp_ieee_overflow 0
		.amdhsa_exception_fp_ieee_underflow 0
		.amdhsa_exception_fp_ieee_inexact 0
		.amdhsa_exception_int_div_zero 0
	.end_amdhsa_kernel
	.section	.text._ZN9rocsolver6v33100L8set_zeroIfPfEEviiT0_iil13rocblas_fill_,"axG",@progbits,_ZN9rocsolver6v33100L8set_zeroIfPfEEviiT0_iil13rocblas_fill_,comdat
.Lfunc_end15:
	.size	_ZN9rocsolver6v33100L8set_zeroIfPfEEviiT0_iil13rocblas_fill_, .Lfunc_end15-_ZN9rocsolver6v33100L8set_zeroIfPfEEviiT0_iil13rocblas_fill_
                                        ; -- End function
	.section	.AMDGPU.csdata,"",@progbits
; Kernel info:
; codeLenInByte = 356
; NumSgprs: 18
; NumVgprs: 5
; ScratchSize: 0
; MemoryBound: 0
; FloatMode: 240
; IeeeMode: 1
; LDSByteSize: 0 bytes/workgroup (compile time only)
; SGPRBlocks: 2
; VGPRBlocks: 0
; NumSGPRsForWavesPerEU: 18
; NumVGPRsForWavesPerEU: 5
; Occupancy: 16
; WaveLimiterHint : 0
; COMPUTE_PGM_RSRC2:SCRATCH_EN: 0
; COMPUTE_PGM_RSRC2:USER_SGPR: 13
; COMPUTE_PGM_RSRC2:TRAP_HANDLER: 0
; COMPUTE_PGM_RSRC2:TGID_X_EN: 1
; COMPUTE_PGM_RSRC2:TGID_Y_EN: 1
; COMPUTE_PGM_RSRC2:TGID_Z_EN: 1
; COMPUTE_PGM_RSRC2:TIDIG_COMP_CNT: 1
	.section	.text._ZN9rocsolver6v33100L16org2r_init_identIfPfEEviiiT0_iil,"axG",@progbits,_ZN9rocsolver6v33100L16org2r_init_identIfPfEEviiiT0_iil,comdat
	.globl	_ZN9rocsolver6v33100L16org2r_init_identIfPfEEviiiT0_iil ; -- Begin function _ZN9rocsolver6v33100L16org2r_init_identIfPfEEviiiT0_iil
	.p2align	8
	.type	_ZN9rocsolver6v33100L16org2r_init_identIfPfEEviiiT0_iil,@function
_ZN9rocsolver6v33100L16org2r_init_identIfPfEEviiiT0_iil: ; @_ZN9rocsolver6v33100L16org2r_init_identIfPfEEviiiT0_iil
; %bb.0:
	s_clause 0x1
	s_load_b32 s2, s[0:1], 0x34
	s_load_b128 s[4:7], s[0:1], 0x0
	v_and_b32_e32 v1, 0x3ff, v0
	v_bfe_u32 v0, v0, 10, 10
	s_waitcnt lgkmcnt(0)
	s_lshr_b32 s3, s2, 16
	s_and_b32 s2, s2, 0xffff
	s_delay_alu instid0(SALU_CYCLE_1) | instskip(SKIP_1) | instid1(VALU_DEP_2)
	v_mad_u64_u32 v[4:5], null, s13, s2, v[1:2]
	v_mad_u64_u32 v[2:3], null, s14, s3, v[0:1]
	v_cmp_gt_u32_e32 vcc_lo, s4, v4
	s_delay_alu instid0(VALU_DEP_2) | instskip(NEXT) | instid1(VALU_DEP_1)
	v_cmp_gt_u32_e64 s2, s5, v2
	s_and_b32 s2, vcc_lo, s2
	s_delay_alu instid0(SALU_CYCLE_1)
	s_and_saveexec_b32 s3, s2
	s_cbranch_execz .LBB16_5
; %bb.1:
	s_load_b64 s[2:3], s[0:1], 0x18
	s_mov_b32 s5, 0
	s_mov_b32 s4, exec_lo
                                        ; implicit-def: $vgpr5
                                        ; implicit-def: $vgpr0
	v_cmpx_ne_u32_e64 v4, v2
	s_xor_b32 s4, exec_lo, s4
	s_cbranch_execnz .LBB16_6
; %bb.2:
	s_and_not1_saveexec_b32 s4, s4
	s_cbranch_execnz .LBB16_13
.LBB16_3:
	s_or_b32 exec_lo, exec_lo, s4
	s_delay_alu instid0(SALU_CYCLE_1)
	s_and_b32 exec_lo, exec_lo, s5
	s_cbranch_execz .LBB16_5
.LBB16_4:
	s_clause 0x1
	s_load_b64 s[4:5], s[0:1], 0x20
	s_load_b64 s[0:1], s[0:1], 0x10
	v_mov_b32_e32 v1, 0
	s_delay_alu instid0(VALU_DEP_1)
	v_lshlrev_b64 v[0:1], 2, v[0:1]
	s_waitcnt lgkmcnt(0)
	s_mul_i32 s3, s15, s5
	s_mul_hi_u32 s5, s15, s4
	s_mul_i32 s4, s15, s4
	s_add_i32 s5, s5, s3
	s_ashr_i32 s3, s2, 31
	s_lshl_b64 s[4:5], s[4:5], 2
	s_delay_alu instid0(SALU_CYCLE_1) | instskip(SKIP_2) | instid1(SALU_CYCLE_1)
	s_add_u32 s4, s0, s4
	s_addc_u32 s5, s1, s5
	s_lshl_b64 s[0:1], s[2:3], 2
	s_add_u32 s0, s4, s0
	s_addc_u32 s1, s5, s1
	v_add_co_u32 v0, vcc_lo, s0, v0
	v_add_co_ci_u32_e32 v1, vcc_lo, s1, v1, vcc_lo
	global_store_b32 v[0:1], v5, off
.LBB16_5:
	s_nop 0
	s_sendmsg sendmsg(MSG_DEALLOC_VGPRS)
	s_endpgm
.LBB16_6:
	s_mov_b32 s8, exec_lo
                                        ; implicit-def: $sgpr7
                                        ; implicit-def: $vgpr0
	v_cmpx_le_u32_e64 v2, v4
	s_xor_b32 s8, exec_lo, s8
	s_cbranch_execz .LBB16_10
; %bb.7:
	v_cmp_le_u32_e32 vcc_lo, s6, v2
                                        ; implicit-def: $sgpr7
                                        ; implicit-def: $vgpr0
	s_and_saveexec_b32 s6, vcc_lo
	s_delay_alu instid0(SALU_CYCLE_1)
	s_xor_b32 s6, exec_lo, s6
	s_cbranch_execz .LBB16_9
; %bb.8:
	s_waitcnt lgkmcnt(0)
	v_mad_u64_u32 v[0:1], null, v2, s3, v[4:5]
	s_mov_b32 s5, exec_lo
	s_mov_b32 s7, 0
.LBB16_9:
	s_or_b32 exec_lo, exec_lo, s6
	s_delay_alu instid0(SALU_CYCLE_1)
	s_and_b32 s5, s5, exec_lo
                                        ; implicit-def: $vgpr4_vgpr5
                                        ; implicit-def: $vgpr2_vgpr3
.LBB16_10:
	s_or_saveexec_b32 s6, s8
	v_mov_b32_e32 v5, s7
	s_xor_b32 exec_lo, exec_lo, s6
	s_cbranch_execz .LBB16_12
; %bb.11:
	s_waitcnt lgkmcnt(0)
	s_delay_alu instid0(VALU_DEP_1)
	v_mad_u64_u32 v[0:1], null, v2, s3, v[4:5]
	v_mov_b32_e32 v5, 0
	s_or_b32 s5, s5, exec_lo
.LBB16_12:
	s_or_b32 exec_lo, exec_lo, s6
	s_delay_alu instid0(SALU_CYCLE_1)
	s_and_b32 s5, s5, exec_lo
                                        ; implicit-def: $vgpr2_vgpr3
	s_and_not1_saveexec_b32 s4, s4
	s_cbranch_execz .LBB16_3
.LBB16_13:
	s_waitcnt lgkmcnt(0)
	v_mad_u64_u32 v[0:1], null, v2, s3, v[2:3]
	v_mov_b32_e32 v5, 1.0
	s_or_b32 s5, s5, exec_lo
	s_or_b32 exec_lo, exec_lo, s4
	s_delay_alu instid0(SALU_CYCLE_1)
	s_and_b32 exec_lo, exec_lo, s5
	s_cbranch_execnz .LBB16_4
	s_branch .LBB16_5
	.section	.rodata,"a",@progbits
	.p2align	6, 0x0
	.amdhsa_kernel _ZN9rocsolver6v33100L16org2r_init_identIfPfEEviiiT0_iil
		.amdhsa_group_segment_fixed_size 0
		.amdhsa_private_segment_fixed_size 0
		.amdhsa_kernarg_size 296
		.amdhsa_user_sgpr_count 13
		.amdhsa_user_sgpr_dispatch_ptr 0
		.amdhsa_user_sgpr_queue_ptr 0
		.amdhsa_user_sgpr_kernarg_segment_ptr 1
		.amdhsa_user_sgpr_dispatch_id 0
		.amdhsa_user_sgpr_private_segment_size 0
		.amdhsa_wavefront_size32 1
		.amdhsa_uses_dynamic_stack 0
		.amdhsa_enable_private_segment 0
		.amdhsa_system_sgpr_workgroup_id_x 1
		.amdhsa_system_sgpr_workgroup_id_y 1
		.amdhsa_system_sgpr_workgroup_id_z 1
		.amdhsa_system_sgpr_workgroup_info 0
		.amdhsa_system_vgpr_workitem_id 1
		.amdhsa_next_free_vgpr 6
		.amdhsa_next_free_sgpr 16
		.amdhsa_reserve_vcc 1
		.amdhsa_float_round_mode_32 0
		.amdhsa_float_round_mode_16_64 0
		.amdhsa_float_denorm_mode_32 3
		.amdhsa_float_denorm_mode_16_64 3
		.amdhsa_dx10_clamp 1
		.amdhsa_ieee_mode 1
		.amdhsa_fp16_overflow 0
		.amdhsa_workgroup_processor_mode 1
		.amdhsa_memory_ordered 1
		.amdhsa_forward_progress 0
		.amdhsa_shared_vgpr_count 0
		.amdhsa_exception_fp_ieee_invalid_op 0
		.amdhsa_exception_fp_denorm_src 0
		.amdhsa_exception_fp_ieee_div_zero 0
		.amdhsa_exception_fp_ieee_overflow 0
		.amdhsa_exception_fp_ieee_underflow 0
		.amdhsa_exception_fp_ieee_inexact 0
		.amdhsa_exception_int_div_zero 0
	.end_amdhsa_kernel
	.section	.text._ZN9rocsolver6v33100L16org2r_init_identIfPfEEviiiT0_iil,"axG",@progbits,_ZN9rocsolver6v33100L16org2r_init_identIfPfEEviiiT0_iil,comdat
.Lfunc_end16:
	.size	_ZN9rocsolver6v33100L16org2r_init_identIfPfEEviiiT0_iil, .Lfunc_end16-_ZN9rocsolver6v33100L16org2r_init_identIfPfEEviiiT0_iil
                                        ; -- End function
	.section	.AMDGPU.csdata,"",@progbits
; Kernel info:
; codeLenInByte = 452
; NumSgprs: 18
; NumVgprs: 6
; ScratchSize: 0
; MemoryBound: 0
; FloatMode: 240
; IeeeMode: 1
; LDSByteSize: 0 bytes/workgroup (compile time only)
; SGPRBlocks: 2
; VGPRBlocks: 0
; NumSGPRsForWavesPerEU: 18
; NumVGPRsForWavesPerEU: 6
; Occupancy: 16
; WaveLimiterHint : 0
; COMPUTE_PGM_RSRC2:SCRATCH_EN: 0
; COMPUTE_PGM_RSRC2:USER_SGPR: 13
; COMPUTE_PGM_RSRC2:TRAP_HANDLER: 0
; COMPUTE_PGM_RSRC2:TGID_X_EN: 1
; COMPUTE_PGM_RSRC2:TGID_Y_EN: 1
; COMPUTE_PGM_RSRC2:TGID_Z_EN: 1
; COMPUTE_PGM_RSRC2:TIDIG_COMP_CNT: 1
	.section	.text._ZN9rocsolver6v33100L12subtract_tauIfPfEEviiT0_iilPT_l,"axG",@progbits,_ZN9rocsolver6v33100L12subtract_tauIfPfEEviiT0_iilPT_l,comdat
	.globl	_ZN9rocsolver6v33100L12subtract_tauIfPfEEviiT0_iilPT_l ; -- Begin function _ZN9rocsolver6v33100L12subtract_tauIfPfEEviiT0_iilPT_l
	.p2align	8
	.type	_ZN9rocsolver6v33100L12subtract_tauIfPfEEviiT0_iilPT_l,@function
_ZN9rocsolver6v33100L12subtract_tauIfPfEEviiT0_iilPT_l: ; @_ZN9rocsolver6v33100L12subtract_tauIfPfEEviiT0_iilPT_l
; %bb.0:
	s_clause 0x3
	s_load_b64 s[8:9], s[0:1], 0x10
	s_load_b128 s[4:7], s[0:1], 0x18
	s_load_b64 s[10:11], s[0:1], 0x28
	s_load_b128 s[0:3], s[0:1], 0x0
	s_waitcnt lgkmcnt(0)
	s_ashr_i32 s13, s8, 31
	s_mov_b32 s12, s8
	s_mul_i32 s5, s15, s5
	s_mul_hi_u32 s8, s15, s4
	s_mul_i32 s4, s15, s4
	s_add_i32 s5, s8, s5
	s_mul_i32 s8, s15, s11
	s_lshl_b64 s[4:5], s[4:5], 2
	s_mul_hi_u32 s11, s15, s10
	s_add_u32 s14, s2, s4
	s_addc_u32 s5, s3, s5
	s_lshl_b64 s[2:3], s[12:13], 2
	s_mul_i32 s4, s15, s10
	s_add_u32 s10, s14, s2
	s_addc_u32 s12, s5, s3
	s_add_i32 s5, s11, s8
	s_mul_i32 s1, s9, s1
	s_lshl_b64 s[2:3], s[4:5], 2
	s_delay_alu instid0(SALU_CYCLE_1) | instskip(SKIP_4) | instid1(SALU_CYCLE_1)
	s_add_u32 s2, s6, s2
	s_addc_u32 s3, s7, s3
	s_add_i32 s0, s1, s0
	s_load_b32 s4, s[2:3], 0x0
	s_ashr_i32 s1, s0, 31
	s_lshl_b64 s[0:1], s[0:1], 2
	s_waitcnt lgkmcnt(0)
	s_xor_b32 s5, s4, 0x80000000
	s_delay_alu instid0(SALU_CYCLE_1)
	v_dual_mov_b32 v0, 0 :: v_dual_mov_b32 v1, s5
	v_sub_f32_e64 v2, 1.0, s4
	s_add_u32 s0, s10, s0
	s_addc_u32 s1, s12, s1
	s_clause 0x1
	global_store_b32 v0, v1, s[2:3]
	global_store_b32 v0, v2, s[0:1]
	s_nop 0
	s_sendmsg sendmsg(MSG_DEALLOC_VGPRS)
	s_endpgm
	.section	.rodata,"a",@progbits
	.p2align	6, 0x0
	.amdhsa_kernel _ZN9rocsolver6v33100L12subtract_tauIfPfEEviiT0_iilPT_l
		.amdhsa_group_segment_fixed_size 0
		.amdhsa_private_segment_fixed_size 0
		.amdhsa_kernarg_size 48
		.amdhsa_user_sgpr_count 15
		.amdhsa_user_sgpr_dispatch_ptr 0
		.amdhsa_user_sgpr_queue_ptr 0
		.amdhsa_user_sgpr_kernarg_segment_ptr 1
		.amdhsa_user_sgpr_dispatch_id 0
		.amdhsa_user_sgpr_private_segment_size 0
		.amdhsa_wavefront_size32 1
		.amdhsa_uses_dynamic_stack 0
		.amdhsa_enable_private_segment 0
		.amdhsa_system_sgpr_workgroup_id_x 1
		.amdhsa_system_sgpr_workgroup_id_y 0
		.amdhsa_system_sgpr_workgroup_id_z 0
		.amdhsa_system_sgpr_workgroup_info 0
		.amdhsa_system_vgpr_workitem_id 0
		.amdhsa_next_free_vgpr 3
		.amdhsa_next_free_sgpr 16
		.amdhsa_reserve_vcc 0
		.amdhsa_float_round_mode_32 0
		.amdhsa_float_round_mode_16_64 0
		.amdhsa_float_denorm_mode_32 3
		.amdhsa_float_denorm_mode_16_64 3
		.amdhsa_dx10_clamp 1
		.amdhsa_ieee_mode 1
		.amdhsa_fp16_overflow 0
		.amdhsa_workgroup_processor_mode 1
		.amdhsa_memory_ordered 1
		.amdhsa_forward_progress 0
		.amdhsa_shared_vgpr_count 0
		.amdhsa_exception_fp_ieee_invalid_op 0
		.amdhsa_exception_fp_denorm_src 0
		.amdhsa_exception_fp_ieee_div_zero 0
		.amdhsa_exception_fp_ieee_overflow 0
		.amdhsa_exception_fp_ieee_underflow 0
		.amdhsa_exception_fp_ieee_inexact 0
		.amdhsa_exception_int_div_zero 0
	.end_amdhsa_kernel
	.section	.text._ZN9rocsolver6v33100L12subtract_tauIfPfEEviiT0_iilPT_l,"axG",@progbits,_ZN9rocsolver6v33100L12subtract_tauIfPfEEviiT0_iilPT_l,comdat
.Lfunc_end17:
	.size	_ZN9rocsolver6v33100L12subtract_tauIfPfEEviiT0_iilPT_l, .Lfunc_end17-_ZN9rocsolver6v33100L12subtract_tauIfPfEEviiT0_iilPT_l
                                        ; -- End function
	.section	.AMDGPU.csdata,"",@progbits
; Kernel info:
; codeLenInByte = 216
; NumSgprs: 16
; NumVgprs: 3
; ScratchSize: 0
; MemoryBound: 0
; FloatMode: 240
; IeeeMode: 1
; LDSByteSize: 0 bytes/workgroup (compile time only)
; SGPRBlocks: 1
; VGPRBlocks: 0
; NumSGPRsForWavesPerEU: 16
; NumVGPRsForWavesPerEU: 3
; Occupancy: 16
; WaveLimiterHint : 0
; COMPUTE_PGM_RSRC2:SCRATCH_EN: 0
; COMPUTE_PGM_RSRC2:USER_SGPR: 15
; COMPUTE_PGM_RSRC2:TRAP_HANDLER: 0
; COMPUTE_PGM_RSRC2:TGID_X_EN: 1
; COMPUTE_PGM_RSRC2:TGID_Y_EN: 0
; COMPUTE_PGM_RSRC2:TGID_Z_EN: 0
; COMPUTE_PGM_RSRC2:TIDIG_COMP_CNT: 0
	.section	.text._ZN9rocsolver6v33100L6restauIfEEviPT_l,"axG",@progbits,_ZN9rocsolver6v33100L6restauIfEEviPT_l,comdat
	.globl	_ZN9rocsolver6v33100L6restauIfEEviPT_l ; -- Begin function _ZN9rocsolver6v33100L6restauIfEEviPT_l
	.p2align	8
	.type	_ZN9rocsolver6v33100L6restauIfEEviPT_l,@function
_ZN9rocsolver6v33100L6restauIfEEviPT_l: ; @_ZN9rocsolver6v33100L6restauIfEEviPT_l
; %bb.0:
	s_clause 0x1
	s_load_b32 s2, s[0:1], 0x24
	s_load_b32 s3, s[0:1], 0x0
	s_waitcnt lgkmcnt(0)
	s_and_b32 s2, s2, 0xffff
	s_delay_alu instid0(SALU_CYCLE_1) | instskip(SKIP_1) | instid1(VALU_DEP_1)
	v_mad_u64_u32 v[1:2], null, s14, s2, v[0:1]
	s_mov_b32 s2, exec_lo
	v_cmpx_gt_u32_e64 s3, v1
	s_cbranch_execz .LBB18_2
; %bb.1:
	s_load_b128 s[0:3], s[0:1], 0x8
	v_mov_b32_e32 v2, 0
	s_delay_alu instid0(VALU_DEP_1)
	v_lshlrev_b64 v[0:1], 2, v[1:2]
	s_waitcnt lgkmcnt(0)
	s_mul_i32 s3, s15, s3
	s_mul_hi_u32 s4, s15, s2
	s_mul_i32 s2, s15, s2
	s_add_i32 s3, s4, s3
	s_delay_alu instid0(SALU_CYCLE_1) | instskip(NEXT) | instid1(SALU_CYCLE_1)
	s_lshl_b64 s[2:3], s[2:3], 2
	s_add_u32 s0, s0, s2
	s_addc_u32 s1, s1, s3
	v_add_co_u32 v0, vcc_lo, s0, v0
	v_add_co_ci_u32_e32 v1, vcc_lo, s1, v1, vcc_lo
	global_load_b32 v2, v[0:1], off
	s_waitcnt vmcnt(0)
	v_xor_b32_e32 v2, 0x80000000, v2
	global_store_b32 v[0:1], v2, off
.LBB18_2:
	s_nop 0
	s_sendmsg sendmsg(MSG_DEALLOC_VGPRS)
	s_endpgm
	.section	.rodata,"a",@progbits
	.p2align	6, 0x0
	.amdhsa_kernel _ZN9rocsolver6v33100L6restauIfEEviPT_l
		.amdhsa_group_segment_fixed_size 0
		.amdhsa_private_segment_fixed_size 0
		.amdhsa_kernarg_size 280
		.amdhsa_user_sgpr_count 14
		.amdhsa_user_sgpr_dispatch_ptr 0
		.amdhsa_user_sgpr_queue_ptr 0
		.amdhsa_user_sgpr_kernarg_segment_ptr 1
		.amdhsa_user_sgpr_dispatch_id 0
		.amdhsa_user_sgpr_private_segment_size 0
		.amdhsa_wavefront_size32 1
		.amdhsa_uses_dynamic_stack 0
		.amdhsa_enable_private_segment 0
		.amdhsa_system_sgpr_workgroup_id_x 1
		.amdhsa_system_sgpr_workgroup_id_y 1
		.amdhsa_system_sgpr_workgroup_id_z 0
		.amdhsa_system_sgpr_workgroup_info 0
		.amdhsa_system_vgpr_workitem_id 0
		.amdhsa_next_free_vgpr 3
		.amdhsa_next_free_sgpr 16
		.amdhsa_reserve_vcc 1
		.amdhsa_float_round_mode_32 0
		.amdhsa_float_round_mode_16_64 0
		.amdhsa_float_denorm_mode_32 3
		.amdhsa_float_denorm_mode_16_64 3
		.amdhsa_dx10_clamp 1
		.amdhsa_ieee_mode 1
		.amdhsa_fp16_overflow 0
		.amdhsa_workgroup_processor_mode 1
		.amdhsa_memory_ordered 1
		.amdhsa_forward_progress 0
		.amdhsa_shared_vgpr_count 0
		.amdhsa_exception_fp_ieee_invalid_op 0
		.amdhsa_exception_fp_denorm_src 0
		.amdhsa_exception_fp_ieee_div_zero 0
		.amdhsa_exception_fp_ieee_overflow 0
		.amdhsa_exception_fp_ieee_underflow 0
		.amdhsa_exception_fp_ieee_inexact 0
		.amdhsa_exception_int_div_zero 0
	.end_amdhsa_kernel
	.section	.text._ZN9rocsolver6v33100L6restauIfEEviPT_l,"axG",@progbits,_ZN9rocsolver6v33100L6restauIfEEviPT_l,comdat
.Lfunc_end18:
	.size	_ZN9rocsolver6v33100L6restauIfEEviPT_l, .Lfunc_end18-_ZN9rocsolver6v33100L6restauIfEEviPT_l
                                        ; -- End function
	.section	.AMDGPU.csdata,"",@progbits
; Kernel info:
; codeLenInByte = 172
; NumSgprs: 18
; NumVgprs: 3
; ScratchSize: 0
; MemoryBound: 0
; FloatMode: 240
; IeeeMode: 1
; LDSByteSize: 0 bytes/workgroup (compile time only)
; SGPRBlocks: 2
; VGPRBlocks: 0
; NumSGPRsForWavesPerEU: 18
; NumVGPRsForWavesPerEU: 3
; Occupancy: 16
; WaveLimiterHint : 0
; COMPUTE_PGM_RSRC2:SCRATCH_EN: 0
; COMPUTE_PGM_RSRC2:USER_SGPR: 14
; COMPUTE_PGM_RSRC2:TRAP_HANDLER: 0
; COMPUTE_PGM_RSRC2:TGID_X_EN: 1
; COMPUTE_PGM_RSRC2:TGID_Y_EN: 1
; COMPUTE_PGM_RSRC2:TGID_Z_EN: 0
; COMPUTE_PGM_RSRC2:TIDIG_COMP_CNT: 0
	.section	.text._ZN9rocsolver6v33100L15copyshift_rightIfPfEEvbiT0_iilPT_iil,"axG",@progbits,_ZN9rocsolver6v33100L15copyshift_rightIfPfEEvbiT0_iilPT_iil,comdat
	.globl	_ZN9rocsolver6v33100L15copyshift_rightIfPfEEvbiT0_iilPT_iil ; -- Begin function _ZN9rocsolver6v33100L15copyshift_rightIfPfEEvbiT0_iilPT_iil
	.p2align	8
	.type	_ZN9rocsolver6v33100L15copyshift_rightIfPfEEvbiT0_iilPT_iil,@function
_ZN9rocsolver6v33100L15copyshift_rightIfPfEEvbiT0_iilPT_iil: ; @_ZN9rocsolver6v33100L15copyshift_rightIfPfEEvbiT0_iilPT_iil
; %bb.0:
	s_clause 0x3
	s_load_b128 s[8:11], s[0:1], 0x0
	s_load_b32 s2, s[0:1], 0x44
	s_load_b128 s[4:7], s[0:1], 0x18
	s_load_b64 s[16:17], s[0:1], 0x10
	v_bfe_u32 v2, v0, 10, 10
	v_and_b32_e32 v3, 0x3ff, v0
	s_waitcnt lgkmcnt(0)
	s_bitcmp1_b32 s8, 0
	s_cselect_b32 s3, -1, 0
	s_lshr_b32 s8, s2, 16
	s_and_b32 s2, s2, 0xffff
	v_mad_u64_u32 v[0:1], null, s14, s8, v[2:3]
	v_mad_u64_u32 v[1:2], null, s13, s2, v[3:4]
	s_mul_i32 s2, s15, s5
	s_mul_hi_u32 s5, s15, s4
	s_mul_i32 s4, s15, s4
	s_add_i32 s5, s5, s2
	s_xor_b32 s8, s3, -1
	s_lshl_b64 s[4:5], s[4:5], 2
	s_delay_alu instid0(VALU_DEP_1)
	v_or_b32_e32 v2, v1, v0
	s_ashr_i32 s3, s16, 31
	s_mov_b32 s2, s16
	s_add_u32 s4, s10, s4
	s_addc_u32 s5, s11, s5
	v_cmp_eq_u32_e32 vcc_lo, 0, v2
	s_lshl_b64 s[2:3], s[2:3], 2
	s_delay_alu instid0(SALU_CYCLE_1) | instskip(SKIP_2) | instid1(SALU_CYCLE_1)
	s_add_u32 s4, s4, s2
	s_addc_u32 s5, s5, s3
	s_and_b32 s3, vcc_lo, s8
	s_and_saveexec_b32 s2, s3
	s_cbranch_execz .LBB19_2
; %bb.1:
	v_dual_mov_b32 v2, 0 :: v_dual_mov_b32 v3, 1.0
	global_store_b32 v2, v3, s[4:5]
.LBB19_2:
	s_or_b32 exec_lo, exec_lo, s2
	v_max_u32_e32 v2, v0, v1
	v_cmp_le_u32_e64 s2, v0, v1
	s_delay_alu instid0(VALU_DEP_2) | instskip(NEXT) | instid1(VALU_DEP_2)
	v_cmp_gt_u32_e32 vcc_lo, s9, v2
	s_and_b32 s2, s2, vcc_lo
	s_delay_alu instid0(SALU_CYCLE_1)
	s_and_saveexec_b32 s3, s2
	s_cbranch_execz .LBB19_13
; %bb.3:
	s_load_b128 s[0:3], s[0:1], 0x28
	v_mad_u64_u32 v[2:3], null, v0, v0, v[0:1]
	s_delay_alu instid0(VALU_DEP_1)
	v_lshrrev_b32_e32 v3, 1, v2
	s_waitcnt lgkmcnt(0)
	s_mul_i32 s3, s15, s3
	s_mul_hi_u32 s9, s15, s2
	s_mul_i32 s2, s15, s2
	s_add_i32 s3, s9, s3
	s_ashr_i32 s11, s0, 31
	s_lshl_b64 s[2:3], s[2:3], 2
	s_mov_b32 s10, s0
	s_add_u32 s0, s6, s2
	s_addc_u32 s6, s7, s3
	s_lshl_b64 s[2:3], s[10:11], 2
	s_delay_alu instid0(SALU_CYCLE_1)
	s_add_u32 s2, s0, s2
	s_addc_u32 s3, s6, s3
	s_and_b32 vcc_lo, exec_lo, s8
	s_cbranch_vccz .LBB19_7
; %bb.4:
	v_mad_u64_u32 v[4:5], null, v0, s1, v[1:2]
	v_mov_b32_e32 v6, 0
	s_mov_b32 s6, 0
	s_mov_b32 s0, 0
	s_mov_b32 s8, exec_lo
                                        ; implicit-def: $sgpr7
	s_delay_alu instid0(VALU_DEP_2) | instskip(NEXT) | instid1(VALU_DEP_1)
	v_sub_nc_u32_e32 v5, v4, v3
	v_lshlrev_b64 v[4:5], 2, v[5:6]
	s_delay_alu instid0(VALU_DEP_1) | instskip(NEXT) | instid1(VALU_DEP_2)
	v_add_co_u32 v4, vcc_lo, s2, v4
	v_add_co_ci_u32_e32 v5, vcc_lo, s3, v5, vcc_lo
	global_load_b32 v2, v[4:5], off
	v_mul_lo_u32 v4, v0, s17
	s_delay_alu instid0(VALU_DEP_1) | instskip(NEXT) | instid1(VALU_DEP_1)
	v_add3_u32 v5, v1, v4, 1
	v_lshlrev_b64 v[5:6], 2, v[5:6]
	s_delay_alu instid0(VALU_DEP_1) | instskip(NEXT) | instid1(VALU_DEP_2)
	v_add_co_u32 v5, vcc_lo, s4, v5
	v_add_co_ci_u32_e32 v6, vcc_lo, s5, v6, vcc_lo
	s_waitcnt vmcnt(0)
	global_store_b32 v[5:6], v2, off
                                        ; implicit-def: $vgpr2
	v_cmpx_eq_u32_e64 v1, v0
	s_xor_b32 s8, exec_lo, s8
; %bb.5:
	s_mov_b32 s0, exec_lo
	v_add_nc_u32_e32 v2, s17, v4
	s_mov_b32 s7, 0
; %bb.6:
	s_or_b32 exec_lo, exec_lo, s8
	v_mov_b32_e32 v4, s7
	s_and_b32 vcc_lo, exec_lo, s6
	s_cbranch_vccnz .LBB19_8
	s_branch .LBB19_11
.LBB19_7:
	s_mov_b32 s0, 0
                                        ; implicit-def: $sgpr7
                                        ; implicit-def: $vgpr2
	v_mov_b32_e32 v4, s7
	s_cbranch_execz .LBB19_11
.LBB19_8:
	v_mov_b32_e32 v4, 0
	s_mov_b32 s0, exec_lo
	v_cmpx_ne_u32_e32 0, v0
	s_cbranch_execz .LBB19_10
; %bb.9:
	v_dual_mov_b32 v5, 0 :: v_dual_add_nc_u32 v2, -1, v0
	s_delay_alu instid0(VALU_DEP_1) | instskip(NEXT) | instid1(VALU_DEP_1)
	v_mul_lo_u32 v2, v2, s17
	v_add3_u32 v4, v1, v2, 1
	s_delay_alu instid0(VALU_DEP_1) | instskip(NEXT) | instid1(VALU_DEP_1)
	v_lshlrev_b64 v[4:5], 2, v[4:5]
	v_add_co_u32 v4, vcc_lo, s4, v4
	s_delay_alu instid0(VALU_DEP_2)
	v_add_co_ci_u32_e32 v5, vcc_lo, s5, v5, vcc_lo
	global_load_b32 v4, v[4:5], off
.LBB19_10:
	s_or_b32 exec_lo, exec_lo, s0
	v_mad_u64_u32 v[5:6], null, v0, s1, v[1:2]
	s_mov_b32 s0, -1
	s_mov_b64 s[4:5], s[2:3]
	s_delay_alu instid0(VALU_DEP_1)
	v_sub_nc_u32_e32 v2, v5, v3
.LBB19_11:
	s_and_b32 exec_lo, exec_lo, s0
	s_cbranch_execz .LBB19_13
; %bb.12:
	v_mov_b32_e32 v3, 0
	s_delay_alu instid0(VALU_DEP_1) | instskip(NEXT) | instid1(VALU_DEP_1)
	v_lshlrev_b64 v[0:1], 2, v[2:3]
	v_add_co_u32 v0, vcc_lo, s4, v0
	s_delay_alu instid0(VALU_DEP_2)
	v_add_co_ci_u32_e32 v1, vcc_lo, s5, v1, vcc_lo
	s_waitcnt vmcnt(0)
	global_store_b32 v[0:1], v4, off
.LBB19_13:
	s_nop 0
	s_sendmsg sendmsg(MSG_DEALLOC_VGPRS)
	s_endpgm
	.section	.rodata,"a",@progbits
	.p2align	6, 0x0
	.amdhsa_kernel _ZN9rocsolver6v33100L15copyshift_rightIfPfEEvbiT0_iilPT_iil
		.amdhsa_group_segment_fixed_size 0
		.amdhsa_private_segment_fixed_size 0
		.amdhsa_kernarg_size 312
		.amdhsa_user_sgpr_count 13
		.amdhsa_user_sgpr_dispatch_ptr 0
		.amdhsa_user_sgpr_queue_ptr 0
		.amdhsa_user_sgpr_kernarg_segment_ptr 1
		.amdhsa_user_sgpr_dispatch_id 0
		.amdhsa_user_sgpr_private_segment_size 0
		.amdhsa_wavefront_size32 1
		.amdhsa_uses_dynamic_stack 0
		.amdhsa_enable_private_segment 0
		.amdhsa_system_sgpr_workgroup_id_x 1
		.amdhsa_system_sgpr_workgroup_id_y 1
		.amdhsa_system_sgpr_workgroup_id_z 1
		.amdhsa_system_sgpr_workgroup_info 0
		.amdhsa_system_vgpr_workitem_id 1
		.amdhsa_next_free_vgpr 7
		.amdhsa_next_free_sgpr 18
		.amdhsa_reserve_vcc 1
		.amdhsa_float_round_mode_32 0
		.amdhsa_float_round_mode_16_64 0
		.amdhsa_float_denorm_mode_32 3
		.amdhsa_float_denorm_mode_16_64 3
		.amdhsa_dx10_clamp 1
		.amdhsa_ieee_mode 1
		.amdhsa_fp16_overflow 0
		.amdhsa_workgroup_processor_mode 1
		.amdhsa_memory_ordered 1
		.amdhsa_forward_progress 0
		.amdhsa_shared_vgpr_count 0
		.amdhsa_exception_fp_ieee_invalid_op 0
		.amdhsa_exception_fp_denorm_src 0
		.amdhsa_exception_fp_ieee_div_zero 0
		.amdhsa_exception_fp_ieee_overflow 0
		.amdhsa_exception_fp_ieee_underflow 0
		.amdhsa_exception_fp_ieee_inexact 0
		.amdhsa_exception_int_div_zero 0
	.end_amdhsa_kernel
	.section	.text._ZN9rocsolver6v33100L15copyshift_rightIfPfEEvbiT0_iilPT_iil,"axG",@progbits,_ZN9rocsolver6v33100L15copyshift_rightIfPfEEvbiT0_iilPT_iil,comdat
.Lfunc_end19:
	.size	_ZN9rocsolver6v33100L15copyshift_rightIfPfEEvbiT0_iilPT_iil, .Lfunc_end19-_ZN9rocsolver6v33100L15copyshift_rightIfPfEEvbiT0_iilPT_iil
                                        ; -- End function
	.section	.AMDGPU.csdata,"",@progbits
; Kernel info:
; codeLenInByte = 664
; NumSgprs: 20
; NumVgprs: 7
; ScratchSize: 0
; MemoryBound: 0
; FloatMode: 240
; IeeeMode: 1
; LDSByteSize: 0 bytes/workgroup (compile time only)
; SGPRBlocks: 2
; VGPRBlocks: 0
; NumSGPRsForWavesPerEU: 20
; NumVGPRsForWavesPerEU: 7
; Occupancy: 16
; WaveLimiterHint : 0
; COMPUTE_PGM_RSRC2:SCRATCH_EN: 0
; COMPUTE_PGM_RSRC2:USER_SGPR: 13
; COMPUTE_PGM_RSRC2:TRAP_HANDLER: 0
; COMPUTE_PGM_RSRC2:TGID_X_EN: 1
; COMPUTE_PGM_RSRC2:TGID_Y_EN: 1
; COMPUTE_PGM_RSRC2:TGID_Z_EN: 1
; COMPUTE_PGM_RSRC2:TIDIG_COMP_CNT: 1
	.section	.text._ZN9rocsolver6v33100L16orgl2_init_identIfPfEEviiiT0_iil,"axG",@progbits,_ZN9rocsolver6v33100L16orgl2_init_identIfPfEEviiiT0_iil,comdat
	.globl	_ZN9rocsolver6v33100L16orgl2_init_identIfPfEEviiiT0_iil ; -- Begin function _ZN9rocsolver6v33100L16orgl2_init_identIfPfEEviiiT0_iil
	.p2align	8
	.type	_ZN9rocsolver6v33100L16orgl2_init_identIfPfEEviiiT0_iil,@function
_ZN9rocsolver6v33100L16orgl2_init_identIfPfEEviiiT0_iil: ; @_ZN9rocsolver6v33100L16orgl2_init_identIfPfEEviiiT0_iil
; %bb.0:
	s_clause 0x1
	s_load_b32 s2, s[0:1], 0x34
	s_load_b128 s[4:7], s[0:1], 0x0
	v_and_b32_e32 v1, 0x3ff, v0
	v_bfe_u32 v0, v0, 10, 10
	s_waitcnt lgkmcnt(0)
	s_lshr_b32 s3, s2, 16
	s_and_b32 s2, s2, 0xffff
	s_delay_alu instid0(SALU_CYCLE_1) | instskip(SKIP_1) | instid1(VALU_DEP_2)
	v_mad_u64_u32 v[4:5], null, s13, s2, v[1:2]
	v_mad_u64_u32 v[2:3], null, s14, s3, v[0:1]
	v_cmp_gt_u32_e32 vcc_lo, s4, v4
	s_delay_alu instid0(VALU_DEP_2) | instskip(NEXT) | instid1(VALU_DEP_1)
	v_cmp_gt_u32_e64 s2, s5, v2
	s_and_b32 s2, vcc_lo, s2
	s_delay_alu instid0(SALU_CYCLE_1)
	s_and_saveexec_b32 s3, s2
	s_cbranch_execz .LBB20_5
; %bb.1:
	s_load_b64 s[2:3], s[0:1], 0x18
	s_mov_b32 s5, 0
	s_mov_b32 s4, exec_lo
                                        ; implicit-def: $vgpr5
                                        ; implicit-def: $vgpr0
	v_cmpx_ne_u32_e64 v4, v2
	s_xor_b32 s4, exec_lo, s4
	s_cbranch_execnz .LBB20_6
; %bb.2:
	s_and_not1_saveexec_b32 s4, s4
	s_cbranch_execnz .LBB20_13
.LBB20_3:
	s_or_b32 exec_lo, exec_lo, s4
	s_delay_alu instid0(SALU_CYCLE_1)
	s_and_b32 exec_lo, exec_lo, s5
	s_cbranch_execz .LBB20_5
.LBB20_4:
	s_clause 0x1
	s_load_b64 s[4:5], s[0:1], 0x20
	s_load_b64 s[0:1], s[0:1], 0x10
	v_mov_b32_e32 v1, 0
	s_delay_alu instid0(VALU_DEP_1)
	v_lshlrev_b64 v[0:1], 2, v[0:1]
	s_waitcnt lgkmcnt(0)
	s_mul_i32 s3, s15, s5
	s_mul_hi_u32 s5, s15, s4
	s_mul_i32 s4, s15, s4
	s_add_i32 s5, s5, s3
	s_ashr_i32 s3, s2, 31
	s_lshl_b64 s[4:5], s[4:5], 2
	s_delay_alu instid0(SALU_CYCLE_1) | instskip(SKIP_2) | instid1(SALU_CYCLE_1)
	s_add_u32 s4, s0, s4
	s_addc_u32 s5, s1, s5
	s_lshl_b64 s[0:1], s[2:3], 2
	s_add_u32 s0, s4, s0
	s_addc_u32 s1, s5, s1
	v_add_co_u32 v0, vcc_lo, s0, v0
	v_add_co_ci_u32_e32 v1, vcc_lo, s1, v1, vcc_lo
	global_store_b32 v[0:1], v5, off
.LBB20_5:
	s_nop 0
	s_sendmsg sendmsg(MSG_DEALLOC_VGPRS)
	s_endpgm
.LBB20_6:
	s_mov_b32 s8, exec_lo
                                        ; implicit-def: $sgpr7
                                        ; implicit-def: $vgpr0
	v_cmpx_ge_u32_e64 v2, v4
	s_xor_b32 s8, exec_lo, s8
	s_cbranch_execz .LBB20_10
; %bb.7:
	v_cmp_le_u32_e32 vcc_lo, s6, v4
                                        ; implicit-def: $sgpr7
                                        ; implicit-def: $vgpr0
	s_and_saveexec_b32 s6, vcc_lo
	s_delay_alu instid0(SALU_CYCLE_1)
	s_xor_b32 s6, exec_lo, s6
	s_cbranch_execz .LBB20_9
; %bb.8:
	s_waitcnt lgkmcnt(0)
	v_mad_u64_u32 v[0:1], null, v2, s3, v[4:5]
	s_mov_b32 s5, exec_lo
	s_mov_b32 s7, 0
.LBB20_9:
	s_or_b32 exec_lo, exec_lo, s6
	s_delay_alu instid0(SALU_CYCLE_1)
	s_and_b32 s5, s5, exec_lo
                                        ; implicit-def: $vgpr4_vgpr5
                                        ; implicit-def: $vgpr2_vgpr3
.LBB20_10:
	s_or_saveexec_b32 s6, s8
	v_mov_b32_e32 v5, s7
	s_xor_b32 exec_lo, exec_lo, s6
	s_cbranch_execz .LBB20_12
; %bb.11:
	s_waitcnt lgkmcnt(0)
	s_delay_alu instid0(VALU_DEP_1)
	v_mad_u64_u32 v[0:1], null, v2, s3, v[4:5]
	v_mov_b32_e32 v5, 0
	s_or_b32 s5, s5, exec_lo
.LBB20_12:
	s_or_b32 exec_lo, exec_lo, s6
	s_delay_alu instid0(SALU_CYCLE_1)
	s_and_b32 s5, s5, exec_lo
                                        ; implicit-def: $vgpr2_vgpr3
	s_and_not1_saveexec_b32 s4, s4
	s_cbranch_execz .LBB20_3
.LBB20_13:
	s_waitcnt lgkmcnt(0)
	v_mad_u64_u32 v[0:1], null, v2, s3, v[2:3]
	v_mov_b32_e32 v5, 1.0
	s_or_b32 s5, s5, exec_lo
	s_or_b32 exec_lo, exec_lo, s4
	s_delay_alu instid0(SALU_CYCLE_1)
	s_and_b32 exec_lo, exec_lo, s5
	s_cbranch_execnz .LBB20_4
	s_branch .LBB20_5
	.section	.rodata,"a",@progbits
	.p2align	6, 0x0
	.amdhsa_kernel _ZN9rocsolver6v33100L16orgl2_init_identIfPfEEviiiT0_iil
		.amdhsa_group_segment_fixed_size 0
		.amdhsa_private_segment_fixed_size 0
		.amdhsa_kernarg_size 296
		.amdhsa_user_sgpr_count 13
		.amdhsa_user_sgpr_dispatch_ptr 0
		.amdhsa_user_sgpr_queue_ptr 0
		.amdhsa_user_sgpr_kernarg_segment_ptr 1
		.amdhsa_user_sgpr_dispatch_id 0
		.amdhsa_user_sgpr_private_segment_size 0
		.amdhsa_wavefront_size32 1
		.amdhsa_uses_dynamic_stack 0
		.amdhsa_enable_private_segment 0
		.amdhsa_system_sgpr_workgroup_id_x 1
		.amdhsa_system_sgpr_workgroup_id_y 1
		.amdhsa_system_sgpr_workgroup_id_z 1
		.amdhsa_system_sgpr_workgroup_info 0
		.amdhsa_system_vgpr_workitem_id 1
		.amdhsa_next_free_vgpr 6
		.amdhsa_next_free_sgpr 16
		.amdhsa_reserve_vcc 1
		.amdhsa_float_round_mode_32 0
		.amdhsa_float_round_mode_16_64 0
		.amdhsa_float_denorm_mode_32 3
		.amdhsa_float_denorm_mode_16_64 3
		.amdhsa_dx10_clamp 1
		.amdhsa_ieee_mode 1
		.amdhsa_fp16_overflow 0
		.amdhsa_workgroup_processor_mode 1
		.amdhsa_memory_ordered 1
		.amdhsa_forward_progress 0
		.amdhsa_shared_vgpr_count 0
		.amdhsa_exception_fp_ieee_invalid_op 0
		.amdhsa_exception_fp_denorm_src 0
		.amdhsa_exception_fp_ieee_div_zero 0
		.amdhsa_exception_fp_ieee_overflow 0
		.amdhsa_exception_fp_ieee_underflow 0
		.amdhsa_exception_fp_ieee_inexact 0
		.amdhsa_exception_int_div_zero 0
	.end_amdhsa_kernel
	.section	.text._ZN9rocsolver6v33100L16orgl2_init_identIfPfEEviiiT0_iil,"axG",@progbits,_ZN9rocsolver6v33100L16orgl2_init_identIfPfEEviiiT0_iil,comdat
.Lfunc_end20:
	.size	_ZN9rocsolver6v33100L16orgl2_init_identIfPfEEviiiT0_iil, .Lfunc_end20-_ZN9rocsolver6v33100L16orgl2_init_identIfPfEEviiiT0_iil
                                        ; -- End function
	.section	.AMDGPU.csdata,"",@progbits
; Kernel info:
; codeLenInByte = 452
; NumSgprs: 18
; NumVgprs: 6
; ScratchSize: 0
; MemoryBound: 0
; FloatMode: 240
; IeeeMode: 1
; LDSByteSize: 0 bytes/workgroup (compile time only)
; SGPRBlocks: 2
; VGPRBlocks: 0
; NumSGPRsForWavesPerEU: 18
; NumVGPRsForWavesPerEU: 6
; Occupancy: 16
; WaveLimiterHint : 0
; COMPUTE_PGM_RSRC2:SCRATCH_EN: 0
; COMPUTE_PGM_RSRC2:USER_SGPR: 13
; COMPUTE_PGM_RSRC2:TRAP_HANDLER: 0
; COMPUTE_PGM_RSRC2:TGID_X_EN: 1
; COMPUTE_PGM_RSRC2:TGID_Y_EN: 1
; COMPUTE_PGM_RSRC2:TGID_Z_EN: 1
; COMPUTE_PGM_RSRC2:TIDIG_COMP_CNT: 1
	.section	.text._ZN9rocsolver6v33100L14copyshift_downIfPfEEvbiT0_iilPT_iil,"axG",@progbits,_ZN9rocsolver6v33100L14copyshift_downIfPfEEvbiT0_iilPT_iil,comdat
	.globl	_ZN9rocsolver6v33100L14copyshift_downIfPfEEvbiT0_iilPT_iil ; -- Begin function _ZN9rocsolver6v33100L14copyshift_downIfPfEEvbiT0_iilPT_iil
	.p2align	8
	.type	_ZN9rocsolver6v33100L14copyshift_downIfPfEEvbiT0_iilPT_iil,@function
_ZN9rocsolver6v33100L14copyshift_downIfPfEEvbiT0_iilPT_iil: ; @_ZN9rocsolver6v33100L14copyshift_downIfPfEEvbiT0_iilPT_iil
; %bb.0:
	s_clause 0x3
	s_load_b128 s[8:11], s[0:1], 0x0
	s_load_b32 s12, s[0:1], 0x44
	s_load_b128 s[4:7], s[0:1], 0x18
	s_load_b64 s[2:3], s[0:1], 0x10
	v_bfe_u32 v1, v0, 10, 10
	v_and_b32_e32 v4, 0x3ff, v0
	s_waitcnt lgkmcnt(0)
	s_bitcmp1_b32 s8, 0
	s_cselect_b32 s8, -1, 0
	s_lshr_b32 s16, s12, 16
	s_and_b32 s12, s12, 0xffff
	v_mad_u64_u32 v[2:3], null, s14, s16, v[1:2]
	v_mad_u64_u32 v[0:1], null, s13, s12, v[4:5]
	s_mul_i32 s12, s15, s5
	s_mul_hi_u32 s13, s15, s4
	s_xor_b32 s8, s8, -1
	s_add_i32 s13, s13, s12
	s_mul_i32 s12, s15, s4
	s_ashr_i32 s5, s2, 31
	s_delay_alu instid0(VALU_DEP_1)
	v_or_b32_e32 v1, v0, v2
	s_lshl_b64 s[12:13], s[12:13], 2
	s_mov_b32 s4, s2
	s_add_u32 s2, s10, s12
	s_addc_u32 s10, s11, s13
	v_cmp_eq_u32_e32 vcc_lo, 0, v1
	s_lshl_b64 s[4:5], s[4:5], 2
	s_delay_alu instid0(SALU_CYCLE_1) | instskip(SKIP_2) | instid1(SALU_CYCLE_1)
	s_add_u32 s4, s2, s4
	s_addc_u32 s5, s10, s5
	s_and_b32 s10, vcc_lo, s8
	s_and_saveexec_b32 s2, s10
	s_cbranch_execz .LBB21_2
; %bb.1:
	v_mov_b32_e32 v1, 0
	v_mov_b32_e32 v3, 1.0
	global_store_b32 v1, v3, s[4:5]
.LBB21_2:
	s_or_b32 exec_lo, exec_lo, s2
	v_max_u32_e32 v1, v2, v0
	v_cmp_le_u32_e64 s2, v0, v2
	s_delay_alu instid0(VALU_DEP_2) | instskip(NEXT) | instid1(VALU_DEP_2)
	v_cmp_gt_u32_e32 vcc_lo, s9, v1
	s_and_b32 s2, s2, vcc_lo
	s_delay_alu instid0(SALU_CYCLE_1)
	s_and_saveexec_b32 s9, s2
	s_cbranch_execz .LBB21_12
; %bb.3:
	s_clause 0x1
	s_load_b64 s[10:11], s[0:1], 0x30
	s_load_b32 s0, s[0:1], 0x28
	v_add_nc_u32_e32 v1, 1, v2
	s_delay_alu instid0(VALU_DEP_1) | instskip(NEXT) | instid1(VALU_DEP_1)
	v_mul_lo_u32 v3, v1, v2
	v_lshrrev_b32_e32 v4, 1, v3
	s_delay_alu instid0(VALU_DEP_1)
	v_add_nc_u32_e32 v3, v0, v4
	s_waitcnt lgkmcnt(0)
	s_mul_i32 s1, s15, s11
	s_mul_hi_u32 s2, s15, s10
	s_mul_i32 s10, s15, s10
	s_add_i32 s11, s2, s1
	s_ashr_i32 s1, s0, 31
	s_lshl_b64 s[10:11], s[10:11], 2
	s_delay_alu instid0(SALU_CYCLE_1) | instskip(SKIP_2) | instid1(SALU_CYCLE_1)
	s_add_u32 s2, s6, s10
	s_addc_u32 s7, s7, s11
	s_lshl_b64 s[0:1], s[0:1], 2
	s_add_u32 s6, s2, s0
	s_addc_u32 s7, s7, s1
	s_and_b32 vcc_lo, exec_lo, s8
	s_cbranch_vccz .LBB21_5
; %bb.4:
	v_dual_mov_b32 v5, 0 :: v_dual_add_nc_u32 v4, v0, v4
	s_mov_b32 s1, 0
	s_delay_alu instid0(VALU_DEP_1) | instskip(NEXT) | instid1(VALU_DEP_1)
	v_lshlrev_b64 v[6:7], 2, v[4:5]
	v_add_co_u32 v6, vcc_lo, s6, v6
	s_delay_alu instid0(VALU_DEP_2) | instskip(SKIP_4) | instid1(VALU_DEP_1)
	v_add_co_ci_u32_e32 v7, vcc_lo, s7, v7, vcc_lo
	v_cmp_eq_u32_e32 vcc_lo, v0, v2
	global_load_b32 v8, v[6:7], off
	v_mad_u64_u32 v[6:7], null, v1, s3, v[0:1]
	v_mov_b32_e32 v7, v5
	v_lshlrev_b64 v[4:5], 2, v[6:7]
	s_delay_alu instid0(VALU_DEP_1) | instskip(NEXT) | instid1(VALU_DEP_1)
	v_add_co_u32 v4, s0, s4, v4
	v_add_co_ci_u32_e64 v5, s0, s5, v5, s0
	s_and_b32 s0, vcc_lo, exec_lo
	s_waitcnt vmcnt(0)
	global_store_b32 v[4:5], v8, off
	s_branch .LBB21_6
.LBB21_5:
	s_mov_b32 s1, -1
	s_mov_b32 s0, 0
.LBB21_6:
	v_cndmask_b32_e64 v2, 0, 1, s1
	v_mov_b32_e32 v4, s1
	s_delay_alu instid0(VALU_DEP_2)
	v_cmp_ne_u32_e32 vcc_lo, 1, v2
	s_cbranch_vccnz .LBB21_10
; %bb.7:
	v_mov_b32_e32 v4, 0
	s_mov_b32 s0, exec_lo
	v_cmpx_ne_u32_e32 0, v0
	s_cbranch_execz .LBB21_9
; %bb.8:
	v_mul_lo_u32 v2, v1, s3
	v_mov_b32_e32 v1, 0
	s_delay_alu instid0(VALU_DEP_2) | instskip(NEXT) | instid1(VALU_DEP_1)
	v_add3_u32 v0, v0, v2, -1
	v_lshlrev_b64 v[0:1], 2, v[0:1]
	s_delay_alu instid0(VALU_DEP_1) | instskip(NEXT) | instid1(VALU_DEP_2)
	v_add_co_u32 v0, vcc_lo, s4, v0
	v_add_co_ci_u32_e32 v1, vcc_lo, s5, v1, vcc_lo
	global_load_b32 v4, v[0:1], off
.LBB21_9:
	s_or_b32 exec_lo, exec_lo, s0
	v_mov_b32_e32 v1, v3
	s_mov_b32 s0, -1
	s_mov_b64 s[4:5], s[6:7]
.LBB21_10:
	s_and_b32 exec_lo, exec_lo, s0
	s_cbranch_execz .LBB21_12
; %bb.11:
	v_mov_b32_e32 v2, 0
	s_delay_alu instid0(VALU_DEP_1) | instskip(NEXT) | instid1(VALU_DEP_1)
	v_lshlrev_b64 v[0:1], 2, v[1:2]
	v_add_co_u32 v0, vcc_lo, s4, v0
	s_delay_alu instid0(VALU_DEP_2)
	v_add_co_ci_u32_e32 v1, vcc_lo, s5, v1, vcc_lo
	s_waitcnt vmcnt(0)
	global_store_b32 v[0:1], v4, off
.LBB21_12:
	s_nop 0
	s_sendmsg sendmsg(MSG_DEALLOC_VGPRS)
	s_endpgm
	.section	.rodata,"a",@progbits
	.p2align	6, 0x0
	.amdhsa_kernel _ZN9rocsolver6v33100L14copyshift_downIfPfEEvbiT0_iilPT_iil
		.amdhsa_group_segment_fixed_size 0
		.amdhsa_private_segment_fixed_size 0
		.amdhsa_kernarg_size 312
		.amdhsa_user_sgpr_count 13
		.amdhsa_user_sgpr_dispatch_ptr 0
		.amdhsa_user_sgpr_queue_ptr 0
		.amdhsa_user_sgpr_kernarg_segment_ptr 1
		.amdhsa_user_sgpr_dispatch_id 0
		.amdhsa_user_sgpr_private_segment_size 0
		.amdhsa_wavefront_size32 1
		.amdhsa_uses_dynamic_stack 0
		.amdhsa_enable_private_segment 0
		.amdhsa_system_sgpr_workgroup_id_x 1
		.amdhsa_system_sgpr_workgroup_id_y 1
		.amdhsa_system_sgpr_workgroup_id_z 1
		.amdhsa_system_sgpr_workgroup_info 0
		.amdhsa_system_vgpr_workitem_id 1
		.amdhsa_next_free_vgpr 9
		.amdhsa_next_free_sgpr 17
		.amdhsa_reserve_vcc 1
		.amdhsa_float_round_mode_32 0
		.amdhsa_float_round_mode_16_64 0
		.amdhsa_float_denorm_mode_32 3
		.amdhsa_float_denorm_mode_16_64 3
		.amdhsa_dx10_clamp 1
		.amdhsa_ieee_mode 1
		.amdhsa_fp16_overflow 0
		.amdhsa_workgroup_processor_mode 1
		.amdhsa_memory_ordered 1
		.amdhsa_forward_progress 0
		.amdhsa_shared_vgpr_count 0
		.amdhsa_exception_fp_ieee_invalid_op 0
		.amdhsa_exception_fp_denorm_src 0
		.amdhsa_exception_fp_ieee_div_zero 0
		.amdhsa_exception_fp_ieee_overflow 0
		.amdhsa_exception_fp_ieee_underflow 0
		.amdhsa_exception_fp_ieee_inexact 0
		.amdhsa_exception_int_div_zero 0
	.end_amdhsa_kernel
	.section	.text._ZN9rocsolver6v33100L14copyshift_downIfPfEEvbiT0_iilPT_iil,"axG",@progbits,_ZN9rocsolver6v33100L14copyshift_downIfPfEEvbiT0_iilPT_iil,comdat
.Lfunc_end21:
	.size	_ZN9rocsolver6v33100L14copyshift_downIfPfEEvbiT0_iilPT_iil, .Lfunc_end21-_ZN9rocsolver6v33100L14copyshift_downIfPfEEvbiT0_iilPT_iil
                                        ; -- End function
	.section	.AMDGPU.csdata,"",@progbits
; Kernel info:
; codeLenInByte = 632
; NumSgprs: 19
; NumVgprs: 9
; ScratchSize: 0
; MemoryBound: 0
; FloatMode: 240
; IeeeMode: 1
; LDSByteSize: 0 bytes/workgroup (compile time only)
; SGPRBlocks: 2
; VGPRBlocks: 1
; NumSGPRsForWavesPerEU: 19
; NumVGPRsForWavesPerEU: 9
; Occupancy: 16
; WaveLimiterHint : 0
; COMPUTE_PGM_RSRC2:SCRATCH_EN: 0
; COMPUTE_PGM_RSRC2:USER_SGPR: 13
; COMPUTE_PGM_RSRC2:TRAP_HANDLER: 0
; COMPUTE_PGM_RSRC2:TGID_X_EN: 1
; COMPUTE_PGM_RSRC2:TGID_Y_EN: 1
; COMPUTE_PGM_RSRC2:TGID_Z_EN: 1
; COMPUTE_PGM_RSRC2:TIDIG_COMP_CNT: 1
	.section	.text._ZN9rocsolver6v33100L10reset_infoIiiiEEvPT_T0_T1_S4_,"axG",@progbits,_ZN9rocsolver6v33100L10reset_infoIiiiEEvPT_T0_T1_S4_,comdat
	.globl	_ZN9rocsolver6v33100L10reset_infoIiiiEEvPT_T0_T1_S4_ ; -- Begin function _ZN9rocsolver6v33100L10reset_infoIiiiEEvPT_T0_T1_S4_
	.p2align	8
	.type	_ZN9rocsolver6v33100L10reset_infoIiiiEEvPT_T0_T1_S4_,@function
_ZN9rocsolver6v33100L10reset_infoIiiiEEvPT_T0_T1_S4_: ; @_ZN9rocsolver6v33100L10reset_infoIiiiEEvPT_T0_T1_S4_
; %bb.0:
	s_clause 0x1
	s_load_b32 s2, s[0:1], 0x24
	s_load_b128 s[4:7], s[0:1], 0x8
	s_waitcnt lgkmcnt(0)
	s_and_b32 s2, s2, 0xffff
	s_delay_alu instid0(SALU_CYCLE_1) | instskip(SKIP_1) | instid1(VALU_DEP_1)
	v_mad_u64_u32 v[1:2], null, s15, s2, v[0:1]
	s_mov_b32 s2, exec_lo
	v_cmpx_gt_i32_e64 s4, v1
	s_cbranch_execz .LBB22_2
; %bb.1:
	s_load_b64 s[0:1], s[0:1], 0x0
	v_ashrrev_i32_e32 v2, 31, v1
	s_mov_b32 s2, s5
	s_delay_alu instid0(SALU_CYCLE_1) | instskip(NEXT) | instid1(VALU_DEP_2)
	v_mad_u64_u32 v[4:5], null, v1, s6, s[2:3]
	v_lshlrev_b64 v[2:3], 2, v[1:2]
	s_waitcnt lgkmcnt(0)
	s_delay_alu instid0(VALU_DEP_1) | instskip(NEXT) | instid1(VALU_DEP_2)
	v_add_co_u32 v0, vcc_lo, s0, v2
	v_add_co_ci_u32_e32 v1, vcc_lo, s1, v3, vcc_lo
	global_store_b32 v[0:1], v4, off
.LBB22_2:
	s_nop 0
	s_sendmsg sendmsg(MSG_DEALLOC_VGPRS)
	s_endpgm
	.section	.rodata,"a",@progbits
	.p2align	6, 0x0
	.amdhsa_kernel _ZN9rocsolver6v33100L10reset_infoIiiiEEvPT_T0_T1_S4_
		.amdhsa_group_segment_fixed_size 0
		.amdhsa_private_segment_fixed_size 0
		.amdhsa_kernarg_size 280
		.amdhsa_user_sgpr_count 15
		.amdhsa_user_sgpr_dispatch_ptr 0
		.amdhsa_user_sgpr_queue_ptr 0
		.amdhsa_user_sgpr_kernarg_segment_ptr 1
		.amdhsa_user_sgpr_dispatch_id 0
		.amdhsa_user_sgpr_private_segment_size 0
		.amdhsa_wavefront_size32 1
		.amdhsa_uses_dynamic_stack 0
		.amdhsa_enable_private_segment 0
		.amdhsa_system_sgpr_workgroup_id_x 1
		.amdhsa_system_sgpr_workgroup_id_y 0
		.amdhsa_system_sgpr_workgroup_id_z 0
		.amdhsa_system_sgpr_workgroup_info 0
		.amdhsa_system_vgpr_workitem_id 0
		.amdhsa_next_free_vgpr 6
		.amdhsa_next_free_sgpr 16
		.amdhsa_reserve_vcc 1
		.amdhsa_float_round_mode_32 0
		.amdhsa_float_round_mode_16_64 0
		.amdhsa_float_denorm_mode_32 3
		.amdhsa_float_denorm_mode_16_64 3
		.amdhsa_dx10_clamp 1
		.amdhsa_ieee_mode 1
		.amdhsa_fp16_overflow 0
		.amdhsa_workgroup_processor_mode 1
		.amdhsa_memory_ordered 1
		.amdhsa_forward_progress 0
		.amdhsa_shared_vgpr_count 0
		.amdhsa_exception_fp_ieee_invalid_op 0
		.amdhsa_exception_fp_denorm_src 0
		.amdhsa_exception_fp_ieee_div_zero 0
		.amdhsa_exception_fp_ieee_overflow 0
		.amdhsa_exception_fp_ieee_underflow 0
		.amdhsa_exception_fp_ieee_inexact 0
		.amdhsa_exception_int_div_zero 0
	.end_amdhsa_kernel
	.section	.text._ZN9rocsolver6v33100L10reset_infoIiiiEEvPT_T0_T1_S4_,"axG",@progbits,_ZN9rocsolver6v33100L10reset_infoIiiiEEvPT_T0_T1_S4_,comdat
.Lfunc_end22:
	.size	_ZN9rocsolver6v33100L10reset_infoIiiiEEvPT_T0_T1_S4_, .Lfunc_end22-_ZN9rocsolver6v33100L10reset_infoIiiiEEvPT_T0_T1_S4_
                                        ; -- End function
	.section	.AMDGPU.csdata,"",@progbits
; Kernel info:
; codeLenInByte = 136
; NumSgprs: 18
; NumVgprs: 6
; ScratchSize: 0
; MemoryBound: 0
; FloatMode: 240
; IeeeMode: 1
; LDSByteSize: 0 bytes/workgroup (compile time only)
; SGPRBlocks: 2
; VGPRBlocks: 0
; NumSGPRsForWavesPerEU: 18
; NumVGPRsForWavesPerEU: 6
; Occupancy: 16
; WaveLimiterHint : 0
; COMPUTE_PGM_RSRC2:SCRATCH_EN: 0
; COMPUTE_PGM_RSRC2:USER_SGPR: 15
; COMPUTE_PGM_RSRC2:TRAP_HANDLER: 0
; COMPUTE_PGM_RSRC2:TGID_X_EN: 1
; COMPUTE_PGM_RSRC2:TGID_Y_EN: 0
; COMPUTE_PGM_RSRC2:TGID_Z_EN: 0
; COMPUTE_PGM_RSRC2:TIDIG_COMP_CNT: 0
	.section	.text._ZN9rocsolver6v33100L10bdsqr_initIffEEviPT0_lS3_lPiiS2_S2_S4_S3_lS4_,"axG",@progbits,_ZN9rocsolver6v33100L10bdsqr_initIffEEviPT0_lS3_lPiiS2_S2_S4_S3_lS4_,comdat
	.globl	_ZN9rocsolver6v33100L10bdsqr_initIffEEviPT0_lS3_lPiiS2_S2_S4_S3_lS4_ ; -- Begin function _ZN9rocsolver6v33100L10bdsqr_initIffEEviPT0_lS3_lPiiS2_S2_S4_S3_lS4_
	.p2align	8
	.type	_ZN9rocsolver6v33100L10bdsqr_initIffEEviPT0_lS3_lPiiS2_S2_S4_S3_lS4_,@function
_ZN9rocsolver6v33100L10bdsqr_initIffEEviPT0_lS3_lPiiS2_S2_S4_S3_lS4_: ; @_ZN9rocsolver6v33100L10bdsqr_initIffEEviPT0_lS3_lPiiS2_S2_S4_S3_lS4_
; %bb.0:
	s_clause 0x1
	s_load_b32 s12, s[0:1], 0x0
	s_load_b256 s[4:11], s[0:1], 0x8
	s_mov_b32 s14, s15
	s_ashr_i32 s15, s15, 31
	s_waitcnt lgkmcnt(0)
	s_ashr_i32 s13, s12, 31
	s_mul_i32 s3, s14, s7
	s_mul_hi_u32 s7, s14, s6
	s_mul_i32 s16, s15, s6
	s_add_i32 s3, s7, s3
	s_mul_i32 s2, s14, s6
	s_add_i32 s3, s3, s16
	s_mul_i32 s6, s14, s11
	s_lshl_b64 s[2:3], s[2:3], 2
	s_mul_hi_u32 s7, s14, s10
	s_add_u32 s18, s4, s2
	s_mul_i32 s11, s15, s10
	s_addc_u32 s19, s5, s3
	s_add_i32 s3, s7, s6
	s_mul_i32 s2, s14, s10
	s_add_i32 s3, s3, s11
	s_load_b32 s4, s[18:19], 0x0
	s_lshl_b64 s[2:3], s[2:3], 2
	v_cmp_lt_i64_e64 s5, s[12:13], 2
	s_add_u32 s22, s8, s2
	s_addc_u32 s23, s9, s3
	s_lshl_b64 s[2:3], s[12:13], 2
	v_cmp_gt_i64_e64 s25, s[12:13], 1
	s_add_u32 s16, s18, s2
	s_addc_u32 s17, s19, s3
	s_add_u32 s2, s16, -4
	s_addc_u32 s3, s17, -1
	s_load_b32 s3, s[2:3], 0x0
	s_load_b64 s[20:21], s[0:1], 0x28
	s_and_b32 vcc_lo, exec_lo, s5
	s_waitcnt lgkmcnt(0)
	v_mov_b32_e32 v0, s4
	v_cmp_ge_f32_e64 s2, s4, s3
	s_delay_alu instid0(VALU_DEP_1) | instskip(NEXT) | instid1(VALU_DEP_1)
	v_cndmask_b32_e64 v0, s3, v0, s2
	v_and_b32_e32 v3, 0x7fffffff, v0
	s_cbranch_vccnz .LBB23_3
; %bb.1:
	s_delay_alu instid0(VALU_DEP_1)
	v_mov_b32_e32 v0, v3
	s_add_i32 s3, s12, -2
	s_mov_b32 s4, 1
	s_set_inst_prefetch_distance 0x1
	.p2align	6
.LBB23_2:                               ; =>This Inner Loop Header: Depth=1
	s_and_b32 s5, s2, exec_lo
	s_cselect_b32 s6, s4, s3
	s_add_i32 s5, s4, -1
	s_and_b32 s7, s2, exec_lo
	s_cselect_b32 s8, s5, s3
	s_delay_alu instid0(SALU_CYCLE_1) | instskip(NEXT) | instid1(SALU_CYCLE_1)
	s_ashr_i32 s9, s8, 31
	s_lshl_b64 s[8:9], s[8:9], 2
	s_delay_alu instid0(SALU_CYCLE_1) | instskip(SKIP_4) | instid1(SALU_CYCLE_1)
	s_add_u32 s8, s22, s8
	s_addc_u32 s9, s23, s9
	s_ashr_i32 s7, s6, 31
	s_load_b32 s5, s[8:9], 0x0
	s_lshl_b64 s[6:7], s[6:7], 2
	s_add_u32 s6, s18, s6
	s_addc_u32 s7, s19, s7
	s_add_i32 s4, s4, 1
	s_add_i32 s3, s3, -1
	s_cmp_lg_u32 s4, s12
	s_waitcnt lgkmcnt(0)
	v_add_f32_e64 v1, v0, |s5|
	s_load_b32 s5, s[6:7], 0x0
	s_delay_alu instid0(VALU_DEP_1) | instskip(SKIP_1) | instid1(VALU_DEP_2)
	v_div_scale_f32 v2, null, v1, v1, v0
	v_div_scale_f32 v6, vcc_lo, v0, v1, v0
	v_rcp_f32_e32 v4, v2
	s_waitcnt_depctr 0xfff
	v_fma_f32 v5, -v2, v4, 1.0
	s_delay_alu instid0(VALU_DEP_1) | instskip(NEXT) | instid1(VALU_DEP_1)
	v_fmac_f32_e32 v4, v5, v4
	v_mul_f32_e32 v5, v6, v4
	s_delay_alu instid0(VALU_DEP_1) | instskip(NEXT) | instid1(VALU_DEP_1)
	v_fma_f32 v7, -v2, v5, v6
	v_fmac_f32_e32 v5, v7, v4
	s_delay_alu instid0(VALU_DEP_1) | instskip(NEXT) | instid1(VALU_DEP_1)
	v_fma_f32 v2, -v2, v5, v6
	v_div_fmas_f32 v2, v2, v4, v5
	s_delay_alu instid0(VALU_DEP_1) | instskip(SKIP_1) | instid1(VALU_DEP_1)
	v_div_fixup_f32 v0, v2, v1, v0
	s_waitcnt lgkmcnt(0)
	v_mul_f32_e64 v0, |s5|, v0
	s_delay_alu instid0(VALU_DEP_1)
	v_cmp_lt_f32_e32 vcc_lo, v0, v3
	v_cndmask_b32_e32 v3, v3, v0, vcc_lo
	s_cbranch_scc1 .LBB23_2
.LBB23_3:
	s_set_inst_prefetch_distance 0x2
	v_cvt_f64_i32_e32 v[0:1], s12
	s_load_b256 s[4:11], s[0:1], 0x40
	s_lshl_b32 s24, s12, 1
	s_load_b128 s[28:31], s[0:1], 0x30
	s_mul_i32 s2, s24, s14
	s_delay_alu instid0(SALU_CYCLE_1) | instskip(NEXT) | instid1(SALU_CYCLE_1)
	s_ashr_i32 s3, s2, 31
	s_lshl_b64 s[2:3], s[2:3], 2
	s_waitcnt lgkmcnt(0)
	s_add_u32 s13, s4, s2
	s_mul_i32 s2, s14, s9
	s_mul_hi_u32 s4, s14, s8
	s_mul_i32 s26, s15, s8
	s_addc_u32 s9, s5, s3
	s_add_i32 s3, s4, s2
	s_mul_i32 s2, s14, s8
	s_add_i32 s3, s3, s26
	s_mov_b32 s8, 0
	s_lshl_b64 s[2:3], s[2:3], 2
	s_delay_alu instid0(SALU_CYCLE_1) | instskip(SKIP_3) | instid1(VALU_DEP_1)
	s_add_u32 s2, s6, s2
	s_addc_u32 s3, s7, s3
	s_add_i32 s6, s12, -1
	s_mov_b32 s7, 0
	v_cmp_gt_f64_e32 vcc_lo, 0x10000000, v[0:1]
	v_cndmask_b32_e64 v2, 0, 1, vcc_lo
	s_and_b32 s4, vcc_lo, exec_lo
	s_cselect_b32 s4, 0xffffff80, 0
	s_delay_alu instid0(VALU_DEP_1) | instskip(NEXT) | instid1(VALU_DEP_1)
	v_lshlrev_b32_e32 v2, 8, v2
	v_ldexp_f64 v[0:1], v[0:1], v2
	s_delay_alu instid0(VALU_DEP_1) | instskip(SKIP_4) | instid1(VALU_DEP_1)
	v_rsq_f64_e32 v[4:5], v[0:1]
	v_cmp_class_f64_e64 vcc_lo, v[0:1], 0x260
	s_waitcnt_depctr 0xfff
	v_mul_f64 v[6:7], v[0:1], v[4:5]
	v_mul_f64 v[4:5], v[4:5], 0.5
	v_fma_f64 v[8:9], -v[4:5], v[6:7], 0.5
	s_delay_alu instid0(VALU_DEP_1) | instskip(SKIP_1) | instid1(VALU_DEP_2)
	v_fma_f64 v[6:7], v[6:7], v[8:9], v[6:7]
	v_fma_f64 v[4:5], v[4:5], v[8:9], v[4:5]
	v_fma_f64 v[8:9], -v[6:7], v[6:7], v[0:1]
	s_delay_alu instid0(VALU_DEP_1) | instskip(NEXT) | instid1(VALU_DEP_1)
	v_fma_f64 v[6:7], v[8:9], v[4:5], v[6:7]
	v_fma_f64 v[8:9], -v[6:7], v[6:7], v[0:1]
	s_delay_alu instid0(VALU_DEP_1) | instskip(NEXT) | instid1(VALU_DEP_1)
	v_fma_f64 v[4:5], v[8:9], v[4:5], v[6:7]
	v_ldexp_f64 v[4:5], v[4:5], s4
	s_delay_alu instid0(VALU_DEP_1) | instskip(NEXT) | instid1(VALU_DEP_1)
	v_dual_cndmask_b32 v1, v5, v1 :: v_dual_cndmask_b32 v0, v4, v0
	v_cvt_f32_f64_e32 v0, v[0:1]
	v_mul_f32_e32 v1, s30, v3
	s_delay_alu instid0(VALU_DEP_1) | instskip(SKIP_1) | instid1(VALU_DEP_2)
	v_div_scale_f32 v2, null, v0, v0, v1
	v_div_scale_f32 v6, vcc_lo, v1, v0, v1
	v_rcp_f32_e32 v4, v2
	s_waitcnt_depctr 0xfff
	v_fma_f32 v5, -v2, v4, 1.0
	s_delay_alu instid0(VALU_DEP_1) | instskip(NEXT) | instid1(VALU_DEP_1)
	v_fmac_f32_e32 v4, v5, v4
	v_mul_f32_e32 v5, v6, v4
	s_delay_alu instid0(VALU_DEP_1) | instskip(NEXT) | instid1(VALU_DEP_1)
	v_fma_f32 v7, -v2, v5, v6
	v_fmac_f32_e32 v5, v7, v4
	s_delay_alu instid0(VALU_DEP_1) | instskip(SKIP_1) | instid1(VALU_DEP_2)
	v_fma_f32 v2, -v2, v5, v6
	v_cvt_f32_i32_e32 v6, s28
	v_div_fmas_f32 v2, v2, v4, v5
	s_delay_alu instid0(VALU_DEP_2) | instskip(SKIP_1) | instid1(VALU_DEP_3)
	v_mul_f32_e32 v4, s29, v6
	v_cndmask_b32_e64 v5, 0, 1, s25
	v_div_fixup_f32 v1, v2, v0, v1
	v_mov_b32_e32 v0, 0
	s_delay_alu instid0(VALU_DEP_2)
	v_cmp_lt_f32_e32 vcc_lo, v1, v4
	v_cndmask_b32_e32 v4, v1, v4, vcc_lo
	s_and_not1_b32 vcc_lo, exec_lo, s25
	s_mov_b32 s25, 0
	global_store_b64 v0, v[3:4], s[2:3]
	s_cbranch_vccnz .LBB23_20
; %bb.4:
	s_mov_b32 s1, 0
	s_delay_alu instid0(SALU_CYCLE_1) | instskip(SKIP_3) | instid1(SALU_CYCLE_1)
	s_mov_b32 s0, s1
	s_mov_b32 s7, s1
	;; [unrolled: 1-line block ×3, first 2 shown]
	s_lshl_b32 s4, s0, 2
	s_or_b32 s5, s4, 3
	s_delay_alu instid0(SALU_CYCLE_1)
	s_cmp_ge_i32 s5, s24
	s_cbranch_scc1 .LBB23_6
.LBB23_5:
	s_mov_b32 s5, s1
	s_waitcnt vmcnt(0)
	v_mov_b32_e32 v1, v0
	s_lshl_b64 s[4:5], s[4:5], 2
	v_mov_b32_e32 v2, v0
	v_mov_b32_e32 v3, v0
	s_add_u32 s4, s13, s4
	s_addc_u32 s5, s9, s5
	global_store_b128 v0, v[0:3], s[4:5]
	s_waitcnt_vscnt null, 0x0
	buffer_gl1_inv
	buffer_gl0_inv
.LBB23_6:                               ; =>This Inner Loop Header: Depth=1
	s_lshl_b64 s[4:5], s[0:1], 2
	s_delay_alu instid0(SALU_CYCLE_1)
	s_add_u32 s26, s18, s4
	s_addc_u32 s27, s19, s5
	s_add_u32 s4, s22, s4
	global_load_b32 v2, v0, s[26:27]
	s_addc_u32 s5, s23, s5
	global_load_b32 v1, v0, s[4:5]
	s_waitcnt vmcnt(1)
	v_cmp_class_f32_e64 s26, v2, 0x1f8
	s_delay_alu instid0(VALU_DEP_1)
	s_and_b32 vcc_lo, exec_lo, s26
	s_cbranch_vccz .LBB23_19
; %bb.7:                                ;   in Loop: Header=BB23_6 Depth=1
	s_waitcnt vmcnt(0)
	v_cmp_class_f32_e64 s26, v1, 0x1f8
	s_delay_alu instid0(VALU_DEP_1)
	s_and_b32 vcc_lo, exec_lo, s26
	s_cbranch_vccnz .LBB23_9
; %bb.8:                                ;   in Loop: Header=BB23_6 Depth=1
	s_mov_b32 s8, -1
.LBB23_9:                               ;   in Loop: Header=BB23_6 Depth=1
	v_and_b32_e32 v2, 0x7fffffff, v1
	s_cbranch_execnz .LBB23_11
.LBB23_10:                              ;   in Loop: Header=BB23_6 Depth=1
	s_waitcnt vmcnt(0)
	v_and_b32_e32 v2, 0x7fffffff, v1
	s_mov_b32 s8, -1
.LBB23_11:                              ;   in Loop: Header=BB23_6 Depth=1
	s_delay_alu instid0(VALU_DEP_1)
	v_cmp_lt_f32_e32 vcc_lo, v2, v4
	s_mov_b32 s27, -1
                                        ; implicit-def: $sgpr26
	s_cbranch_vccz .LBB23_14
; %bb.12:                               ;   in Loop: Header=BB23_6 Depth=1
	s_and_not1_b32 vcc_lo, exec_lo, s27
	s_cbranch_vccz .LBB23_15
.LBB23_13:                              ;   in Loop: Header=BB23_6 Depth=1
	s_cmp_eq_u32 s26, s6
	s_cbranch_scc0 .LBB23_18
	s_branch .LBB23_20
.LBB23_14:                              ;   in Loop: Header=BB23_6 Depth=1
	s_add_i32 s26, s0, 1
	s_cbranch_execnz .LBB23_13
.LBB23_15:                              ;   in Loop: Header=BB23_6 Depth=1
	s_cmp_ge_i32 s25, s0
	global_store_b32 v0, v0, s[4:5]
	s_cbranch_scc1 .LBB23_17
; %bb.16:                               ;   in Loop: Header=BB23_6 Depth=1
	s_lshl_b32 s4, s7, 2
	s_waitcnt vmcnt(0)
	v_dual_mov_b32 v1, s25 :: v_dual_mov_b32 v2, s0
	s_ashr_i32 s5, s4, 31
	s_delay_alu instid0(SALU_CYCLE_1) | instskip(NEXT) | instid1(SALU_CYCLE_1)
	s_lshl_b64 s[4:5], s[4:5], 2
	s_add_u32 s4, s13, s4
	s_addc_u32 s5, s9, s5
	s_add_i32 s7, s7, 1
	global_store_b64 v0, v[1:2], s[4:5] offset:4
.LBB23_17:                              ;   in Loop: Header=BB23_6 Depth=1
	s_add_i32 s25, s0, 1
	s_delay_alu instid0(SALU_CYCLE_1) | instskip(NEXT) | instid1(SALU_CYCLE_1)
	s_mov_b32 s26, s25
	s_cmp_eq_u32 s26, s6
	s_cbranch_scc1 .LBB23_20
.LBB23_18:                              ;   in Loop: Header=BB23_6 Depth=1
	s_mov_b32 s0, s26
	s_delay_alu instid0(SALU_CYCLE_1) | instskip(NEXT) | instid1(SALU_CYCLE_1)
	s_lshl_b32 s4, s0, 2
	s_or_b32 s5, s4, 3
	s_delay_alu instid0(SALU_CYCLE_1)
	s_cmp_ge_i32 s5, s24
	s_cbranch_scc0 .LBB23_5
	s_branch .LBB23_6
.LBB23_19:                              ;   in Loop: Header=BB23_6 Depth=1
                                        ; implicit-def: $sgpr8
                                        ; implicit-def: $vgpr2
	s_branch .LBB23_10
.LBB23_20:
	s_waitcnt vmcnt(0)
	v_mov_b32_e32 v1, 0
	s_cmp_lt_i32 s25, s6
	global_load_b32 v0, v1, s[16:17] offset:-4
	s_cbranch_scc0 .LBB23_22
; %bb.21:
	s_lshl_b32 s0, s7, 2
	v_dual_mov_b32 v2, s25 :: v_dual_mov_b32 v3, s6
	s_ashr_i32 s1, s0, 31
	s_delay_alu instid0(SALU_CYCLE_1) | instskip(NEXT) | instid1(SALU_CYCLE_1)
	s_lshl_b64 s[0:1], s[0:1], 2
	s_add_u32 s0, s13, s0
	s_addc_u32 s1, s9, s1
	global_store_b64 v1, v[2:3], s[0:1] offset:4
.LBB23_22:
	s_waitcnt vmcnt(0)
	v_cmp_nlg_f32_e64 s0, 0x7f800000, |v0|
	s_delay_alu instid0(VALU_DEP_1) | instskip(NEXT) | instid1(SALU_CYCLE_1)
	s_or_b32 s0, s0, s8
	s_and_not1_b32 vcc_lo, exec_lo, s0
	s_mov_b32 s0, -1
	s_cbranch_vccz .LBB23_27
; %bb.23:
	s_add_i32 s1, s7, 1
	s_lshl_b64 s[4:5], s[14:15], 2
	v_mov_b32_e32 v1, 0
	v_cvt_f32_i32_e32 v0, s1
	s_add_u32 s4, s20, s4
	s_addc_u32 s5, s21, s5
	s_mov_b32 s0, 0
	s_cmp_lt_i32 s7, 0
	s_clause 0x1
	global_store_b64 v1, v[0:1], s[2:3] offset:8
	global_store_b32 v1, v1, s[4:5]
	s_cbranch_scc1 .LBB23_27
; %bb.24:
	v_mov_b32_e32 v3, 0
	s_mov_b32 s2, 0
.LBB23_25:                              ; =>This Inner Loop Header: Depth=1
	v_mov_b32_e32 v2, s1
	global_atomic_cmpswap_b32 v3, v1, v[2:3], s[10:11] offset:4 glc
	s_waitcnt vmcnt(0)
	v_cmp_lt_i32_e32 vcc_lo, s7, v3
	s_or_b32 s2, vcc_lo, s2
	s_delay_alu instid0(SALU_CYCLE_1)
	s_and_not1_b32 exec_lo, exec_lo, s2
	s_cbranch_execnz .LBB23_25
; %bb.26:
	s_or_b32 exec_lo, exec_lo, s2
.LBB23_27:
	s_delay_alu instid0(SALU_CYCLE_1)
	s_and_not1_b32 vcc_lo, exec_lo, s0
	s_cbranch_vccnz .LBB23_33
; %bb.28:
	v_cmp_ne_u32_e32 vcc_lo, 1, v5
	s_cbranch_vccnz .LBB23_31
; %bb.29:
	v_dual_mov_b32 v0, 0 :: v_dual_mov_b32 v1, 0x7fc00000
.LBB23_30:                              ; =>This Inner Loop Header: Depth=1
	s_add_i32 s6, s6, -1
	s_clause 0x1
	global_store_b32 v0, v1, s[18:19]
	global_store_b32 v0, v1, s[22:23]
	s_add_u32 s18, s18, 4
	s_addc_u32 s19, s19, 0
	s_add_u32 s22, s22, 4
	s_addc_u32 s23, s23, 0
	s_cmp_eq_u32 s6, 0
	s_cbranch_scc0 .LBB23_30
.LBB23_31:
	s_mov_b32 s0, exec_lo
	v_dual_mov_b32 v0, 0 :: v_dual_mov_b32 v1, 0x7fc00000
	s_lshl_b64 s[2:3], s[14:15], 2
	v_mbcnt_lo_u32_b32 v2, s0, 0
	v_dual_mov_b32 v3, s12 :: v_dual_mov_b32 v4, 2
	s_add_u32 s4, s20, s2
	s_addc_u32 s5, s21, s3
	s_add_u32 s2, s10, s2
	s_addc_u32 s3, s11, s3
	s_clause 0x2
	global_store_b32 v0, v1, s[16:17] offset:-4
	global_store_b32 v0, v3, s[4:5]
	global_store_b32 v0, v4, s[2:3] offset:8
	s_mov_b32 s1, exec_lo
	v_cmpx_eq_u32_e32 0, v2
	s_cbranch_execz .LBB23_33
; %bb.32:
	s_bcnt1_i32_b32 s0, s0
	s_delay_alu instid0(SALU_CYCLE_1)
	v_mov_b32_e32 v1, s0
	global_atomic_add_u32 v0, v1, s[10:11]
.LBB23_33:
	s_nop 0
	s_sendmsg sendmsg(MSG_DEALLOC_VGPRS)
	s_endpgm
	.section	.rodata,"a",@progbits
	.p2align	6, 0x0
	.amdhsa_kernel _ZN9rocsolver6v33100L10bdsqr_initIffEEviPT0_lS3_lPiiS2_S2_S4_S3_lS4_
		.amdhsa_group_segment_fixed_size 0
		.amdhsa_private_segment_fixed_size 0
		.amdhsa_kernarg_size 96
		.amdhsa_user_sgpr_count 14
		.amdhsa_user_sgpr_dispatch_ptr 0
		.amdhsa_user_sgpr_queue_ptr 0
		.amdhsa_user_sgpr_kernarg_segment_ptr 1
		.amdhsa_user_sgpr_dispatch_id 0
		.amdhsa_user_sgpr_private_segment_size 0
		.amdhsa_wavefront_size32 1
		.amdhsa_uses_dynamic_stack 0
		.amdhsa_enable_private_segment 0
		.amdhsa_system_sgpr_workgroup_id_x 1
		.amdhsa_system_sgpr_workgroup_id_y 1
		.amdhsa_system_sgpr_workgroup_id_z 0
		.amdhsa_system_sgpr_workgroup_info 0
		.amdhsa_system_vgpr_workitem_id 0
		.amdhsa_next_free_vgpr 10
		.amdhsa_next_free_sgpr 32
		.amdhsa_reserve_vcc 1
		.amdhsa_float_round_mode_32 0
		.amdhsa_float_round_mode_16_64 0
		.amdhsa_float_denorm_mode_32 3
		.amdhsa_float_denorm_mode_16_64 3
		.amdhsa_dx10_clamp 1
		.amdhsa_ieee_mode 1
		.amdhsa_fp16_overflow 0
		.amdhsa_workgroup_processor_mode 1
		.amdhsa_memory_ordered 1
		.amdhsa_forward_progress 0
		.amdhsa_shared_vgpr_count 0
		.amdhsa_exception_fp_ieee_invalid_op 0
		.amdhsa_exception_fp_denorm_src 0
		.amdhsa_exception_fp_ieee_div_zero 0
		.amdhsa_exception_fp_ieee_overflow 0
		.amdhsa_exception_fp_ieee_underflow 0
		.amdhsa_exception_fp_ieee_inexact 0
		.amdhsa_exception_int_div_zero 0
	.end_amdhsa_kernel
	.section	.text._ZN9rocsolver6v33100L10bdsqr_initIffEEviPT0_lS3_lPiiS2_S2_S4_S3_lS4_,"axG",@progbits,_ZN9rocsolver6v33100L10bdsqr_initIffEEviPT0_lS3_lPiiS2_S2_S4_S3_lS4_,comdat
.Lfunc_end23:
	.size	_ZN9rocsolver6v33100L10bdsqr_initIffEEviPT0_lS3_lPiiS2_S2_S4_S3_lS4_, .Lfunc_end23-_ZN9rocsolver6v33100L10bdsqr_initIffEEviPT0_lS3_lPiiS2_S2_S4_S3_lS4_
                                        ; -- End function
	.section	.AMDGPU.csdata,"",@progbits
; Kernel info:
; codeLenInByte = 1692
; NumSgprs: 34
; NumVgprs: 10
; ScratchSize: 0
; MemoryBound: 0
; FloatMode: 240
; IeeeMode: 1
; LDSByteSize: 0 bytes/workgroup (compile time only)
; SGPRBlocks: 4
; VGPRBlocks: 1
; NumSGPRsForWavesPerEU: 34
; NumVGPRsForWavesPerEU: 10
; Occupancy: 16
; WaveLimiterHint : 0
; COMPUTE_PGM_RSRC2:SCRATCH_EN: 0
; COMPUTE_PGM_RSRC2:USER_SGPR: 14
; COMPUTE_PGM_RSRC2:TRAP_HANDLER: 0
; COMPUTE_PGM_RSRC2:TGID_X_EN: 1
; COMPUTE_PGM_RSRC2:TGID_Y_EN: 1
; COMPUTE_PGM_RSRC2:TGID_Z_EN: 0
; COMPUTE_PGM_RSRC2:TIDIG_COMP_CNT: 0
	.section	.text._ZN9rocsolver6v33100L11swap_kernelIfiEEvT0_PT_S2_S4_S2_,"axG",@progbits,_ZN9rocsolver6v33100L11swap_kernelIfiEEvT0_PT_S2_S4_S2_,comdat
	.globl	_ZN9rocsolver6v33100L11swap_kernelIfiEEvT0_PT_S2_S4_S2_ ; -- Begin function _ZN9rocsolver6v33100L11swap_kernelIfiEEvT0_PT_S2_S4_S2_
	.p2align	8
	.type	_ZN9rocsolver6v33100L11swap_kernelIfiEEvT0_PT_S2_S4_S2_,@function
_ZN9rocsolver6v33100L11swap_kernelIfiEEvT0_PT_S2_S4_S2_: ; @_ZN9rocsolver6v33100L11swap_kernelIfiEEvT0_PT_S2_S4_S2_
; %bb.0:
	s_load_b32 s12, s[0:1], 0x0
	s_waitcnt lgkmcnt(0)
	s_cmp_lt_i32 s12, 1
	s_cbranch_scc1 .LBB24_10
; %bb.1:
	s_clause 0x5
	s_load_b32 s6, s[0:1], 0x34
	s_load_b32 s8, s[0:1], 0x10
	;; [unrolled: 1-line block ×4, first 2 shown]
	s_load_b64 s[2:3], s[0:1], 0x8
	s_load_b64 s[4:5], s[0:1], 0x18
	s_waitcnt lgkmcnt(0)
	s_and_b32 s0, s6, 0xffff
	s_cmp_eq_u32 s8, 1
	v_mad_u64_u32 v[1:2], null, s15, s0, v[0:1]
	s_cselect_b32 s1, -1, 0
	s_cmp_eq_u32 s9, 1
	s_mul_i32 s6, s7, s0
	s_cselect_b32 s10, -1, 0
	s_delay_alu instid0(SALU_CYCLE_1) | instskip(NEXT) | instid1(VALU_DEP_1)
	s_and_b32 s1, s1, s10
	v_cmp_gt_i32_e64 s0, s12, v1
	s_and_b32 vcc_lo, exec_lo, s1
	s_mov_b32 s1, -1
	s_cbranch_vccnz .LBB24_6
; %bb.2:
	s_delay_alu instid0(VALU_DEP_1)
	s_and_saveexec_b32 s7, s0
	s_cbranch_execz .LBB24_5
; %bb.3:
	v_mad_i64_i32 v[2:3], null, s9, v1, 0
	v_mad_i64_i32 v[4:5], null, s8, v1, 0
	v_mov_b32_e32 v0, v1
	s_mul_hi_i32 s11, s9, s6
	s_mul_i32 s10, s9, s6
	s_mul_hi_i32 s15, s8, s6
	s_delay_alu instid0(VALU_DEP_3) | instskip(SKIP_1) | instid1(VALU_DEP_3)
	v_lshlrev_b64 v[2:3], 2, v[2:3]
	s_mul_i32 s14, s8, s6
	v_lshlrev_b64 v[4:5], 2, v[4:5]
	s_lshl_b64 s[8:9], s[10:11], 2
	s_lshl_b64 s[10:11], s[14:15], 2
	s_mov_b32 s13, 0
	v_add_co_u32 v2, vcc_lo, s4, v2
	v_add_co_ci_u32_e32 v3, vcc_lo, s5, v3, vcc_lo
	v_add_co_u32 v4, vcc_lo, s2, v4
	v_add_co_ci_u32_e32 v5, vcc_lo, s3, v5, vcc_lo
	.p2align	6
.LBB24_4:                               ; =>This Inner Loop Header: Depth=1
	global_load_b32 v6, v[4:5], off
	global_load_b32 v7, v[2:3], off
	v_add_nc_u32_e32 v0, s6, v0
	s_waitcnt vmcnt(1)
	global_store_b32 v[2:3], v6, off
	s_waitcnt vmcnt(0)
	global_store_b32 v[4:5], v7, off
	v_add_co_u32 v2, s1, v2, s8
	s_delay_alu instid0(VALU_DEP_1) | instskip(SKIP_2) | instid1(VALU_DEP_1)
	v_add_co_ci_u32_e64 v3, s1, s9, v3, s1
	v_cmp_le_i32_e32 vcc_lo, s12, v0
	v_add_co_u32 v4, s1, v4, s10
	v_add_co_ci_u32_e64 v5, s1, s11, v5, s1
	s_or_b32 s13, vcc_lo, s13
	s_delay_alu instid0(SALU_CYCLE_1)
	s_and_not1_b32 exec_lo, exec_lo, s13
	s_cbranch_execnz .LBB24_4
.LBB24_5:
	s_or_b32 exec_lo, exec_lo, s7
	s_mov_b32 s1, 0
.LBB24_6:
	s_delay_alu instid0(SALU_CYCLE_1)
	s_and_not1_b32 vcc_lo, exec_lo, s1
	s_cbranch_vccnz .LBB24_10
; %bb.7:
	s_and_saveexec_b32 s1, s0
	s_cbranch_execz .LBB24_10
; %bb.8:
	v_ashrrev_i32_e32 v2, 31, v1
	s_ashr_i32 s7, s6, 31
	s_mov_b32 s1, 0
	s_lshl_b64 s[8:9], s[6:7], 2
	s_delay_alu instid0(VALU_DEP_1)
	v_lshlrev_b64 v[2:3], 2, v[1:2]
	.p2align	6
.LBB24_9:                               ; =>This Inner Loop Header: Depth=1
	s_delay_alu instid0(VALU_DEP_1) | instskip(NEXT) | instid1(VALU_DEP_2)
	v_add_co_u32 v4, vcc_lo, s2, v2
	v_add_co_ci_u32_e32 v5, vcc_lo, s3, v3, vcc_lo
	v_add_co_u32 v6, vcc_lo, s4, v2
	v_add_co_ci_u32_e32 v7, vcc_lo, s5, v3, vcc_lo
	v_add_nc_u32_e32 v1, s6, v1
	global_load_b32 v0, v[4:5], off
	global_load_b32 v8, v[6:7], off
	v_add_co_u32 v2, s0, v2, s8
	v_cmp_le_i32_e32 vcc_lo, s12, v1
	v_add_co_ci_u32_e64 v3, s0, s9, v3, s0
	s_waitcnt vmcnt(1)
	global_store_b32 v[6:7], v0, off
	s_waitcnt vmcnt(0)
	global_store_b32 v[4:5], v8, off
	s_or_b32 s1, vcc_lo, s1
	s_delay_alu instid0(SALU_CYCLE_1)
	s_and_not1_b32 exec_lo, exec_lo, s1
	s_cbranch_execnz .LBB24_9
.LBB24_10:
	s_nop 0
	s_sendmsg sendmsg(MSG_DEALLOC_VGPRS)
	s_endpgm
	.section	.rodata,"a",@progbits
	.p2align	6, 0x0
	.amdhsa_kernel _ZN9rocsolver6v33100L11swap_kernelIfiEEvT0_PT_S2_S4_S2_
		.amdhsa_group_segment_fixed_size 0
		.amdhsa_private_segment_fixed_size 0
		.amdhsa_kernarg_size 296
		.amdhsa_user_sgpr_count 15
		.amdhsa_user_sgpr_dispatch_ptr 0
		.amdhsa_user_sgpr_queue_ptr 0
		.amdhsa_user_sgpr_kernarg_segment_ptr 1
		.amdhsa_user_sgpr_dispatch_id 0
		.amdhsa_user_sgpr_private_segment_size 0
		.amdhsa_wavefront_size32 1
		.amdhsa_uses_dynamic_stack 0
		.amdhsa_enable_private_segment 0
		.amdhsa_system_sgpr_workgroup_id_x 1
		.amdhsa_system_sgpr_workgroup_id_y 0
		.amdhsa_system_sgpr_workgroup_id_z 0
		.amdhsa_system_sgpr_workgroup_info 0
		.amdhsa_system_vgpr_workitem_id 0
		.amdhsa_next_free_vgpr 9
		.amdhsa_next_free_sgpr 16
		.amdhsa_reserve_vcc 1
		.amdhsa_float_round_mode_32 0
		.amdhsa_float_round_mode_16_64 0
		.amdhsa_float_denorm_mode_32 3
		.amdhsa_float_denorm_mode_16_64 3
		.amdhsa_dx10_clamp 1
		.amdhsa_ieee_mode 1
		.amdhsa_fp16_overflow 0
		.amdhsa_workgroup_processor_mode 1
		.amdhsa_memory_ordered 1
		.amdhsa_forward_progress 0
		.amdhsa_shared_vgpr_count 0
		.amdhsa_exception_fp_ieee_invalid_op 0
		.amdhsa_exception_fp_denorm_src 0
		.amdhsa_exception_fp_ieee_div_zero 0
		.amdhsa_exception_fp_ieee_overflow 0
		.amdhsa_exception_fp_ieee_underflow 0
		.amdhsa_exception_fp_ieee_inexact 0
		.amdhsa_exception_int_div_zero 0
	.end_amdhsa_kernel
	.section	.text._ZN9rocsolver6v33100L11swap_kernelIfiEEvT0_PT_S2_S4_S2_,"axG",@progbits,_ZN9rocsolver6v33100L11swap_kernelIfiEEvT0_PT_S2_S4_S2_,comdat
.Lfunc_end24:
	.size	_ZN9rocsolver6v33100L11swap_kernelIfiEEvT0_PT_S2_S4_S2_, .Lfunc_end24-_ZN9rocsolver6v33100L11swap_kernelIfiEEvT0_PT_S2_S4_S2_
                                        ; -- End function
	.section	.AMDGPU.csdata,"",@progbits
; Kernel info:
; codeLenInByte = 520
; NumSgprs: 18
; NumVgprs: 9
; ScratchSize: 0
; MemoryBound: 0
; FloatMode: 240
; IeeeMode: 1
; LDSByteSize: 0 bytes/workgroup (compile time only)
; SGPRBlocks: 2
; VGPRBlocks: 1
; NumSGPRsForWavesPerEU: 18
; NumVGPRsForWavesPerEU: 9
; Occupancy: 16
; WaveLimiterHint : 0
; COMPUTE_PGM_RSRC2:SCRATCH_EN: 0
; COMPUTE_PGM_RSRC2:USER_SGPR: 15
; COMPUTE_PGM_RSRC2:TRAP_HANDLER: 0
; COMPUTE_PGM_RSRC2:TGID_X_EN: 1
; COMPUTE_PGM_RSRC2:TGID_Y_EN: 0
; COMPUTE_PGM_RSRC2:TGID_Z_EN: 0
; COMPUTE_PGM_RSRC2:TIDIG_COMP_CNT: 0
	.section	.text._ZN9rocsolver6v33100L10rot_kernelIffiEEvT1_PT0_S2_S4_S2_T_S5_,"axG",@progbits,_ZN9rocsolver6v33100L10rot_kernelIffiEEvT1_PT0_S2_S4_S2_T_S5_,comdat
	.globl	_ZN9rocsolver6v33100L10rot_kernelIffiEEvT1_PT0_S2_S4_S2_T_S5_ ; -- Begin function _ZN9rocsolver6v33100L10rot_kernelIffiEEvT1_PT0_S2_S4_S2_T_S5_
	.p2align	8
	.type	_ZN9rocsolver6v33100L10rot_kernelIffiEEvT1_PT0_S2_S4_S2_T_S5_,@function
_ZN9rocsolver6v33100L10rot_kernelIffiEEvT1_PT0_S2_S4_S2_T_S5_: ; @_ZN9rocsolver6v33100L10rot_kernelIffiEEvT1_PT0_S2_S4_S2_T_S5_
; %bb.0:
	s_load_b32 s16, s[0:1], 0x0
	s_waitcnt lgkmcnt(0)
	s_cmp_lt_i32 s16, 1
	s_cbranch_scc1 .LBB25_10
; %bb.1:
	s_clause 0x2
	s_load_b32 s10, s[0:1], 0x3c
	s_load_b32 s11, s[0:1], 0x10
	s_load_b128 s[4:7], s[0:1], 0x20
	s_waitcnt lgkmcnt(0)
	s_clause 0x2
	s_load_b32 s7, s[0:1], 0x30
	s_load_b64 s[2:3], s[0:1], 0x8
	s_load_b64 s[8:9], s[0:1], 0x18
	s_and_b32 s0, s10, 0xffff
	s_cmp_eq_u32 s11, 1
	v_mad_u64_u32 v[1:2], null, s15, s0, v[0:1]
	s_cselect_b32 s1, -1, 0
	s_cmp_eq_u32 s4, 1
	s_waitcnt lgkmcnt(0)
	s_mul_i32 s10, s7, s0
	s_cselect_b32 s12, -1, 0
	s_delay_alu instid0(SALU_CYCLE_1) | instskip(NEXT) | instid1(VALU_DEP_1)
	s_and_b32 s1, s1, s12
	v_cmp_gt_i32_e64 s0, s16, v1
	s_and_b32 vcc_lo, exec_lo, s1
	s_mov_b32 s1, -1
	s_cbranch_vccnz .LBB25_6
; %bb.2:
	s_delay_alu instid0(VALU_DEP_1)
	s_and_saveexec_b32 s7, s0
	s_cbranch_execz .LBB25_5
; %bb.3:
	v_mad_i64_i32 v[2:3], null, s4, v1, 0
	v_mad_i64_i32 v[4:5], null, s11, v1, 0
	v_mov_b32_e32 v0, v1
	s_mul_hi_i32 s13, s4, s10
	s_mul_i32 s12, s4, s10
	s_mul_hi_i32 s15, s11, s10
	s_delay_alu instid0(VALU_DEP_3) | instskip(SKIP_1) | instid1(VALU_DEP_3)
	v_lshlrev_b64 v[2:3], 2, v[2:3]
	s_mul_i32 s14, s11, s10
	v_lshlrev_b64 v[4:5], 2, v[4:5]
	s_lshl_b64 s[12:13], s[12:13], 2
	s_lshl_b64 s[14:15], s[14:15], 2
	s_mov_b32 s4, 0
	v_add_co_u32 v2, vcc_lo, s8, v2
	v_add_co_ci_u32_e32 v3, vcc_lo, s9, v3, vcc_lo
	v_add_co_u32 v4, vcc_lo, s2, v4
	v_add_co_ci_u32_e32 v5, vcc_lo, s3, v5, vcc_lo
	.p2align	6
.LBB25_4:                               ; =>This Inner Loop Header: Depth=1
	global_load_b32 v6, v[4:5], off
	global_load_b32 v7, v[2:3], off
	s_waitcnt vmcnt(0)
	v_dual_mul_f32 v8, s6, v6 :: v_dual_mul_f32 v9, s6, v7
	v_add_nc_u32_e32 v0, s10, v0
	s_delay_alu instid0(VALU_DEP_2) | instskip(NEXT) | instid1(VALU_DEP_3)
	v_fma_f32 v7, v7, s5, -v8
	v_fmac_f32_e32 v9, s5, v6
	s_delay_alu instid0(VALU_DEP_3) | instskip(SKIP_3) | instid1(VALU_DEP_1)
	v_cmp_le_i32_e32 vcc_lo, s16, v0
	global_store_b32 v[2:3], v7, off
	global_store_b32 v[4:5], v9, off
	v_add_co_u32 v2, s1, v2, s12
	v_add_co_ci_u32_e64 v3, s1, s13, v3, s1
	v_add_co_u32 v4, s1, v4, s14
	s_delay_alu instid0(VALU_DEP_1) | instskip(SKIP_1) | instid1(SALU_CYCLE_1)
	v_add_co_ci_u32_e64 v5, s1, s15, v5, s1
	s_or_b32 s4, vcc_lo, s4
	s_and_not1_b32 exec_lo, exec_lo, s4
	s_cbranch_execnz .LBB25_4
.LBB25_5:
	s_or_b32 exec_lo, exec_lo, s7
	s_mov_b32 s1, 0
.LBB25_6:
	s_delay_alu instid0(SALU_CYCLE_1)
	s_and_not1_b32 vcc_lo, exec_lo, s1
	s_cbranch_vccnz .LBB25_10
; %bb.7:
	s_and_saveexec_b32 s1, s0
	s_cbranch_execz .LBB25_10
; %bb.8:
	v_ashrrev_i32_e32 v2, 31, v1
	s_ashr_i32 s11, s10, 31
	s_mov_b32 s1, 0
	s_lshl_b64 s[12:13], s[10:11], 2
	s_delay_alu instid0(VALU_DEP_1)
	v_lshlrev_b64 v[2:3], 2, v[1:2]
	.p2align	6
.LBB25_9:                               ; =>This Inner Loop Header: Depth=1
	s_delay_alu instid0(VALU_DEP_1) | instskip(NEXT) | instid1(VALU_DEP_2)
	v_add_co_u32 v4, vcc_lo, s8, v2
	v_add_co_ci_u32_e32 v5, vcc_lo, s9, v3, vcc_lo
	v_add_co_u32 v6, vcc_lo, s2, v2
	v_add_co_ci_u32_e32 v7, vcc_lo, s3, v3, vcc_lo
	v_add_co_u32 v2, vcc_lo, v2, s12
	global_load_b32 v0, v[4:5], off
	global_load_b32 v8, v[6:7], off
	v_add_nc_u32_e32 v1, s10, v1
	v_add_co_ci_u32_e32 v3, vcc_lo, s13, v3, vcc_lo
	s_waitcnt vmcnt(1)
	v_mul_f32_e32 v9, s6, v0
	s_waitcnt vmcnt(0)
	v_mul_f32_e32 v10, s6, v8
	v_cmp_le_i32_e64 s0, s16, v1
	s_delay_alu instid0(VALU_DEP_3) | instskip(NEXT) | instid1(VALU_DEP_3)
	v_fmac_f32_e32 v9, s5, v8
	v_fma_f32 v0, v0, s5, -v10
	s_delay_alu instid0(VALU_DEP_3)
	s_or_b32 s1, s0, s1
	global_store_b32 v[4:5], v0, off
	global_store_b32 v[6:7], v9, off
	s_and_not1_b32 exec_lo, exec_lo, s1
	s_cbranch_execnz .LBB25_9
.LBB25_10:
	s_nop 0
	s_sendmsg sendmsg(MSG_DEALLOC_VGPRS)
	s_endpgm
	.section	.rodata,"a",@progbits
	.p2align	6, 0x0
	.amdhsa_kernel _ZN9rocsolver6v33100L10rot_kernelIffiEEvT1_PT0_S2_S4_S2_T_S5_
		.amdhsa_group_segment_fixed_size 0
		.amdhsa_private_segment_fixed_size 0
		.amdhsa_kernarg_size 304
		.amdhsa_user_sgpr_count 15
		.amdhsa_user_sgpr_dispatch_ptr 0
		.amdhsa_user_sgpr_queue_ptr 0
		.amdhsa_user_sgpr_kernarg_segment_ptr 1
		.amdhsa_user_sgpr_dispatch_id 0
		.amdhsa_user_sgpr_private_segment_size 0
		.amdhsa_wavefront_size32 1
		.amdhsa_uses_dynamic_stack 0
		.amdhsa_enable_private_segment 0
		.amdhsa_system_sgpr_workgroup_id_x 1
		.amdhsa_system_sgpr_workgroup_id_y 0
		.amdhsa_system_sgpr_workgroup_id_z 0
		.amdhsa_system_sgpr_workgroup_info 0
		.amdhsa_system_vgpr_workitem_id 0
		.amdhsa_next_free_vgpr 11
		.amdhsa_next_free_sgpr 17
		.amdhsa_reserve_vcc 1
		.amdhsa_float_round_mode_32 0
		.amdhsa_float_round_mode_16_64 0
		.amdhsa_float_denorm_mode_32 3
		.amdhsa_float_denorm_mode_16_64 3
		.amdhsa_dx10_clamp 1
		.amdhsa_ieee_mode 1
		.amdhsa_fp16_overflow 0
		.amdhsa_workgroup_processor_mode 1
		.amdhsa_memory_ordered 1
		.amdhsa_forward_progress 0
		.amdhsa_shared_vgpr_count 0
		.amdhsa_exception_fp_ieee_invalid_op 0
		.amdhsa_exception_fp_denorm_src 0
		.amdhsa_exception_fp_ieee_div_zero 0
		.amdhsa_exception_fp_ieee_overflow 0
		.amdhsa_exception_fp_ieee_underflow 0
		.amdhsa_exception_fp_ieee_inexact 0
		.amdhsa_exception_int_div_zero 0
	.end_amdhsa_kernel
	.section	.text._ZN9rocsolver6v33100L10rot_kernelIffiEEvT1_PT0_S2_S4_S2_T_S5_,"axG",@progbits,_ZN9rocsolver6v33100L10rot_kernelIffiEEvT1_PT0_S2_S4_S2_T_S5_,comdat
.Lfunc_end25:
	.size	_ZN9rocsolver6v33100L10rot_kernelIffiEEvT1_PT0_S2_S4_S2_T_S5_, .Lfunc_end25-_ZN9rocsolver6v33100L10rot_kernelIffiEEvT1_PT0_S2_S4_S2_T_S5_
                                        ; -- End function
	.section	.AMDGPU.csdata,"",@progbits
; Kernel info:
; codeLenInByte = 572
; NumSgprs: 19
; NumVgprs: 11
; ScratchSize: 0
; MemoryBound: 0
; FloatMode: 240
; IeeeMode: 1
; LDSByteSize: 0 bytes/workgroup (compile time only)
; SGPRBlocks: 2
; VGPRBlocks: 1
; NumSGPRsForWavesPerEU: 19
; NumVGPRsForWavesPerEU: 11
; Occupancy: 16
; WaveLimiterHint : 0
; COMPUTE_PGM_RSRC2:SCRATCH_EN: 0
; COMPUTE_PGM_RSRC2:USER_SGPR: 15
; COMPUTE_PGM_RSRC2:TRAP_HANDLER: 0
; COMPUTE_PGM_RSRC2:TGID_X_EN: 1
; COMPUTE_PGM_RSRC2:TGID_Y_EN: 0
; COMPUTE_PGM_RSRC2:TGID_Z_EN: 0
; COMPUTE_PGM_RSRC2:TIDIG_COMP_CNT: 0
	.section	.text._ZN9rocsolver6v33100L11lasr_kernelIffPfiEEv13rocblas_side_14rocblas_pivot_15rocblas_direct_T2_S6_PT0_lS8_lT1_lS6_lS6_,"axG",@progbits,_ZN9rocsolver6v33100L11lasr_kernelIffPfiEEv13rocblas_side_14rocblas_pivot_15rocblas_direct_T2_S6_PT0_lS8_lT1_lS6_lS6_,comdat
	.globl	_ZN9rocsolver6v33100L11lasr_kernelIffPfiEEv13rocblas_side_14rocblas_pivot_15rocblas_direct_T2_S6_PT0_lS8_lT1_lS6_lS6_ ; -- Begin function _ZN9rocsolver6v33100L11lasr_kernelIffPfiEEv13rocblas_side_14rocblas_pivot_15rocblas_direct_T2_S6_PT0_lS8_lT1_lS6_lS6_
	.p2align	8
	.type	_ZN9rocsolver6v33100L11lasr_kernelIffPfiEEv13rocblas_side_14rocblas_pivot_15rocblas_direct_T2_S6_PT0_lS8_lT1_lS6_lS6_,@function
_ZN9rocsolver6v33100L11lasr_kernelIffPfiEEv13rocblas_side_14rocblas_pivot_15rocblas_direct_T2_S6_PT0_lS8_lT1_lS6_lS6_: ; @_ZN9rocsolver6v33100L11lasr_kernelIffPfiEEv13rocblas_side_14rocblas_pivot_15rocblas_direct_T2_S6_PT0_lS8_lT1_lS6_lS6_
; %bb.0:
	s_load_b32 s33, s[0:1], 0x58
	s_waitcnt lgkmcnt(0)
	s_cmp_ge_u32 s15, s33
	s_cbranch_scc1 .LBB26_98
; %bb.1:
	s_clause 0x5
	s_load_b32 s12, s[0:1], 0x48
	s_load_b128 s[20:23], s[0:1], 0x38
	s_load_b64 s[24:25], s[0:1], 0x68
	s_load_b128 s[16:19], s[0:1], 0x0
	s_load_b32 s52, s[0:1], 0x10
	s_load_b32 s28, s[0:1], 0x60
	s_mov_b32 s43, 0
	v_mov_b32_e32 v32, 0
	s_mov_b32 s45, s43
	s_waitcnt lgkmcnt(0)
	s_ashr_i32 s13, s12, 31
	s_lshl_b64 s[2:3], s[22:23], 2
	s_and_b32 s26, s25, 0xffff
	s_add_u32 s25, s20, s2
	s_addc_u32 s53, s21, s3
	s_cmpk_lg_i32 s16, 0x8d
	v_mad_u64_u32 v[1:2], null, s14, s26, v[0:1]
	s_cselect_b32 s27, -1, 0
	s_cmpk_lg_i32 s16, 0x8e
	s_mov_b32 s22, s19
	s_cselect_b32 s30, -1, 0
	s_cmpk_lg_i32 s17, 0x119
	s_cselect_b32 s29, -1, 0
	s_cmpk_lg_i32 s17, 0x11b
	v_mad_i64_i32 v[2:3], null, s12, v1, 0
	s_cselect_b32 s31, -1, 0
	s_cmpk_lg_i32 s17, 0x11a
	s_load_b64 s[16:17], s[0:1], 0x50
	s_cselect_b32 s34, -1, 0
	s_cmpk_lg_i32 s18, 0xab
	s_mul_i32 s26, s28, s26
	s_cselect_b32 s35, -1, 0
	s_or_b32 s36, s27, s29
	s_ashr_i32 s23, s19, 31
	s_or_b32 s4, s36, s35
	s_add_i32 s42, s19, -2
	s_xor_b32 s14, s4, -1
	s_cmpk_lg_i32 s18, 0xac
	s_load_b256 s[4:11], s[0:1], 0x18
	s_cselect_b32 s37, -1, 0
	v_lshlrev_b64 v[2:3], 2, v[2:3]
	s_or_b32 s0, s36, s37
	v_cmp_le_i32_e32 vcc_lo, s19, v1
	s_xor_b32 s18, s0, -1
	s_cmp_gt_i32 s19, 1
	v_cmp_gt_i32_e64 s0, s52, v1
	s_cselect_b32 s54, -1, 0
	s_or_b32 s1, s27, s34
	s_or_b32 s27, s27, s31
	s_or_b32 s28, s30, s29
	s_or_b32 s29, s1, s35
	s_or_b32 s1, s1, s37
	s_or_b32 s36, s27, s35
	s_or_b32 s27, s27, s37
	s_or_b32 s38, s28, s35
	s_or_b32 s28, s28, s37
	s_xor_b32 s55, s29, -1
	s_xor_b32 s56, s1, -1
	;; [unrolled: 1-line block ×5, first 2 shown]
	s_add_i32 s60, s52, -1
	s_xor_b32 s61, s28, -1
	s_add_i32 s44, s52, -2
	s_cmp_gt_i32 s52, 1
	s_mul_i32 s36, s12, s26
	s_cselect_b32 s62, -1, 0
	s_or_b32 s27, s30, s34
	s_lshl_b64 s[38:39], s[42:43], 2
	s_or_b32 s34, s27, s35
	s_or_b32 s27, s27, s37
	s_xor_b32 s63, s34, -1
	s_xor_b32 s64, s27, -1
	s_or_b32 s27, s30, s31
	s_or_b32 s30, s37, vcc_lo
	v_add_co_u32 v4, vcc_lo, v2, s2
	v_add_co_ci_u32_e32 v3, vcc_lo, s3, v3, vcc_lo
	s_or_b32 s31, s27, s35
	s_or_b32 s27, s27, s30
	s_mul_hi_i32 s37, s12, s26
	v_add_co_u32 v0, vcc_lo, s20, v4
	s_xor_b32 s65, s31, -1
	s_xor_b32 s66, s27, -1
	s_add_i32 s30, s19, -1
	s_waitcnt lgkmcnt(0)
	s_lshl_b64 s[34:35], s[16:17], 2
	s_ashr_i32 s27, s26, 31
	s_lshl_b64 s[36:37], s[36:37], 2
	s_lshl_b64 s[6:7], s[6:7], 2
	;; [unrolled: 1-line block ×3, first 2 shown]
	v_add_co_ci_u32_e32 v15, vcc_lo, s21, v3, vcc_lo
	s_add_u32 s67, s4, s38
	s_addc_u32 s68, s5, s39
	s_add_u32 s69, s8, s38
	v_add_co_u32 v16, vcc_lo, v0, 4
	s_addc_u32 s70, s9, s39
	s_add_u32 s31, s20, s38
	v_add_co_ci_u32_e32 v17, vcc_lo, 0, v15, vcc_lo
	s_addc_u32 s38, s21, s39
	v_add_co_u32 v18, vcc_lo, s31, v4
	v_add_co_ci_u32_e32 v19, vcc_lo, s38, v3, vcc_lo
	s_mov_b32 s31, s43
	s_mul_i32 s28, s12, s60
	s_lshl_b64 s[38:39], s[30:31], 2
	v_add_co_u32 v20, vcc_lo, v18, 4
	s_add_i32 s31, s19, 1
	s_mul_i32 s40, s13, s60
	s_mul_hi_u32 s41, s12, s60
	s_add_u32 s38, s20, s38
	v_add_co_ci_u32_e32 v21, vcc_lo, 0, v19, vcc_lo
	s_addc_u32 s39, s21, s39
	s_add_i32 s41, s41, s40
	s_mov_b32 s40, s28
	v_add_co_u32 v22, vcc_lo, s38, v4
	s_lshl_b64 s[46:47], s[40:41], 2
	v_add_co_ci_u32_e32 v23, vcc_lo, s39, v3, vcc_lo
	s_lshl_b64 s[38:39], s[12:13], 2
	s_lshl_b64 s[40:41], s[26:27], 2
	s_add_u32 s27, s46, s2
	v_ashrrev_i32_e32 v2, 31, v1
	s_addc_u32 s42, s47, s3
	s_add_u32 s46, s20, s27
	s_addc_u32 s47, s21, s42
	s_lshl_b64 s[42:43], s[44:45], 2
	v_lshlrev_b64 v[2:3], 2, v[1:2]
	s_add_u32 s27, s4, s42
	s_addc_u32 s71, s5, s43
	s_add_u32 s72, s8, s42
	s_mul_i32 s42, s13, s44
	s_mul_hi_u32 s45, s12, s44
	s_addc_u32 s13, s9, s43
	s_add_i32 s43, s45, s42
	s_mul_i32 s42, s12, s44
	v_add_co_u32 v24, vcc_lo, s25, v2
	s_lshl_b64 s[42:43], s[42:43], 2
	v_add_co_ci_u32_e32 v25, vcc_lo, s53, v3, vcc_lo
	s_add_u32 s42, s42, s2
	s_addc_u32 s43, s43, s3
	v_add_co_u32 v26, vcc_lo, s46, v2
	s_add_u32 s42, s20, s42
	s_addc_u32 s43, s21, s43
	v_add_co_ci_u32_e32 v27, vcc_lo, s47, v3, vcc_lo
	s_add_u32 s2, s2, s38
	v_add_co_u32 v28, vcc_lo, s42, v2
	s_addc_u32 s3, s3, s39
	s_add_u32 s2, s20, s2
	v_add_co_ci_u32_e32 v29, vcc_lo, s43, v3, vcc_lo
	s_addc_u32 s3, s21, s3
	v_add_co_u32 v30, vcc_lo, s2, v2
	v_cmp_gt_i32_e64 s1, s19, v1
	v_add_co_ci_u32_e32 v31, vcc_lo, s3, v3, vcc_lo
	s_add_i32 s73, s52, 1
	s_sub_u32 s74, 0, s38
	s_mul_hi_i32 s29, s12, s60
	s_subb_u32 s75, 0, s39
	s_branch .LBB26_4
.LBB26_2:                               ;   in Loop: Header=BB26_4 Depth=1
	s_or_b32 exec_lo, exec_lo, s42
.LBB26_3:                               ;   in Loop: Header=BB26_4 Depth=1
	s_add_i32 s15, s15, s24
	s_delay_alu instid0(SALU_CYCLE_1)
	s_cmp_ge_u32 s15, s33
	s_cbranch_scc1 .LBB26_98
.LBB26_4:                               ; =>This Loop Header: Depth=1
                                        ;     Child Loop BB26_8 Depth 2
                                        ;       Child Loop BB26_9 Depth 3
                                        ;     Child Loop BB26_16 Depth 2
                                        ;       Child Loop BB26_17 Depth 3
	;; [unrolled: 2-line block ×12, first 2 shown]
	s_mul_i32 s2, s7, s15
	s_mul_hi_u32 s3, s6, s15
	s_mul_i32 s80, s6, s15
	s_add_i32 s51, s3, s2
	s_mul_i32 s2, s11, s15
	s_mul_hi_u32 s3, s10, s15
	s_mul_i32 s81, s10, s15
	s_add_i32 s50, s3, s2
	;; [unrolled: 4-line block ×3, first 2 shown]
	s_add_u32 s20, s4, s80
	s_addc_u32 s21, s5, s51
	s_mul_i32 s2, s15, s17
	s_mul_hi_u32 s3, s15, s16
	s_add_u32 s42, s8, s81
	s_addc_u32 s43, s9, s50
	s_add_i32 s3, s3, s2
	s_mul_i32 s2, s15, s16
	v_add_co_u32 v2, vcc_lo, v16, s79
	s_lshl_b64 s[2:3], s[2:3], 2
	v_add_co_ci_u32_e32 v3, vcc_lo, s78, v17, vcc_lo
	s_add_u32 s76, s25, s2
	s_addc_u32 s77, s53, s3
	s_and_not1_b32 vcc_lo, exec_lo, s14
	s_mov_b32 s2, -1
	s_cbranch_vccnz .LBB26_11
; %bb.5:                                ;   in Loop: Header=BB26_4 Depth=1
	s_and_saveexec_b32 s46, s0
	s_cbranch_execz .LBB26_10
; %bb.6:                                ;   in Loop: Header=BB26_4 Depth=1
	s_lshl_b64 s[2:3], s[22:23], 2
	v_dual_mov_b32 v5, v3 :: v_dual_mov_b32 v4, v2
	s_add_u32 s2, s76, s2
	v_mov_b32_e32 v10, v1
	s_addc_u32 s3, s77, s3
	s_add_u32 s47, s2, -4
	s_addc_u32 s48, s3, -1
	s_mov_b32 s49, 0
	s_branch .LBB26_8
.LBB26_7:                               ;   in Loop: Header=BB26_8 Depth=2
	v_add_nc_u32_e32 v10, s26, v10
	v_add_co_u32 v6, vcc_lo, s47, v6
	v_add_co_ci_u32_e32 v7, vcc_lo, s48, v7, vcc_lo
	s_delay_alu instid0(VALU_DEP_3) | instskip(SKIP_1) | instid1(VALU_DEP_1)
	v_cmp_le_i32_e32 vcc_lo, s52, v10
	v_add_co_u32 v4, s2, v4, s36
	v_add_co_ci_u32_e64 v5, s2, s37, v5, s2
	s_or_b32 s49, vcc_lo, s49
	s_waitcnt vmcnt(0)
	global_store_b32 v[6:7], v11, off
	s_and_not1_b32 exec_lo, exec_lo, s49
	s_cbranch_execz .LBB26_10
.LBB26_8:                               ;   Parent Loop BB26_4 Depth=1
                                        ; =>  This Loop Header: Depth=2
                                        ;       Child Loop BB26_9 Depth 3
	v_mad_i64_i32 v[6:7], null, v10, s12, 0
	s_mov_b64 s[2:3], s[42:43]
	s_mov_b64 s[44:45], s[20:21]
	s_mov_b32 s82, s30
	s_delay_alu instid0(VALU_DEP_1) | instskip(NEXT) | instid1(VALU_DEP_1)
	v_lshlrev_b64 v[6:7], 2, v[6:7]
	v_add_co_u32 v8, vcc_lo, s76, v6
	s_delay_alu instid0(VALU_DEP_2)
	v_add_co_ci_u32_e32 v9, vcc_lo, s77, v7, vcc_lo
	s_and_not1_b32 vcc_lo, exec_lo, s54
	global_load_b32 v11, v[8:9], off
	v_dual_mov_b32 v9, v5 :: v_dual_mov_b32 v8, v4
	s_cbranch_vccnz .LBB26_7
	.p2align	6
.LBB26_9:                               ;   Parent Loop BB26_4 Depth=1
                                        ;     Parent Loop BB26_8 Depth=2
                                        ; =>    This Inner Loop Header: Depth=3
	global_load_b32 v12, v32, s[2:3]
	global_load_b32 v13, v[8:9], off
	global_load_b32 v14, v32, s[44:45]
	s_add_i32 s82, s82, -1
	s_add_u32 s44, s44, 4
	s_addc_u32 s45, s45, 0
	s_add_u32 s2, s2, 4
	s_addc_u32 s3, s3, 0
	s_cmp_eq_u32 s82, 0
	s_waitcnt vmcnt(1)
	v_dual_mul_f32 v33, v12, v13 :: v_dual_mul_f32 v12, v11, v12
	s_waitcnt vmcnt(0)
	s_delay_alu instid0(VALU_DEP_1) | instskip(NEXT) | instid1(VALU_DEP_2)
	v_fmac_f32_e32 v33, v11, v14
	v_fma_f32 v11, v14, v13, -v12
	global_store_b32 v[8:9], v33, off offset:-4
	v_add_co_u32 v8, vcc_lo, v8, 4
	v_add_co_ci_u32_e32 v9, vcc_lo, 0, v9, vcc_lo
	s_cbranch_scc0 .LBB26_9
	s_branch .LBB26_7
.LBB26_10:                              ;   in Loop: Header=BB26_4 Depth=1
	s_or_b32 exec_lo, exec_lo, s46
	s_mov_b32 s2, 0
.LBB26_11:                              ;   in Loop: Header=BB26_4 Depth=1
	s_delay_alu instid0(SALU_CYCLE_1)
	s_and_not1_b32 vcc_lo, exec_lo, s2
	s_cbranch_vccnz .LBB26_3
; %bb.12:                               ;   in Loop: Header=BB26_4 Depth=1
	s_add_u32 s44, s67, s80
	s_addc_u32 s45, s68, s51
	s_add_u32 s46, s69, s81
	s_addc_u32 s47, s70, s50
	s_and_not1_b32 vcc_lo, exec_lo, s18
	s_mov_b32 s2, -1
	s_cbranch_vccnz .LBB26_19
; %bb.13:                               ;   in Loop: Header=BB26_4 Depth=1
	s_and_saveexec_b32 s82, s0
	s_cbranch_execz .LBB26_18
; %bb.14:                               ;   in Loop: Header=BB26_4 Depth=1
	s_lshl_b64 s[2:3], s[22:23], 2
	v_add_co_u32 v4, vcc_lo, v20, s79
	v_add_co_ci_u32_e32 v5, vcc_lo, s78, v21, vcc_lo
	s_add_u32 s2, s76, s2
	v_mov_b32_e32 v10, v1
	s_addc_u32 s3, s77, s3
	s_add_u32 s83, s2, -4
	s_addc_u32 s84, s3, -1
	s_mov_b32 s85, 0
	s_branch .LBB26_16
.LBB26_15:                              ;   in Loop: Header=BB26_16 Depth=2
	v_add_nc_u32_e32 v10, s26, v10
	v_add_co_u32 v6, vcc_lo, s76, v6
	v_add_co_ci_u32_e32 v7, vcc_lo, s77, v7, vcc_lo
	s_delay_alu instid0(VALU_DEP_3) | instskip(SKIP_1) | instid1(VALU_DEP_1)
	v_cmp_le_i32_e32 vcc_lo, s52, v10
	v_add_co_u32 v4, s2, v4, s36
	v_add_co_ci_u32_e64 v5, s2, s37, v5, s2
	s_or_b32 s85, vcc_lo, s85
	s_waitcnt vmcnt(0)
	global_store_b32 v[6:7], v11, off
	s_and_not1_b32 exec_lo, exec_lo, s85
	s_cbranch_execz .LBB26_18
.LBB26_16:                              ;   Parent Loop BB26_4 Depth=1
                                        ; =>  This Loop Header: Depth=2
                                        ;       Child Loop BB26_17 Depth 3
	v_mad_i64_i32 v[6:7], null, v10, s12, 0
	s_mov_b64 s[2:3], s[46:47]
	s_mov_b64 s[48:49], s[44:45]
	s_mov_b32 s86, s30
	s_delay_alu instid0(VALU_DEP_1) | instskip(NEXT) | instid1(VALU_DEP_1)
	v_lshlrev_b64 v[6:7], 2, v[6:7]
	v_add_co_u32 v8, vcc_lo, s83, v6
	s_delay_alu instid0(VALU_DEP_2)
	v_add_co_ci_u32_e32 v9, vcc_lo, s84, v7, vcc_lo
	s_and_not1_b32 vcc_lo, exec_lo, s54
	global_load_b32 v11, v[8:9], off
	v_dual_mov_b32 v9, v5 :: v_dual_mov_b32 v8, v4
	s_cbranch_vccnz .LBB26_15
	.p2align	6
.LBB26_17:                              ;   Parent Loop BB26_4 Depth=1
                                        ;     Parent Loop BB26_16 Depth=2
                                        ; =>    This Inner Loop Header: Depth=3
	global_load_b32 v14, v32, s[2:3]
	global_load_b32 v33, v[8:9], off offset:-4
	global_load_b32 v34, v32, s[48:49]
	s_waitcnt vmcnt(3)
	v_mov_b32_e32 v35, v11
	v_add_co_u32 v12, vcc_lo, v8, -4
	v_add_co_ci_u32_e32 v13, vcc_lo, -1, v9, vcc_lo
	s_add_i32 s86, s86, -1
	s_add_u32 s48, s48, -4
	s_addc_u32 s49, s49, -1
	s_add_u32 s2, s2, -4
	s_addc_u32 s3, s3, -1
	s_cmp_eq_u32 s86, 0
	s_waitcnt vmcnt(1)
	v_mul_f32_e32 v36, v14, v33
	s_waitcnt vmcnt(0)
	v_mul_f32_e32 v11, v34, v33
	s_delay_alu instid0(VALU_DEP_2)
	v_fma_f32 v33, v35, v34, -v36
	global_store_b32 v[8:9], v33, off
	v_dual_mov_b32 v8, v12 :: v_dual_fmac_f32 v11, v35, v14
	v_mov_b32_e32 v9, v13
	s_cbranch_scc0 .LBB26_17
	s_branch .LBB26_15
.LBB26_18:                              ;   in Loop: Header=BB26_4 Depth=1
	s_or_b32 exec_lo, exec_lo, s82
	s_mov_b32 s2, 0
.LBB26_19:                              ;   in Loop: Header=BB26_4 Depth=1
	s_delay_alu instid0(SALU_CYCLE_1)
	s_and_not1_b32 vcc_lo, exec_lo, s2
	s_cbranch_vccnz .LBB26_3
; %bb.20:                               ;   in Loop: Header=BB26_4 Depth=1
	s_and_not1_b32 vcc_lo, exec_lo, s55
	s_mov_b32 s2, -1
	s_cbranch_vccnz .LBB26_27
; %bb.21:                               ;   in Loop: Header=BB26_4 Depth=1
	s_and_saveexec_b32 s82, s0
	s_cbranch_execz .LBB26_26
; %bb.22:                               ;   in Loop: Header=BB26_4 Depth=1
	v_mov_b32_e32 v8, v1
	s_mov_b32 s83, 0
	s_branch .LBB26_24
.LBB26_23:                              ;   in Loop: Header=BB26_24 Depth=2
	v_add_nc_u32_e32 v8, s26, v8
	v_add_co_u32 v2, s2, v2, s36
	s_delay_alu instid0(VALU_DEP_1) | instskip(NEXT) | instid1(VALU_DEP_3)
	v_add_co_ci_u32_e64 v3, s2, s37, v3, s2
	v_cmp_le_i32_e32 vcc_lo, s52, v8
	s_waitcnt vmcnt(0)
	global_store_b32 v[4:5], v9, off
	s_or_b32 s83, vcc_lo, s83
	s_delay_alu instid0(SALU_CYCLE_1)
	s_and_not1_b32 exec_lo, exec_lo, s83
	s_cbranch_execz .LBB26_26
.LBB26_24:                              ;   Parent Loop BB26_4 Depth=1
                                        ; =>  This Loop Header: Depth=2
                                        ;       Child Loop BB26_25 Depth 3
	s_delay_alu instid0(VALU_DEP_1) | instskip(SKIP_4) | instid1(VALU_DEP_2)
	v_mad_i64_i32 v[4:5], null, v8, s12, 0
	v_dual_mov_b32 v7, v3 :: v_dual_mov_b32 v6, v2
	s_mov_b32 s84, s30
	s_mov_b64 s[2:3], s[20:21]
	s_mov_b64 s[48:49], s[42:43]
	v_lshlrev_b64 v[4:5], 2, v[4:5]
	s_delay_alu instid0(VALU_DEP_1) | instskip(NEXT) | instid1(VALU_DEP_2)
	v_add_co_u32 v4, vcc_lo, s76, v4
	v_add_co_ci_u32_e32 v5, vcc_lo, s77, v5, vcc_lo
	s_and_not1_b32 vcc_lo, exec_lo, s54
	global_load_b32 v9, v[4:5], off
	s_cbranch_vccnz .LBB26_23
	.p2align	6
.LBB26_25:                              ;   Parent Loop BB26_4 Depth=1
                                        ;     Parent Loop BB26_24 Depth=2
                                        ; =>    This Inner Loop Header: Depth=3
	s_clause 0x1
	global_load_b32 v10, v32, s[48:49]
	global_load_b32 v11, v32, s[2:3]
	global_load_b32 v12, v[6:7], off
	s_waitcnt vmcnt(3)
	v_mov_b32_e32 v13, v9
	s_add_u32 s48, s48, 4
	s_addc_u32 s49, s49, 0
	s_add_u32 s2, s2, 4
	s_addc_u32 s3, s3, 0
	s_add_i32 s84, s84, -1
	s_delay_alu instid0(SALU_CYCLE_1) | instskip(SKIP_2) | instid1(VALU_DEP_1)
	s_cmp_eq_u32 s84, 0
	s_waitcnt vmcnt(0)
	v_dual_mul_f32 v14, v13, v10 :: v_dual_mul_f32 v9, v10, v12
	v_fma_f32 v10, v11, v12, -v14
	s_delay_alu instid0(VALU_DEP_2)
	v_fmac_f32_e32 v9, v13, v11
	global_store_b32 v[6:7], v10, off
	v_add_co_u32 v6, vcc_lo, v6, 4
	v_add_co_ci_u32_e32 v7, vcc_lo, 0, v7, vcc_lo
	s_cbranch_scc0 .LBB26_25
	s_branch .LBB26_23
.LBB26_26:                              ;   in Loop: Header=BB26_4 Depth=1
	s_or_b32 exec_lo, exec_lo, s82
	s_mov_b32 s2, 0
.LBB26_27:                              ;   in Loop: Header=BB26_4 Depth=1
	s_delay_alu instid0(SALU_CYCLE_1)
	s_and_not1_b32 vcc_lo, exec_lo, s2
	s_cbranch_vccnz .LBB26_3
; %bb.28:                               ;   in Loop: Header=BB26_4 Depth=1
	s_and_not1_b32 vcc_lo, exec_lo, s56
	s_mov_b32 s2, -1
	s_cbranch_vccnz .LBB26_35
; %bb.29:                               ;   in Loop: Header=BB26_4 Depth=1
	s_and_saveexec_b32 s82, s0
	s_cbranch_execz .LBB26_34
; %bb.30:                               ;   in Loop: Header=BB26_4 Depth=1
	v_add_co_u32 v2, vcc_lo, v22, s79
	v_add_co_ci_u32_e32 v3, vcc_lo, s78, v23, vcc_lo
	v_mov_b32_e32 v8, v1
	s_mov_b32 s83, 0
	s_branch .LBB26_32
.LBB26_31:                              ;   in Loop: Header=BB26_32 Depth=2
	v_add_nc_u32_e32 v8, s26, v8
	v_add_co_u32 v2, s2, v2, s36
	s_delay_alu instid0(VALU_DEP_1) | instskip(NEXT) | instid1(VALU_DEP_3)
	v_add_co_ci_u32_e64 v3, s2, s37, v3, s2
	v_cmp_le_i32_e32 vcc_lo, s52, v8
	s_waitcnt vmcnt(0)
	global_store_b32 v[4:5], v9, off
	s_or_b32 s83, vcc_lo, s83
	s_delay_alu instid0(SALU_CYCLE_1)
	s_and_not1_b32 exec_lo, exec_lo, s83
	s_cbranch_execz .LBB26_34
.LBB26_32:                              ;   Parent Loop BB26_4 Depth=1
                                        ; =>  This Loop Header: Depth=2
                                        ;       Child Loop BB26_33 Depth 3
	s_delay_alu instid0(VALU_DEP_1) | instskip(SKIP_4) | instid1(VALU_DEP_2)
	v_mad_i64_i32 v[4:5], null, v8, s12, 0
	v_dual_mov_b32 v7, v3 :: v_dual_mov_b32 v6, v2
	s_mov_b64 s[2:3], s[46:47]
	s_mov_b64 s[48:49], s[44:45]
	s_mov_b32 s84, s31
	v_lshlrev_b64 v[4:5], 2, v[4:5]
	s_delay_alu instid0(VALU_DEP_1) | instskip(NEXT) | instid1(VALU_DEP_2)
	v_add_co_u32 v4, vcc_lo, s76, v4
	v_add_co_ci_u32_e32 v5, vcc_lo, s77, v5, vcc_lo
	s_and_not1_b32 vcc_lo, exec_lo, s54
	global_load_b32 v9, v[4:5], off
	s_cbranch_vccnz .LBB26_31
	.p2align	6
.LBB26_33:                              ;   Parent Loop BB26_4 Depth=1
                                        ;     Parent Loop BB26_32 Depth=2
                                        ; =>    This Inner Loop Header: Depth=3
	s_clause 0x1
	global_load_b32 v10, v32, s[2:3]
	global_load_b32 v11, v32, s[48:49]
	global_load_b32 v12, v[6:7], off
	s_waitcnt vmcnt(3)
	v_mov_b32_e32 v13, v9
	s_add_i32 s84, s84, -1
	s_add_u32 s48, s48, -4
	s_addc_u32 s49, s49, -1
	s_add_u32 s2, s2, -4
	s_addc_u32 s3, s3, -1
	s_cmp_lt_u32 s84, 3
	s_waitcnt vmcnt(0)
	v_dual_mul_f32 v14, v13, v10 :: v_dual_mul_f32 v9, v10, v12
	s_delay_alu instid0(VALU_DEP_1) | instskip(NEXT) | instid1(VALU_DEP_2)
	v_fma_f32 v10, v11, v12, -v14
	v_fmac_f32_e32 v9, v13, v11
	global_store_b32 v[6:7], v10, off
	v_add_co_u32 v6, vcc_lo, v6, -4
	v_add_co_ci_u32_e32 v7, vcc_lo, -1, v7, vcc_lo
	s_cbranch_scc0 .LBB26_33
	s_branch .LBB26_31
.LBB26_34:                              ;   in Loop: Header=BB26_4 Depth=1
	s_or_b32 exec_lo, exec_lo, s82
	s_mov_b32 s2, 0
.LBB26_35:                              ;   in Loop: Header=BB26_4 Depth=1
	s_delay_alu instid0(SALU_CYCLE_1)
	s_and_not1_b32 vcc_lo, exec_lo, s2
	s_cbranch_vccnz .LBB26_3
; %bb.36:                               ;   in Loop: Header=BB26_4 Depth=1
	s_and_not1_b32 vcc_lo, exec_lo, s57
	s_mov_b32 s2, -1
	s_cbranch_vccnz .LBB26_43
; %bb.37:                               ;   in Loop: Header=BB26_4 Depth=1
	s_and_saveexec_b32 s82, s0
	s_cbranch_execz .LBB26_42
; %bb.38:                               ;   in Loop: Header=BB26_4 Depth=1
	s_lshl_b64 s[2:3], s[22:23], 2
	v_add_co_u32 v2, vcc_lo, v0, s79
	v_add_co_ci_u32_e32 v3, vcc_lo, s78, v15, vcc_lo
	s_add_u32 s2, s76, s2
	v_mov_b32_e32 v8, v1
	s_addc_u32 s3, s77, s3
	s_add_u32 s83, s2, -4
	s_addc_u32 s84, s3, -1
	s_mov_b32 s85, 0
	s_branch .LBB26_40
.LBB26_39:                              ;   in Loop: Header=BB26_40 Depth=2
	v_add_nc_u32_e32 v8, s26, v8
	v_add_co_u32 v2, s2, v2, s36
	s_delay_alu instid0(VALU_DEP_1) | instskip(NEXT) | instid1(VALU_DEP_3)
	v_add_co_ci_u32_e64 v3, s2, s37, v3, s2
	v_cmp_le_i32_e32 vcc_lo, s52, v8
	s_waitcnt vmcnt(0)
	global_store_b32 v[4:5], v9, off
	s_or_b32 s85, vcc_lo, s85
	s_delay_alu instid0(SALU_CYCLE_1)
	s_and_not1_b32 exec_lo, exec_lo, s85
	s_cbranch_execz .LBB26_42
.LBB26_40:                              ;   Parent Loop BB26_4 Depth=1
                                        ; =>  This Loop Header: Depth=2
                                        ;       Child Loop BB26_41 Depth 3
	v_mad_i64_i32 v[4:5], null, v8, s12, 0
	v_dual_mov_b32 v7, v3 :: v_dual_mov_b32 v6, v2
	s_mov_b64 s[2:3], s[42:43]
	s_mov_b64 s[48:49], s[20:21]
	s_mov_b32 s86, s30
	s_delay_alu instid0(VALU_DEP_2) | instskip(NEXT) | instid1(VALU_DEP_1)
	v_lshlrev_b64 v[4:5], 2, v[4:5]
	v_add_co_u32 v4, vcc_lo, s83, v4
	s_delay_alu instid0(VALU_DEP_2)
	v_add_co_ci_u32_e32 v5, vcc_lo, s84, v5, vcc_lo
	s_and_not1_b32 vcc_lo, exec_lo, s54
	global_load_b32 v9, v[4:5], off
	s_cbranch_vccnz .LBB26_39
	.p2align	6
.LBB26_41:                              ;   Parent Loop BB26_4 Depth=1
                                        ;     Parent Loop BB26_40 Depth=2
                                        ; =>    This Inner Loop Header: Depth=3
	global_load_b32 v10, v[6:7], off
	s_clause 0x1
	global_load_b32 v11, v32, s[48:49]
	global_load_b32 v12, v32, s[2:3]
	s_add_i32 s86, s86, -1
	s_add_u32 s48, s48, 4
	s_addc_u32 s49, s49, 0
	s_add_u32 s2, s2, 4
	s_addc_u32 s3, s3, 0
	s_cmp_eq_u32 s86, 0
	s_waitcnt vmcnt(1)
	v_mul_f32_e32 v13, v11, v10
	s_waitcnt vmcnt(0)
	s_delay_alu instid0(VALU_DEP_1) | instskip(NEXT) | instid1(VALU_DEP_1)
	v_dual_mul_f32 v10, v12, v10 :: v_dual_fmac_f32 v13, v9, v12
	v_fma_f32 v9, v9, v11, -v10
	global_store_b32 v[6:7], v13, off
	v_add_co_u32 v6, vcc_lo, v6, 4
	v_add_co_ci_u32_e32 v7, vcc_lo, 0, v7, vcc_lo
	s_cbranch_scc0 .LBB26_41
	s_branch .LBB26_39
.LBB26_42:                              ;   in Loop: Header=BB26_4 Depth=1
	s_or_b32 exec_lo, exec_lo, s82
	s_mov_b32 s2, 0
.LBB26_43:                              ;   in Loop: Header=BB26_4 Depth=1
	s_delay_alu instid0(SALU_CYCLE_1)
	s_and_not1_b32 vcc_lo, exec_lo, s2
	s_cbranch_vccnz .LBB26_3
; %bb.44:                               ;   in Loop: Header=BB26_4 Depth=1
	s_and_not1_b32 vcc_lo, exec_lo, s58
	s_mov_b32 s2, -1
	s_cbranch_vccnz .LBB26_51
; %bb.45:                               ;   in Loop: Header=BB26_4 Depth=1
	s_and_saveexec_b32 s82, s0
	s_cbranch_execz .LBB26_50
; %bb.46:                               ;   in Loop: Header=BB26_4 Depth=1
	s_lshl_b64 s[2:3], s[22:23], 2
	v_add_co_u32 v2, vcc_lo, v18, s79
	v_add_co_ci_u32_e32 v3, vcc_lo, s78, v19, vcc_lo
	s_add_u32 s2, s76, s2
	v_mov_b32_e32 v8, v1
	s_addc_u32 s3, s77, s3
	s_add_u32 s83, s2, -4
	s_addc_u32 s84, s3, -1
	s_mov_b32 s85, 0
	s_branch .LBB26_48
.LBB26_47:                              ;   in Loop: Header=BB26_48 Depth=2
	v_add_nc_u32_e32 v8, s26, v8
	v_add_co_u32 v2, s2, v2, s36
	s_delay_alu instid0(VALU_DEP_1) | instskip(NEXT) | instid1(VALU_DEP_3)
	v_add_co_ci_u32_e64 v3, s2, s37, v3, s2
	v_cmp_le_i32_e32 vcc_lo, s52, v8
	s_waitcnt vmcnt(0)
	global_store_b32 v[4:5], v9, off
	s_or_b32 s85, vcc_lo, s85
	s_delay_alu instid0(SALU_CYCLE_1)
	s_and_not1_b32 exec_lo, exec_lo, s85
	s_cbranch_execz .LBB26_50
.LBB26_48:                              ;   Parent Loop BB26_4 Depth=1
                                        ; =>  This Loop Header: Depth=2
                                        ;       Child Loop BB26_49 Depth 3
	v_mad_i64_i32 v[4:5], null, v8, s12, 0
	v_dual_mov_b32 v7, v3 :: v_dual_mov_b32 v6, v2
	s_mov_b64 s[2:3], s[46:47]
	s_mov_b64 s[48:49], s[44:45]
	s_mov_b32 s86, s30
	s_delay_alu instid0(VALU_DEP_2) | instskip(NEXT) | instid1(VALU_DEP_1)
	v_lshlrev_b64 v[4:5], 2, v[4:5]
	v_add_co_u32 v4, vcc_lo, s83, v4
	s_delay_alu instid0(VALU_DEP_2)
	v_add_co_ci_u32_e32 v5, vcc_lo, s84, v5, vcc_lo
	s_and_not1_b32 vcc_lo, exec_lo, s54
	global_load_b32 v9, v[4:5], off
	s_cbranch_vccnz .LBB26_47
	.p2align	6
.LBB26_49:                              ;   Parent Loop BB26_4 Depth=1
                                        ;     Parent Loop BB26_48 Depth=2
                                        ; =>    This Inner Loop Header: Depth=3
	global_load_b32 v10, v[6:7], off
	s_clause 0x1
	global_load_b32 v11, v32, s[48:49]
	global_load_b32 v12, v32, s[2:3]
	s_add_i32 s86, s86, -1
	s_add_u32 s48, s48, -4
	s_addc_u32 s49, s49, -1
	s_add_u32 s2, s2, -4
	s_addc_u32 s3, s3, -1
	s_cmp_eq_u32 s86, 0
	s_waitcnt vmcnt(1)
	v_mul_f32_e32 v13, v11, v10
	s_waitcnt vmcnt(0)
	s_delay_alu instid0(VALU_DEP_1) | instskip(NEXT) | instid1(VALU_DEP_1)
	v_dual_mul_f32 v10, v12, v10 :: v_dual_fmac_f32 v13, v9, v12
	v_fma_f32 v9, v9, v11, -v10
	global_store_b32 v[6:7], v13, off
	v_add_co_u32 v6, vcc_lo, v6, -4
	v_add_co_ci_u32_e32 v7, vcc_lo, -1, v7, vcc_lo
	s_cbranch_scc0 .LBB26_49
	s_branch .LBB26_47
.LBB26_50:                              ;   in Loop: Header=BB26_4 Depth=1
	s_or_b32 exec_lo, exec_lo, s82
	s_mov_b32 s2, 0
.LBB26_51:                              ;   in Loop: Header=BB26_4 Depth=1
	s_delay_alu instid0(SALU_CYCLE_1)
	s_and_not1_b32 vcc_lo, exec_lo, s2
	s_cbranch_vccnz .LBB26_3
; %bb.52:                               ;   in Loop: Header=BB26_4 Depth=1
	v_add_co_u32 v2, vcc_lo, v24, s79
	v_add_co_ci_u32_e32 v3, vcc_lo, s78, v25, vcc_lo
	s_and_not1_b32 vcc_lo, exec_lo, s59
	s_mov_b32 s2, -1
	s_cbranch_vccnz .LBB26_59
; %bb.53:                               ;   in Loop: Header=BB26_4 Depth=1
	s_and_saveexec_b32 s46, s1
	s_cbranch_execz .LBB26_58
; %bb.54:                               ;   in Loop: Header=BB26_4 Depth=1
	s_lshl_b64 s[2:3], s[28:29], 2
	v_dual_mov_b32 v5, v3 :: v_dual_mov_b32 v4, v2
	v_mov_b32_e32 v6, v1
	s_add_u32 s47, s76, s2
	s_addc_u32 s48, s77, s3
	s_mov_b32 s49, 0
	s_branch .LBB26_56
.LBB26_55:                              ;   in Loop: Header=BB26_56 Depth=2
	v_add_nc_u32_e32 v6, s26, v6
	v_add_co_u32 v7, vcc_lo, s47, v7
	v_add_co_ci_u32_e32 v8, vcc_lo, s48, v8, vcc_lo
	s_delay_alu instid0(VALU_DEP_3) | instskip(SKIP_1) | instid1(VALU_DEP_1)
	v_cmp_le_i32_e32 vcc_lo, s19, v6
	v_add_co_u32 v4, s2, v4, s40
	v_add_co_ci_u32_e64 v5, s2, s41, v5, s2
	s_or_b32 s49, vcc_lo, s49
	s_waitcnt vmcnt(0)
	global_store_b32 v[7:8], v11, off
	s_and_not1_b32 exec_lo, exec_lo, s49
	s_cbranch_execz .LBB26_58
.LBB26_56:                              ;   Parent Loop BB26_4 Depth=1
                                        ; =>  This Loop Header: Depth=2
                                        ;       Child Loop BB26_57 Depth 3
	v_ashrrev_i32_e32 v7, 31, v6
	s_mov_b64 s[2:3], s[42:43]
	s_mov_b64 s[44:45], s[20:21]
	s_mov_b32 s82, s60
	s_delay_alu instid0(VALU_DEP_1) | instskip(NEXT) | instid1(VALU_DEP_1)
	v_lshlrev_b64 v[7:8], 2, v[6:7]
	v_add_co_u32 v9, vcc_lo, s76, v7
	s_delay_alu instid0(VALU_DEP_2)
	v_add_co_ci_u32_e32 v10, vcc_lo, s77, v8, vcc_lo
	s_and_not1_b32 vcc_lo, exec_lo, s62
	global_load_b32 v11, v[9:10], off
	v_dual_mov_b32 v10, v5 :: v_dual_mov_b32 v9, v4
	s_cbranch_vccnz .LBB26_55
	.p2align	6
.LBB26_57:                              ;   Parent Loop BB26_4 Depth=1
                                        ;     Parent Loop BB26_56 Depth=2
                                        ; =>    This Inner Loop Header: Depth=3
	s_delay_alu instid0(VALU_DEP_1) | instskip(NEXT) | instid1(VALU_DEP_2)
	v_add_co_u32 v12, vcc_lo, v9, s38
	v_add_co_ci_u32_e32 v13, vcc_lo, s39, v10, vcc_lo
	s_add_i32 s82, s82, -1
	global_load_b32 v14, v32, s[2:3]
	global_load_b32 v33, v[12:13], off
	global_load_b32 v34, v32, s[44:45]
	s_add_u32 s44, s44, 4
	s_addc_u32 s45, s45, 0
	s_add_u32 s2, s2, 4
	s_addc_u32 s3, s3, 0
	s_cmp_eq_u32 s82, 0
	s_waitcnt vmcnt(1)
	v_dual_mul_f32 v35, v14, v33 :: v_dual_mul_f32 v14, v11, v14
	s_waitcnt vmcnt(0)
	s_delay_alu instid0(VALU_DEP_1) | instskip(NEXT) | instid1(VALU_DEP_2)
	v_fmac_f32_e32 v35, v11, v34
	v_fma_f32 v11, v34, v33, -v14
	global_store_b32 v[9:10], v35, off
	v_dual_mov_b32 v9, v12 :: v_dual_mov_b32 v10, v13
	s_cbranch_scc0 .LBB26_57
	s_branch .LBB26_55
.LBB26_58:                              ;   in Loop: Header=BB26_4 Depth=1
	s_or_b32 exec_lo, exec_lo, s46
	s_mov_b32 s2, 0
.LBB26_59:                              ;   in Loop: Header=BB26_4 Depth=1
	s_delay_alu instid0(SALU_CYCLE_1)
	s_and_not1_b32 vcc_lo, exec_lo, s2
	s_cbranch_vccnz .LBB26_3
; %bb.60:                               ;   in Loop: Header=BB26_4 Depth=1
	v_add_co_u32 v4, vcc_lo, v28, s79
	v_add_co_ci_u32_e32 v5, vcc_lo, s78, v29, vcc_lo
	v_add_co_u32 v6, vcc_lo, v26, s79
	s_add_u32 s44, s27, s80
	v_add_co_ci_u32_e32 v7, vcc_lo, s78, v27, vcc_lo
	s_addc_u32 s45, s71, s51
	s_add_u32 s46, s72, s81
	s_addc_u32 s47, s13, s50
	s_and_not1_b32 vcc_lo, exec_lo, s61
	s_mov_b32 s2, -1
	s_cbranch_vccnz .LBB26_68
; %bb.61:                               ;   in Loop: Header=BB26_4 Depth=1
	s_and_saveexec_b32 s80, s1
	s_cbranch_execz .LBB26_67
; %bb.62:                               ;   in Loop: Header=BB26_4 Depth=1
	s_lshl_b64 s[2:3], s[28:29], 2
	v_dual_mov_b32 v9, v5 :: v_dual_mov_b32 v8, v4
	v_dual_mov_b32 v11, v7 :: v_dual_mov_b32 v10, v6
	v_mov_b32_e32 v12, v1
	s_add_u32 s81, s76, s2
	s_addc_u32 s82, s77, s3
	s_mov_b32 s83, 0
	s_branch .LBB26_64
.LBB26_63:                              ;   in Loop: Header=BB26_64 Depth=2
	v_add_co_u32 v13, vcc_lo, s76, v13
	v_add_nc_u32_e32 v12, s26, v12
	v_add_co_ci_u32_e32 v14, vcc_lo, s77, v14, vcc_lo
	v_add_co_u32 v10, vcc_lo, v10, s40
	v_add_co_ci_u32_e32 v11, vcc_lo, s41, v11, vcc_lo
	s_delay_alu instid0(VALU_DEP_4) | instskip(SKIP_1) | instid1(VALU_DEP_1)
	v_cmp_le_i32_e32 vcc_lo, s19, v12
	v_add_co_u32 v8, s2, v8, s40
	v_add_co_ci_u32_e64 v9, s2, s41, v9, s2
	s_or_b32 s83, vcc_lo, s83
	s_waitcnt vmcnt(0)
	global_store_b32 v[13:14], v33, off
	s_and_not1_b32 exec_lo, exec_lo, s83
	s_cbranch_execz .LBB26_67
.LBB26_64:                              ;   Parent Loop BB26_4 Depth=1
                                        ; =>  This Loop Header: Depth=2
                                        ;       Child Loop BB26_66 Depth 3
	v_ashrrev_i32_e32 v13, 31, v12
	s_delay_alu instid0(VALU_DEP_1) | instskip(NEXT) | instid1(VALU_DEP_1)
	v_lshlrev_b64 v[13:14], 2, v[12:13]
	v_add_co_u32 v33, vcc_lo, s81, v13
	s_delay_alu instid0(VALU_DEP_2)
	v_add_co_ci_u32_e32 v34, vcc_lo, s82, v14, vcc_lo
	s_and_not1_b32 vcc_lo, exec_lo, s62
	global_load_b32 v33, v[33:34], off
	s_cbranch_vccnz .LBB26_63
; %bb.65:                               ;   in Loop: Header=BB26_64 Depth=2
	s_mov_b64 s[2:3], 0
	s_mov_b64 s[48:49], s[46:47]
	;; [unrolled: 1-line block ×3, first 2 shown]
	s_mov_b32 s84, s60
	.p2align	6
.LBB26_66:                              ;   Parent Loop BB26_4 Depth=1
                                        ;     Parent Loop BB26_64 Depth=2
                                        ; =>    This Inner Loop Header: Depth=3
	v_add_co_u32 v34, vcc_lo, v8, s2
	v_add_co_ci_u32_e32 v35, vcc_lo, s3, v9, vcc_lo
	s_waitcnt vmcnt(0)
	v_mov_b32_e32 v39, v33
	s_clause 0x1
	global_load_b32 v36, v32, s[50:51]
	global_load_b32 v37, v32, s[48:49]
	global_load_b32 v38, v[34:35], off
	v_add_co_u32 v34, vcc_lo, v10, s2
	s_add_i32 s84, s84, -1
	s_sub_u32 s2, s2, s38
	v_add_co_ci_u32_e32 v35, vcc_lo, s3, v11, vcc_lo
	s_subb_u32 s3, s3, s39
	s_add_u32 s50, s50, -4
	s_addc_u32 s51, s51, -1
	s_add_u32 s48, s48, -4
	s_addc_u32 s49, s49, -1
	s_cmp_eq_u32 s84, 0
	s_waitcnt vmcnt(0)
	v_mul_f32_e32 v33, v36, v38
	s_delay_alu instid0(VALU_DEP_1) | instskip(NEXT) | instid1(VALU_DEP_1)
	v_dual_mul_f32 v40, v37, v38 :: v_dual_fmac_f32 v33, v39, v37
	v_fma_f32 v36, v39, v36, -v40
	global_store_b32 v[34:35], v36, off
	s_cbranch_scc0 .LBB26_66
	s_branch .LBB26_63
.LBB26_67:                              ;   in Loop: Header=BB26_4 Depth=1
	s_or_b32 exec_lo, exec_lo, s80
	s_mov_b32 s2, 0
.LBB26_68:                              ;   in Loop: Header=BB26_4 Depth=1
	s_delay_alu instid0(SALU_CYCLE_1)
	s_and_not1_b32 vcc_lo, exec_lo, s2
	s_cbranch_vccnz .LBB26_3
; %bb.69:                               ;   in Loop: Header=BB26_4 Depth=1
	s_and_not1_b32 vcc_lo, exec_lo, s63
	s_mov_b32 s2, -1
	s_cbranch_vccnz .LBB26_76
; %bb.70:                               ;   in Loop: Header=BB26_4 Depth=1
	s_and_saveexec_b32 s50, s1
	s_cbranch_execz .LBB26_75
; %bb.71:                               ;   in Loop: Header=BB26_4 Depth=1
	v_add_co_u32 v8, vcc_lo, v30, s79
	v_add_co_ci_u32_e32 v9, vcc_lo, s78, v31, vcc_lo
	v_mov_b32_e32 v10, v1
	s_mov_b32 s51, 0
	s_branch .LBB26_73
.LBB26_72:                              ;   in Loop: Header=BB26_73 Depth=2
	v_add_nc_u32_e32 v10, s26, v10
	v_add_co_u32 v8, s2, v8, s40
	s_delay_alu instid0(VALU_DEP_1) | instskip(NEXT) | instid1(VALU_DEP_3)
	v_add_co_ci_u32_e64 v9, s2, s41, v9, s2
	v_cmp_le_i32_e32 vcc_lo, s19, v10
	s_waitcnt vmcnt(0)
	global_store_b32 v[11:12], v33, off
	s_or_b32 s51, vcc_lo, s51
	s_delay_alu instid0(SALU_CYCLE_1)
	s_and_not1_b32 exec_lo, exec_lo, s51
	s_cbranch_execz .LBB26_75
.LBB26_73:                              ;   Parent Loop BB26_4 Depth=1
                                        ; =>  This Loop Header: Depth=2
                                        ;       Child Loop BB26_74 Depth 3
	s_delay_alu instid0(VALU_DEP_1) | instskip(SKIP_3) | instid1(VALU_DEP_2)
	v_ashrrev_i32_e32 v11, 31, v10
	v_dual_mov_b32 v14, v9 :: v_dual_mov_b32 v13, v8
	s_mov_b32 s78, s60
	s_mov_b64 s[2:3], s[20:21]
	v_lshlrev_b64 v[11:12], 2, v[10:11]
	s_mov_b64 s[48:49], s[42:43]
	s_delay_alu instid0(VALU_DEP_1) | instskip(NEXT) | instid1(VALU_DEP_2)
	v_add_co_u32 v11, vcc_lo, s76, v11
	v_add_co_ci_u32_e32 v12, vcc_lo, s77, v12, vcc_lo
	s_and_not1_b32 vcc_lo, exec_lo, s62
	global_load_b32 v33, v[11:12], off
	s_cbranch_vccnz .LBB26_72
	.p2align	6
.LBB26_74:                              ;   Parent Loop BB26_4 Depth=1
                                        ;     Parent Loop BB26_73 Depth=2
                                        ; =>    This Inner Loop Header: Depth=3
	s_clause 0x1
	global_load_b32 v34, v32, s[48:49]
	global_load_b32 v35, v32, s[2:3]
	global_load_b32 v36, v[13:14], off
	s_waitcnt vmcnt(3)
	v_mov_b32_e32 v37, v33
	s_add_u32 s48, s48, 4
	s_addc_u32 s49, s49, 0
	s_add_u32 s2, s2, 4
	s_addc_u32 s3, s3, 0
	s_add_i32 s78, s78, -1
	s_delay_alu instid0(SALU_CYCLE_1) | instskip(SKIP_2) | instid1(VALU_DEP_1)
	s_cmp_eq_u32 s78, 0
	s_waitcnt vmcnt(0)
	v_dual_mul_f32 v38, v37, v34 :: v_dual_mul_f32 v33, v34, v36
	v_fma_f32 v34, v35, v36, -v38
	s_delay_alu instid0(VALU_DEP_2)
	v_fmac_f32_e32 v33, v37, v35
	global_store_b32 v[13:14], v34, off
	v_add_co_u32 v13, vcc_lo, v13, s38
	v_add_co_ci_u32_e32 v14, vcc_lo, s39, v14, vcc_lo
	s_cbranch_scc0 .LBB26_74
	s_branch .LBB26_72
.LBB26_75:                              ;   in Loop: Header=BB26_4 Depth=1
	s_or_b32 exec_lo, exec_lo, s50
	s_mov_b32 s2, 0
.LBB26_76:                              ;   in Loop: Header=BB26_4 Depth=1
	s_delay_alu instid0(SALU_CYCLE_1)
	s_and_not1_b32 vcc_lo, exec_lo, s2
	s_cbranch_vccnz .LBB26_3
; %bb.77:                               ;   in Loop: Header=BB26_4 Depth=1
	s_and_not1_b32 vcc_lo, exec_lo, s64
	s_mov_b32 s2, -1
	s_cbranch_vccnz .LBB26_84
; %bb.78:                               ;   in Loop: Header=BB26_4 Depth=1
	s_and_saveexec_b32 s50, s1
	s_cbranch_execz .LBB26_83
; %bb.79:                               ;   in Loop: Header=BB26_4 Depth=1
	v_mov_b32_e32 v8, v1
	s_mov_b32 s51, 0
	s_branch .LBB26_81
.LBB26_80:                              ;   in Loop: Header=BB26_81 Depth=2
	v_add_nc_u32_e32 v8, s26, v8
	v_add_co_u32 v6, s2, v6, s40
	s_delay_alu instid0(VALU_DEP_1) | instskip(NEXT) | instid1(VALU_DEP_3)
	v_add_co_ci_u32_e64 v7, s2, s41, v7, s2
	v_cmp_le_i32_e32 vcc_lo, s19, v8
	s_waitcnt vmcnt(0)
	global_store_b32 v[9:10], v13, off
	s_or_b32 s51, vcc_lo, s51
	s_delay_alu instid0(SALU_CYCLE_1)
	s_and_not1_b32 exec_lo, exec_lo, s51
	s_cbranch_execz .LBB26_83
.LBB26_81:                              ;   Parent Loop BB26_4 Depth=1
                                        ; =>  This Loop Header: Depth=2
                                        ;       Child Loop BB26_82 Depth 3
	s_delay_alu instid0(VALU_DEP_1) | instskip(SKIP_3) | instid1(VALU_DEP_2)
	v_ashrrev_i32_e32 v9, 31, v8
	v_dual_mov_b32 v12, v7 :: v_dual_mov_b32 v11, v6
	s_mov_b64 s[2:3], s[46:47]
	s_mov_b64 s[48:49], s[44:45]
	v_lshlrev_b64 v[9:10], 2, v[8:9]
	s_mov_b32 s78, s73
	s_delay_alu instid0(VALU_DEP_1) | instskip(NEXT) | instid1(VALU_DEP_2)
	v_add_co_u32 v9, vcc_lo, s76, v9
	v_add_co_ci_u32_e32 v10, vcc_lo, s77, v10, vcc_lo
	s_and_not1_b32 vcc_lo, exec_lo, s62
	global_load_b32 v13, v[9:10], off
	s_cbranch_vccnz .LBB26_80
	.p2align	6
.LBB26_82:                              ;   Parent Loop BB26_4 Depth=1
                                        ;     Parent Loop BB26_81 Depth=2
                                        ; =>    This Inner Loop Header: Depth=3
	s_clause 0x1
	global_load_b32 v14, v32, s[2:3]
	global_load_b32 v33, v32, s[48:49]
	global_load_b32 v34, v[11:12], off
	s_waitcnt vmcnt(3)
	v_mov_b32_e32 v35, v13
	s_add_i32 s78, s78, -1
	s_add_u32 s48, s48, -4
	s_addc_u32 s49, s49, -1
	s_add_u32 s2, s2, -4
	s_addc_u32 s3, s3, -1
	s_cmp_lt_u32 s78, 3
	s_waitcnt vmcnt(2)
	v_mul_f32_e32 v36, v35, v14
	s_waitcnt vmcnt(0)
	v_mul_f32_e32 v13, v14, v34
	s_delay_alu instid0(VALU_DEP_2) | instskip(NEXT) | instid1(VALU_DEP_2)
	v_fma_f32 v14, v33, v34, -v36
	v_fmac_f32_e32 v13, v35, v33
	global_store_b32 v[11:12], v14, off
	v_add_co_u32 v11, vcc_lo, v11, s74
	v_add_co_ci_u32_e32 v12, vcc_lo, s75, v12, vcc_lo
	s_cbranch_scc0 .LBB26_82
	s_branch .LBB26_80
.LBB26_83:                              ;   in Loop: Header=BB26_4 Depth=1
	s_or_b32 exec_lo, exec_lo, s50
	s_mov_b32 s2, 0
.LBB26_84:                              ;   in Loop: Header=BB26_4 Depth=1
	s_delay_alu instid0(SALU_CYCLE_1)
	s_and_not1_b32 vcc_lo, exec_lo, s2
	s_cbranch_vccnz .LBB26_3
; %bb.85:                               ;   in Loop: Header=BB26_4 Depth=1
	s_and_not1_b32 vcc_lo, exec_lo, s65
	s_mov_b32 s2, -1
	s_cbranch_vccnz .LBB26_92
; %bb.86:                               ;   in Loop: Header=BB26_4 Depth=1
	s_and_saveexec_b32 s50, s1
	s_cbranch_execz .LBB26_91
; %bb.87:                               ;   in Loop: Header=BB26_4 Depth=1
	s_lshl_b64 s[2:3], s[28:29], 2
	v_mov_b32_e32 v6, v1
	s_add_u32 s51, s76, s2
	s_addc_u32 s78, s77, s3
	s_mov_b32 s79, 0
	s_branch .LBB26_89
.LBB26_88:                              ;   in Loop: Header=BB26_89 Depth=2
	v_add_nc_u32_e32 v6, s26, v6
	v_add_co_u32 v2, s2, v2, s40
	s_delay_alu instid0(VALU_DEP_1) | instskip(NEXT) | instid1(VALU_DEP_3)
	v_add_co_ci_u32_e64 v3, s2, s41, v3, s2
	v_cmp_le_i32_e32 vcc_lo, s19, v6
	s_waitcnt vmcnt(0)
	global_store_b32 v[7:8], v11, off
	s_or_b32 s79, vcc_lo, s79
	s_delay_alu instid0(SALU_CYCLE_1)
	s_and_not1_b32 exec_lo, exec_lo, s79
	s_cbranch_execz .LBB26_91
.LBB26_89:                              ;   Parent Loop BB26_4 Depth=1
                                        ; =>  This Loop Header: Depth=2
                                        ;       Child Loop BB26_90 Depth 3
	v_ashrrev_i32_e32 v7, 31, v6
	v_dual_mov_b32 v10, v3 :: v_dual_mov_b32 v9, v2
	s_mov_b64 s[2:3], s[42:43]
	s_mov_b64 s[48:49], s[20:21]
	s_delay_alu instid0(VALU_DEP_2) | instskip(SKIP_1) | instid1(VALU_DEP_1)
	v_lshlrev_b64 v[7:8], 2, v[6:7]
	s_mov_b32 s80, s60
	v_add_co_u32 v7, vcc_lo, s51, v7
	s_delay_alu instid0(VALU_DEP_2)
	v_add_co_ci_u32_e32 v8, vcc_lo, s78, v8, vcc_lo
	s_and_not1_b32 vcc_lo, exec_lo, s62
	global_load_b32 v11, v[7:8], off
	s_cbranch_vccnz .LBB26_88
	.p2align	6
.LBB26_90:                              ;   Parent Loop BB26_4 Depth=1
                                        ;     Parent Loop BB26_89 Depth=2
                                        ; =>    This Inner Loop Header: Depth=3
	global_load_b32 v12, v[9:10], off
	s_clause 0x1
	global_load_b32 v13, v32, s[48:49]
	global_load_b32 v14, v32, s[2:3]
	s_add_i32 s80, s80, -1
	s_add_u32 s48, s48, 4
	s_addc_u32 s49, s49, 0
	s_add_u32 s2, s2, 4
	s_addc_u32 s3, s3, 0
	s_cmp_eq_u32 s80, 0
	s_waitcnt vmcnt(1)
	v_mul_f32_e32 v33, v13, v12
	s_waitcnt vmcnt(0)
	s_delay_alu instid0(VALU_DEP_1) | instskip(NEXT) | instid1(VALU_DEP_1)
	v_dual_mul_f32 v12, v14, v12 :: v_dual_fmac_f32 v33, v11, v14
	v_fma_f32 v11, v11, v13, -v12
	global_store_b32 v[9:10], v33, off
	v_add_co_u32 v9, vcc_lo, v9, s38
	v_add_co_ci_u32_e32 v10, vcc_lo, s39, v10, vcc_lo
	s_cbranch_scc0 .LBB26_90
	s_branch .LBB26_88
.LBB26_91:                              ;   in Loop: Header=BB26_4 Depth=1
	s_or_b32 exec_lo, exec_lo, s50
	s_mov_b32 s2, 0
.LBB26_92:                              ;   in Loop: Header=BB26_4 Depth=1
	s_delay_alu instid0(SALU_CYCLE_1)
	s_and_not1_b32 vcc_lo, exec_lo, s2
	s_cbranch_vccnz .LBB26_3
; %bb.93:                               ;   in Loop: Header=BB26_4 Depth=1
	s_and_saveexec_b32 s42, s66
	s_cbranch_execz .LBB26_2
; %bb.94:                               ;   in Loop: Header=BB26_4 Depth=1
	s_lshl_b64 s[2:3], s[28:29], 2
	v_mov_b32_e32 v2, v1
	s_add_u32 s43, s76, s2
	s_addc_u32 s48, s77, s3
	s_mov_b32 s49, 0
	s_branch .LBB26_96
.LBB26_95:                              ;   in Loop: Header=BB26_96 Depth=2
	v_add_nc_u32_e32 v2, s26, v2
	v_add_co_u32 v4, s2, v4, s40
	s_delay_alu instid0(VALU_DEP_1) | instskip(NEXT) | instid1(VALU_DEP_3)
	v_add_co_ci_u32_e64 v5, s2, s41, v5, s2
	v_cmp_le_i32_e32 vcc_lo, s19, v2
	s_waitcnt vmcnt(0)
	global_store_b32 v[6:7], v3, off
	s_or_b32 s49, vcc_lo, s49
	s_delay_alu instid0(SALU_CYCLE_1)
	s_and_not1_b32 exec_lo, exec_lo, s49
	s_cbranch_execz .LBB26_2
.LBB26_96:                              ;   Parent Loop BB26_4 Depth=1
                                        ; =>  This Loop Header: Depth=2
                                        ;       Child Loop BB26_97 Depth 3
	v_ashrrev_i32_e32 v3, 31, v2
	v_dual_mov_b32 v9, v5 :: v_dual_mov_b32 v8, v4
	s_mov_b64 s[2:3], s[46:47]
	s_mov_b64 s[20:21], s[44:45]
	s_delay_alu instid0(VALU_DEP_2) | instskip(SKIP_1) | instid1(VALU_DEP_1)
	v_lshlrev_b64 v[6:7], 2, v[2:3]
	s_mov_b32 s50, s60
	v_add_co_u32 v6, vcc_lo, s43, v6
	s_delay_alu instid0(VALU_DEP_2)
	v_add_co_ci_u32_e32 v7, vcc_lo, s48, v7, vcc_lo
	s_and_not1_b32 vcc_lo, exec_lo, s62
	global_load_b32 v3, v[6:7], off
	s_cbranch_vccnz .LBB26_95
	.p2align	6
.LBB26_97:                              ;   Parent Loop BB26_4 Depth=1
                                        ;     Parent Loop BB26_96 Depth=2
                                        ; =>    This Inner Loop Header: Depth=3
	global_load_b32 v10, v[8:9], off
	s_clause 0x1
	global_load_b32 v11, v32, s[20:21]
	global_load_b32 v12, v32, s[2:3]
	s_add_i32 s50, s50, -1
	s_add_u32 s20, s20, -4
	s_addc_u32 s21, s21, -1
	s_add_u32 s2, s2, -4
	s_addc_u32 s3, s3, -1
	s_cmp_eq_u32 s50, 0
	s_waitcnt vmcnt(1)
	v_mul_f32_e32 v13, v11, v10
	s_waitcnt vmcnt(0)
	s_delay_alu instid0(VALU_DEP_1) | instskip(NEXT) | instid1(VALU_DEP_1)
	v_dual_mul_f32 v10, v12, v10 :: v_dual_fmac_f32 v13, v3, v12
	v_fma_f32 v3, v3, v11, -v10
	global_store_b32 v[8:9], v13, off
	v_add_co_u32 v8, vcc_lo, v8, s74
	v_add_co_ci_u32_e32 v9, vcc_lo, s75, v9, vcc_lo
	s_cbranch_scc0 .LBB26_97
	s_branch .LBB26_95
.LBB26_98:
	s_nop 0
	s_sendmsg sendmsg(MSG_DEALLOC_VGPRS)
	s_endpgm
	.section	.rodata,"a",@progbits
	.p2align	6, 0x0
	.amdhsa_kernel _ZN9rocsolver6v33100L11lasr_kernelIffPfiEEv13rocblas_side_14rocblas_pivot_15rocblas_direct_T2_S6_PT0_lS8_lT1_lS6_lS6_
		.amdhsa_group_segment_fixed_size 0
		.amdhsa_private_segment_fixed_size 0
		.amdhsa_kernarg_size 352
		.amdhsa_user_sgpr_count 14
		.amdhsa_user_sgpr_dispatch_ptr 0
		.amdhsa_user_sgpr_queue_ptr 0
		.amdhsa_user_sgpr_kernarg_segment_ptr 1
		.amdhsa_user_sgpr_dispatch_id 0
		.amdhsa_user_sgpr_private_segment_size 0
		.amdhsa_wavefront_size32 1
		.amdhsa_uses_dynamic_stack 0
		.amdhsa_enable_private_segment 0
		.amdhsa_system_sgpr_workgroup_id_x 1
		.amdhsa_system_sgpr_workgroup_id_y 0
		.amdhsa_system_sgpr_workgroup_id_z 1
		.amdhsa_system_sgpr_workgroup_info 0
		.amdhsa_system_vgpr_workitem_id 0
		.amdhsa_next_free_vgpr 41
		.amdhsa_next_free_sgpr 87
		.amdhsa_reserve_vcc 1
		.amdhsa_float_round_mode_32 0
		.amdhsa_float_round_mode_16_64 0
		.amdhsa_float_denorm_mode_32 3
		.amdhsa_float_denorm_mode_16_64 3
		.amdhsa_dx10_clamp 1
		.amdhsa_ieee_mode 1
		.amdhsa_fp16_overflow 0
		.amdhsa_workgroup_processor_mode 1
		.amdhsa_memory_ordered 1
		.amdhsa_forward_progress 0
		.amdhsa_shared_vgpr_count 0
		.amdhsa_exception_fp_ieee_invalid_op 0
		.amdhsa_exception_fp_denorm_src 0
		.amdhsa_exception_fp_ieee_div_zero 0
		.amdhsa_exception_fp_ieee_overflow 0
		.amdhsa_exception_fp_ieee_underflow 0
		.amdhsa_exception_fp_ieee_inexact 0
		.amdhsa_exception_int_div_zero 0
	.end_amdhsa_kernel
	.section	.text._ZN9rocsolver6v33100L11lasr_kernelIffPfiEEv13rocblas_side_14rocblas_pivot_15rocblas_direct_T2_S6_PT0_lS8_lT1_lS6_lS6_,"axG",@progbits,_ZN9rocsolver6v33100L11lasr_kernelIffPfiEEv13rocblas_side_14rocblas_pivot_15rocblas_direct_T2_S6_PT0_lS8_lT1_lS6_lS6_,comdat
.Lfunc_end26:
	.size	_ZN9rocsolver6v33100L11lasr_kernelIffPfiEEv13rocblas_side_14rocblas_pivot_15rocblas_direct_T2_S6_PT0_lS8_lT1_lS6_lS6_, .Lfunc_end26-_ZN9rocsolver6v33100L11lasr_kernelIffPfiEEv13rocblas_side_14rocblas_pivot_15rocblas_direct_T2_S6_PT0_lS8_lT1_lS6_lS6_
                                        ; -- End function
	.section	.AMDGPU.csdata,"",@progbits
; Kernel info:
; codeLenInByte = 4728
; NumSgprs: 89
; NumVgprs: 41
; ScratchSize: 0
; MemoryBound: 0
; FloatMode: 240
; IeeeMode: 1
; LDSByteSize: 0 bytes/workgroup (compile time only)
; SGPRBlocks: 11
; VGPRBlocks: 5
; NumSGPRsForWavesPerEU: 89
; NumVGPRsForWavesPerEU: 41
; Occupancy: 16
; WaveLimiterHint : 0
; COMPUTE_PGM_RSRC2:SCRATCH_EN: 0
; COMPUTE_PGM_RSRC2:USER_SGPR: 14
; COMPUTE_PGM_RSRC2:TRAP_HANDLER: 0
; COMPUTE_PGM_RSRC2:TGID_X_EN: 1
; COMPUTE_PGM_RSRC2:TGID_Y_EN: 0
; COMPUTE_PGM_RSRC2:TGID_Z_EN: 1
; COMPUTE_PGM_RSRC2:TIDIG_COMP_CNT: 0
	.section	.text._ZN9rocsolver6v33100L11scal_kernelIffiEEvT1_T_PT0_S2_,"axG",@progbits,_ZN9rocsolver6v33100L11scal_kernelIffiEEvT1_T_PT0_S2_,comdat
	.globl	_ZN9rocsolver6v33100L11scal_kernelIffiEEvT1_T_PT0_S2_ ; -- Begin function _ZN9rocsolver6v33100L11scal_kernelIffiEEvT1_T_PT0_S2_
	.p2align	8
	.type	_ZN9rocsolver6v33100L11scal_kernelIffiEEvT1_T_PT0_S2_,@function
_ZN9rocsolver6v33100L11scal_kernelIffiEEvT1_T_PT0_S2_: ; @_ZN9rocsolver6v33100L11scal_kernelIffiEEvT1_T_PT0_S2_
; %bb.0:
	s_load_b64 s[2:3], s[0:1], 0x0
	s_waitcnt lgkmcnt(0)
	s_cmp_lt_i32 s2, 1
	s_cbranch_scc1 .LBB27_10
; %bb.1:
	s_clause 0x3
	s_load_b32 s4, s[0:1], 0x24
	s_load_b32 s5, s[0:1], 0x18
	;; [unrolled: 1-line block ×3, first 2 shown]
	s_load_b64 s[6:7], s[0:1], 0x8
	s_waitcnt lgkmcnt(0)
	s_and_b32 s1, s4, 0xffff
	s_delay_alu instid0(SALU_CYCLE_1) | instskip(SKIP_3) | instid1(VALU_DEP_1)
	v_mad_u64_u32 v[1:2], null, s15, s1, v[0:1]
	s_mul_i32 s4, s5, s1
	s_cmp_eq_u32 s8, 1
	s_mov_b32 s1, -1
	v_cmp_gt_i32_e64 s0, s2, v1
	s_cbranch_scc1 .LBB27_6
; %bb.2:
	s_delay_alu instid0(VALU_DEP_1)
	s_and_saveexec_b32 s5, s0
	s_cbranch_execz .LBB27_5
; %bb.3:
	v_mad_i64_i32 v[2:3], null, s8, v1, 0
	v_mov_b32_e32 v0, v1
	s_mul_hi_i32 s9, s8, s4
	s_mul_i32 s8, s8, s4
	s_mov_b32 s10, 0
	s_lshl_b64 s[8:9], s[8:9], 2
	s_delay_alu instid0(VALU_DEP_2) | instskip(NEXT) | instid1(VALU_DEP_1)
	v_lshlrev_b64 v[2:3], 2, v[2:3]
	v_add_co_u32 v2, vcc_lo, s6, v2
	s_delay_alu instid0(VALU_DEP_2)
	v_add_co_ci_u32_e32 v3, vcc_lo, s7, v3, vcc_lo
.LBB27_4:                               ; =>This Inner Loop Header: Depth=1
	global_load_b32 v4, v[2:3], off
	v_add_nc_u32_e32 v0, s4, v0
	s_delay_alu instid0(VALU_DEP_1)
	v_cmp_le_i32_e32 vcc_lo, s2, v0
	s_or_b32 s10, vcc_lo, s10
	s_waitcnt vmcnt(0)
	v_mul_f32_e32 v4, s3, v4
	global_store_b32 v[2:3], v4, off
	v_add_co_u32 v2, s1, v2, s8
	s_delay_alu instid0(VALU_DEP_1)
	v_add_co_ci_u32_e64 v3, s1, s9, v3, s1
	s_and_not1_b32 exec_lo, exec_lo, s10
	s_cbranch_execnz .LBB27_4
.LBB27_5:
	s_or_b32 exec_lo, exec_lo, s5
	s_mov_b32 s1, 0
.LBB27_6:
	s_delay_alu instid0(SALU_CYCLE_1)
	s_and_not1_b32 vcc_lo, exec_lo, s1
	s_cbranch_vccnz .LBB27_10
; %bb.7:
	s_delay_alu instid0(VALU_DEP_1)
	s_and_saveexec_b32 s1, s0
	s_cbranch_execz .LBB27_10
; %bb.8:
	v_ashrrev_i32_e32 v2, 31, v1
	s_ashr_i32 s5, s4, 31
	s_mov_b32 s1, 0
	s_delay_alu instid0(VALU_DEP_1) | instskip(NEXT) | instid1(VALU_DEP_1)
	v_lshlrev_b64 v[2:3], 2, v[1:2]
	v_add_co_u32 v2, vcc_lo, s6, v2
	s_delay_alu instid0(VALU_DEP_2)
	v_add_co_ci_u32_e32 v3, vcc_lo, s7, v3, vcc_lo
	s_lshl_b64 s[6:7], s[4:5], 2
.LBB27_9:                               ; =>This Inner Loop Header: Depth=1
	global_load_b32 v0, v[2:3], off
	s_waitcnt vmcnt(0)
	v_dual_mul_f32 v0, s3, v0 :: v_dual_add_nc_u32 v1, s4, v1
	s_delay_alu instid0(VALU_DEP_1) | instskip(SKIP_2) | instid1(VALU_DEP_1)
	v_cmp_le_i32_e32 vcc_lo, s2, v1
	global_store_b32 v[2:3], v0, off
	v_add_co_u32 v2, s0, v2, s6
	v_add_co_ci_u32_e64 v3, s0, s7, v3, s0
	s_or_b32 s1, vcc_lo, s1
	s_delay_alu instid0(SALU_CYCLE_1)
	s_and_not1_b32 exec_lo, exec_lo, s1
	s_cbranch_execnz .LBB27_9
.LBB27_10:
	s_nop 0
	s_sendmsg sendmsg(MSG_DEALLOC_VGPRS)
	s_endpgm
	.section	.rodata,"a",@progbits
	.p2align	6, 0x0
	.amdhsa_kernel _ZN9rocsolver6v33100L11scal_kernelIffiEEvT1_T_PT0_S2_
		.amdhsa_group_segment_fixed_size 0
		.amdhsa_private_segment_fixed_size 0
		.amdhsa_kernarg_size 280
		.amdhsa_user_sgpr_count 15
		.amdhsa_user_sgpr_dispatch_ptr 0
		.amdhsa_user_sgpr_queue_ptr 0
		.amdhsa_user_sgpr_kernarg_segment_ptr 1
		.amdhsa_user_sgpr_dispatch_id 0
		.amdhsa_user_sgpr_private_segment_size 0
		.amdhsa_wavefront_size32 1
		.amdhsa_uses_dynamic_stack 0
		.amdhsa_enable_private_segment 0
		.amdhsa_system_sgpr_workgroup_id_x 1
		.amdhsa_system_sgpr_workgroup_id_y 0
		.amdhsa_system_sgpr_workgroup_id_z 0
		.amdhsa_system_sgpr_workgroup_info 0
		.amdhsa_system_vgpr_workitem_id 0
		.amdhsa_next_free_vgpr 5
		.amdhsa_next_free_sgpr 16
		.amdhsa_reserve_vcc 1
		.amdhsa_float_round_mode_32 0
		.amdhsa_float_round_mode_16_64 0
		.amdhsa_float_denorm_mode_32 3
		.amdhsa_float_denorm_mode_16_64 3
		.amdhsa_dx10_clamp 1
		.amdhsa_ieee_mode 1
		.amdhsa_fp16_overflow 0
		.amdhsa_workgroup_processor_mode 1
		.amdhsa_memory_ordered 1
		.amdhsa_forward_progress 0
		.amdhsa_shared_vgpr_count 0
		.amdhsa_exception_fp_ieee_invalid_op 0
		.amdhsa_exception_fp_denorm_src 0
		.amdhsa_exception_fp_ieee_div_zero 0
		.amdhsa_exception_fp_ieee_overflow 0
		.amdhsa_exception_fp_ieee_underflow 0
		.amdhsa_exception_fp_ieee_inexact 0
		.amdhsa_exception_int_div_zero 0
	.end_amdhsa_kernel
	.section	.text._ZN9rocsolver6v33100L11scal_kernelIffiEEvT1_T_PT0_S2_,"axG",@progbits,_ZN9rocsolver6v33100L11scal_kernelIffiEEvT1_T_PT0_S2_,comdat
.Lfunc_end27:
	.size	_ZN9rocsolver6v33100L11scal_kernelIffiEEvT1_T_PT0_S2_, .Lfunc_end27-_ZN9rocsolver6v33100L11scal_kernelIffiEEvT1_T_PT0_S2_
                                        ; -- End function
	.section	.AMDGPU.csdata,"",@progbits
; Kernel info:
; codeLenInByte = 396
; NumSgprs: 18
; NumVgprs: 5
; ScratchSize: 0
; MemoryBound: 0
; FloatMode: 240
; IeeeMode: 1
; LDSByteSize: 0 bytes/workgroup (compile time only)
; SGPRBlocks: 2
; VGPRBlocks: 0
; NumSGPRsForWavesPerEU: 18
; NumVGPRsForWavesPerEU: 5
; Occupancy: 16
; WaveLimiterHint : 0
; COMPUTE_PGM_RSRC2:SCRATCH_EN: 0
; COMPUTE_PGM_RSRC2:USER_SGPR: 15
; COMPUTE_PGM_RSRC2:TRAP_HANDLER: 0
; COMPUTE_PGM_RSRC2:TGID_X_EN: 1
; COMPUTE_PGM_RSRC2:TGID_Y_EN: 0
; COMPUTE_PGM_RSRC2:TGID_Z_EN: 0
; COMPUTE_PGM_RSRC2:TIDIG_COMP_CNT: 0
	.section	.text._ZN9rocsolver6v33100L17bdsqr_lower2upperIffPfS2_EEviiiPT0_lS4_lT1_iilT2_iilPiS4_lS7_,"axG",@progbits,_ZN9rocsolver6v33100L17bdsqr_lower2upperIffPfS2_EEviiiPT0_lS4_lT1_iilT2_iilPiS4_lS7_,comdat
	.globl	_ZN9rocsolver6v33100L17bdsqr_lower2upperIffPfS2_EEviiiPT0_lS4_lT1_iilT2_iilPiS4_lS7_ ; -- Begin function _ZN9rocsolver6v33100L17bdsqr_lower2upperIffPfS2_EEviiiPT0_lS4_lT1_iilT2_iilPiS4_lS7_
	.p2align	8
	.type	_ZN9rocsolver6v33100L17bdsqr_lower2upperIffPfS2_EEviiiPT0_lS4_lT1_iilT2_iilPiS4_lS7_,@function
_ZN9rocsolver6v33100L17bdsqr_lower2upperIffPfS2_EEviiiPT0_lS4_lT1_iilT2_iilPiS4_lS7_: ; @_ZN9rocsolver6v33100L17bdsqr_lower2upperIffPfS2_EEviiiPT0_lS4_lT1_iilT2_iilPiS4_lS7_
; %bb.0:
	s_load_b64 s[2:3], s[0:1], 0x78
	s_mov_b32 s24, s15
	s_ashr_i32 s25, s15, 31
	s_delay_alu instid0(SALU_CYCLE_1)
	s_lshl_b64 s[4:5], s[24:25], 2
	s_waitcnt lgkmcnt(0)
	s_add_u32 s2, s2, s4
	s_addc_u32 s3, s3, s5
	s_load_b32 s2, s[2:3], 0x8
	s_waitcnt lgkmcnt(0)
	s_cmp_lg_u32 s2, 0
	s_cbranch_scc1 .LBB28_34
; %bb.1:
	s_clause 0x1
	s_load_b256 s[4:11], s[0:1], 0x30
	s_load_b128 s[12:15], s[0:1], 0x68
	s_mov_b64 s[20:21], 0
	s_mov_b64 s[22:23], 0
	s_waitcnt lgkmcnt(0)
	s_cmp_eq_u64 s[4:5], 0
	s_cbranch_scc1 .LBB28_3
; %bb.2:
	s_mul_i32 s2, s24, s9
	s_mul_hi_u32 s3, s24, s8
	s_mul_i32 s9, s25, s8
	s_add_i32 s2, s3, s2
	s_delay_alu instid0(SALU_CYCLE_1)
	s_add_i32 s3, s2, s9
	s_mul_i32 s2, s24, s8
	s_ashr_i32 s9, s6, 31
	s_lshl_b64 s[2:3], s[2:3], 2
	s_mov_b32 s8, s6
	s_add_u32 s4, s4, s2
	s_addc_u32 s5, s5, s3
	s_lshl_b64 s[2:3], s[8:9], 2
	s_delay_alu instid0(SALU_CYCLE_1)
	s_add_u32 s22, s4, s2
	s_addc_u32 s23, s5, s3
.LBB28_3:
	s_load_b64 s[2:3], s[0:1], 0x50
	s_cmp_eq_u64 s[10:11], 0
	s_cbranch_scc1 .LBB28_5
; %bb.4:
	s_load_b64 s[4:5], s[0:1], 0x58
	s_waitcnt lgkmcnt(0)
	s_ashr_i32 s9, s2, 31
	s_mul_i32 s5, s24, s5
	s_mul_hi_u32 s6, s24, s4
	s_mul_i32 s8, s25, s4
	s_add_i32 s5, s6, s5
	s_mul_i32 s4, s24, s4
	s_add_i32 s5, s5, s8
	s_mov_b32 s8, s2
	s_lshl_b64 s[4:5], s[4:5], 2
	s_delay_alu instid0(SALU_CYCLE_1) | instskip(SKIP_2) | instid1(SALU_CYCLE_1)
	s_add_u32 s2, s10, s4
	s_addc_u32 s6, s11, s5
	s_lshl_b64 s[4:5], s[8:9], 2
	s_add_u32 s20, s2, s4
	s_addc_u32 s21, s6, s5
.LBB28_5:
	s_load_b128 s[16:19], s[0:1], 0x0
	s_waitcnt lgkmcnt(0)
	s_mul_i32 s2, s24, s15
	s_mul_hi_u32 s4, s24, s14
	s_mov_b32 s6, exec_lo
	s_add_i32 s2, s4, s2
	s_mul_i32 s4, s25, s14
	s_delay_alu instid0(SALU_CYCLE_1) | instskip(SKIP_1) | instid1(SALU_CYCLE_1)
	s_add_i32 s5, s2, s4
	s_mul_i32 s4, s24, s14
	s_lshl_b64 s[4:5], s[4:5], 2
	s_delay_alu instid0(SALU_CYCLE_1)
	s_add_u32 s19, s12, s4
	s_addc_u32 s28, s13, s5
	v_cmpx_eq_u32_e32 0, v0
	s_cbranch_execz .LBB28_22
; %bb.6:
	s_load_b256 s[8:15], s[0:1], 0x10
	s_waitcnt lgkmcnt(0)
	s_mul_i32 s2, s24, s11
	s_mul_hi_u32 s4, s24, s10
	s_mul_i32 s5, s25, s10
	s_add_i32 s2, s4, s2
	s_mul_i32 s4, s24, s10
	s_add_i32 s5, s2, s5
	s_delay_alu instid0(SALU_CYCLE_1) | instskip(NEXT) | instid1(SALU_CYCLE_1)
	s_lshl_b64 s[26:27], s[4:5], 2
	s_add_u32 s4, s8, s26
	s_addc_u32 s5, s9, s27
	s_add_i32 s10, s16, -1
	s_load_b32 s2, s[4:5], 0x0
	s_cmp_lt_i32 s16, 2
	s_waitcnt lgkmcnt(0)
	v_mov_b32_e32 v2, s2
	s_cbranch_scc1 .LBB28_21
; %bb.7:
	s_mul_i32 s11, s24, s15
	s_mul_hi_u32 s15, s24, s14
	v_dual_mov_b32 v2, s2 :: v_dual_mov_b32 v1, 0
	s_add_i32 s11, s15, s11
	s_mul_i32 s15, s25, s14
	s_mul_i32 s14, s24, s14
	s_add_i32 s15, s11, s15
	s_mov_b32 s29, 0
	s_lshl_b64 s[14:15], s[14:15], 2
	s_delay_alu instid0(SALU_CYCLE_1)
	s_add_u32 s24, s14, s12
	s_addc_u32 s25, s15, s13
	s_or_b32 s11, s18, s17
	s_load_b32 s12, s[24:25], 0x0
	s_cmp_lg_u32 s11, 0
	s_mov_b32 s13, 0
	s_cselect_b32 s11, -1, 0
	s_add_u32 s14, s19, 16
	s_addc_u32 s15, s28, 0
	s_add_u32 s2, s26, s8
	s_addc_u32 s9, s27, s9
	;; [unrolled: 2-line block ×4, first 2 shown]
	s_mov_b64 s[26:27], s[14:15]
	s_waitcnt lgkmcnt(0)
	v_mov_b32_e32 v3, s12
	s_branch .LBB28_9
.LBB28_8:                               ;   in Loop: Header=BB28_9 Depth=1
	s_add_i32 s29, s29, 1
	s_add_u32 s26, s26, 4
	s_addc_u32 s27, s27, 0
	s_add_u32 s8, s8, 4
	s_waitcnt vmcnt(0)
	v_mul_f32_e32 v2, v4, v2
	s_addc_u32 s9, s9, 0
	s_add_u32 s24, s24, 4
	s_addc_u32 s25, s25, 0
	s_cmp_lg_u32 s10, s29
	s_cbranch_scc0 .LBB28_21
.LBB28_9:                               ; =>This Inner Loop Header: Depth=1
	s_delay_alu instid0(VALU_DEP_1)
	v_cmp_eq_f32_e32 vcc_lo, 0, v3
	s_cbranch_vccnz .LBB28_13
; %bb.10:                               ;   in Loop: Header=BB28_9 Depth=1
	v_cmp_neq_f32_e32 vcc_lo, 0, v2
	s_cbranch_vccz .LBB28_14
; %bb.11:                               ;   in Loop: Header=BB28_9 Depth=1
	v_cmp_ngt_f32_e64 s2, |v3|, |v2|
	s_delay_alu instid0(VALU_DEP_1)
	s_and_b32 vcc_lo, exec_lo, s2
	s_cbranch_vccz .LBB28_15
; %bb.12:                               ;   in Loop: Header=BB28_9 Depth=1
	v_div_scale_f32 v4, null, v2, v2, -v3
	v_div_scale_f32 v7, vcc_lo, -v3, v2, -v3
	s_delay_alu instid0(VALU_DEP_2) | instskip(SKIP_2) | instid1(VALU_DEP_1)
	v_rcp_f32_e32 v5, v4
	s_waitcnt_depctr 0xfff
	v_fma_f32 v6, -v4, v5, 1.0
	v_fmac_f32_e32 v5, v6, v5
	s_delay_alu instid0(VALU_DEP_1) | instskip(NEXT) | instid1(VALU_DEP_1)
	v_mul_f32_e32 v6, v7, v5
	v_fma_f32 v8, -v4, v6, v7
	s_delay_alu instid0(VALU_DEP_1) | instskip(NEXT) | instid1(VALU_DEP_1)
	v_fmac_f32_e32 v6, v8, v5
	v_fma_f32 v4, -v4, v6, v7
	s_delay_alu instid0(VALU_DEP_1) | instskip(NEXT) | instid1(VALU_DEP_1)
	v_div_fmas_f32 v4, v4, v5, v6
	v_div_fixup_f32 v5, v4, v2, -v3
	s_delay_alu instid0(VALU_DEP_1) | instskip(NEXT) | instid1(VALU_DEP_1)
	v_fma_f32 v4, v5, v5, 1.0
	v_mul_f32_e32 v6, 0x4f800000, v4
	v_cmp_gt_f32_e32 vcc_lo, 0xf800000, v4
	s_delay_alu instid0(VALU_DEP_2) | instskip(NEXT) | instid1(VALU_DEP_1)
	v_cndmask_b32_e32 v4, v4, v6, vcc_lo
	v_sqrt_f32_e32 v6, v4
	s_waitcnt_depctr 0xfff
	v_add_nc_u32_e32 v7, -1, v6
	v_add_nc_u32_e32 v8, 1, v6
	s_delay_alu instid0(VALU_DEP_2) | instskip(NEXT) | instid1(VALU_DEP_2)
	v_fma_f32 v9, -v7, v6, v4
	v_fma_f32 v10, -v8, v6, v4
	s_delay_alu instid0(VALU_DEP_2) | instskip(NEXT) | instid1(VALU_DEP_1)
	v_cmp_ge_f32_e64 s2, 0, v9
	v_cndmask_b32_e64 v6, v6, v7, s2
	s_delay_alu instid0(VALU_DEP_3) | instskip(NEXT) | instid1(VALU_DEP_1)
	v_cmp_lt_f32_e64 s2, 0, v10
	v_cndmask_b32_e64 v6, v6, v8, s2
	s_delay_alu instid0(VALU_DEP_1) | instskip(NEXT) | instid1(VALU_DEP_1)
	v_mul_f32_e32 v7, 0x37800000, v6
	v_cndmask_b32_e32 v6, v6, v7, vcc_lo
	v_cmp_class_f32_e64 vcc_lo, v4, 0x260
	s_delay_alu instid0(VALU_DEP_2) | instskip(NEXT) | instid1(VALU_DEP_1)
	v_cndmask_b32_e32 v4, v6, v4, vcc_lo
	v_div_scale_f32 v6, null, v4, v4, 1.0
	s_delay_alu instid0(VALU_DEP_1) | instskip(SKIP_2) | instid1(VALU_DEP_1)
	v_rcp_f32_e32 v7, v6
	s_waitcnt_depctr 0xfff
	v_fma_f32 v8, -v6, v7, 1.0
	v_fmac_f32_e32 v7, v8, v7
	v_div_scale_f32 v8, vcc_lo, 1.0, v4, 1.0
	s_delay_alu instid0(VALU_DEP_1) | instskip(NEXT) | instid1(VALU_DEP_1)
	v_mul_f32_e32 v9, v8, v7
	v_fma_f32 v10, -v6, v9, v8
	s_delay_alu instid0(VALU_DEP_1) | instskip(NEXT) | instid1(VALU_DEP_1)
	v_fmac_f32_e32 v9, v10, v7
	v_fma_f32 v6, -v6, v9, v8
	s_delay_alu instid0(VALU_DEP_1) | instskip(NEXT) | instid1(VALU_DEP_1)
	v_div_fmas_f32 v6, v6, v7, v9
	v_div_fixup_f32 v4, v6, v4, 1.0
	s_delay_alu instid0(VALU_DEP_1)
	v_mul_f32_e32 v5, v5, v4
	s_cbranch_execz .LBB28_16
	s_branch .LBB28_17
.LBB28_13:                              ;   in Loop: Header=BB28_9 Depth=1
	v_dual_mov_b32 v4, 1.0 :: v_dual_mov_b32 v5, 0
	s_branch .LBB28_19
.LBB28_14:                              ;   in Loop: Header=BB28_9 Depth=1
                                        ; implicit-def: $vgpr2
                                        ; implicit-def: $vgpr5
                                        ; implicit-def: $vgpr4
	s_cbranch_execnz .LBB28_18
	s_branch .LBB28_19
.LBB28_15:                              ;   in Loop: Header=BB28_9 Depth=1
                                        ; implicit-def: $vgpr5
                                        ; implicit-def: $vgpr4
.LBB28_16:                              ;   in Loop: Header=BB28_9 Depth=1
	v_div_scale_f32 v4, null, v3, v3, -v2
	v_div_scale_f32 v7, vcc_lo, -v2, v3, -v2
	s_delay_alu instid0(VALU_DEP_2) | instskip(SKIP_2) | instid1(VALU_DEP_1)
	v_rcp_f32_e32 v5, v4
	s_waitcnt_depctr 0xfff
	v_fma_f32 v6, -v4, v5, 1.0
	v_fmac_f32_e32 v5, v6, v5
	s_delay_alu instid0(VALU_DEP_1) | instskip(NEXT) | instid1(VALU_DEP_1)
	v_mul_f32_e32 v6, v7, v5
	v_fma_f32 v8, -v4, v6, v7
	s_delay_alu instid0(VALU_DEP_1) | instskip(NEXT) | instid1(VALU_DEP_1)
	v_fmac_f32_e32 v6, v8, v5
	v_fma_f32 v4, -v4, v6, v7
	s_delay_alu instid0(VALU_DEP_1) | instskip(NEXT) | instid1(VALU_DEP_1)
	v_div_fmas_f32 v4, v4, v5, v6
	v_div_fixup_f32 v4, v4, v3, -v2
	s_delay_alu instid0(VALU_DEP_1) | instskip(NEXT) | instid1(VALU_DEP_1)
	v_fma_f32 v5, v4, v4, 1.0
	v_mul_f32_e32 v6, 0x4f800000, v5
	v_cmp_gt_f32_e32 vcc_lo, 0xf800000, v5
	s_delay_alu instid0(VALU_DEP_2) | instskip(NEXT) | instid1(VALU_DEP_1)
	v_cndmask_b32_e32 v5, v5, v6, vcc_lo
	v_sqrt_f32_e32 v6, v5
	s_waitcnt_depctr 0xfff
	v_add_nc_u32_e32 v7, -1, v6
	v_add_nc_u32_e32 v8, 1, v6
	s_delay_alu instid0(VALU_DEP_2) | instskip(NEXT) | instid1(VALU_DEP_2)
	v_fma_f32 v9, -v7, v6, v5
	v_fma_f32 v10, -v8, v6, v5
	s_delay_alu instid0(VALU_DEP_2) | instskip(NEXT) | instid1(VALU_DEP_1)
	v_cmp_ge_f32_e64 s2, 0, v9
	v_cndmask_b32_e64 v6, v6, v7, s2
	s_delay_alu instid0(VALU_DEP_3) | instskip(NEXT) | instid1(VALU_DEP_1)
	v_cmp_lt_f32_e64 s2, 0, v10
	v_cndmask_b32_e64 v6, v6, v8, s2
	s_delay_alu instid0(VALU_DEP_1) | instskip(NEXT) | instid1(VALU_DEP_1)
	v_mul_f32_e32 v7, 0x37800000, v6
	v_cndmask_b32_e32 v6, v6, v7, vcc_lo
	v_cmp_class_f32_e64 vcc_lo, v5, 0x260
	s_delay_alu instid0(VALU_DEP_2) | instskip(NEXT) | instid1(VALU_DEP_1)
	v_cndmask_b32_e32 v5, v6, v5, vcc_lo
	v_div_scale_f32 v6, null, v5, v5, 1.0
	s_delay_alu instid0(VALU_DEP_1) | instskip(SKIP_2) | instid1(VALU_DEP_1)
	v_rcp_f32_e32 v7, v6
	s_waitcnt_depctr 0xfff
	v_fma_f32 v8, -v6, v7, 1.0
	v_fmac_f32_e32 v7, v8, v7
	v_div_scale_f32 v8, vcc_lo, 1.0, v5, 1.0
	s_delay_alu instid0(VALU_DEP_1) | instskip(NEXT) | instid1(VALU_DEP_1)
	v_mul_f32_e32 v9, v8, v7
	v_fma_f32 v10, -v6, v9, v8
	s_delay_alu instid0(VALU_DEP_1) | instskip(NEXT) | instid1(VALU_DEP_1)
	v_fmac_f32_e32 v9, v10, v7
	v_fma_f32 v6, -v6, v9, v8
	s_delay_alu instid0(VALU_DEP_1) | instskip(NEXT) | instid1(VALU_DEP_1)
	v_div_fmas_f32 v6, v6, v7, v9
	v_div_fixup_f32 v5, v6, v5, 1.0
	s_delay_alu instid0(VALU_DEP_1)
	v_mul_f32_e32 v4, v4, v5
.LBB28_17:                              ;   in Loop: Header=BB28_9 Depth=1
	s_delay_alu instid0(VALU_DEP_1) | instskip(NEXT) | instid1(VALU_DEP_1)
	v_mul_f32_e32 v6, v3, v5
	v_fma_f32 v2, v2, v4, -v6
	s_branch .LBB28_19
.LBB28_18:                              ;   in Loop: Header=BB28_9 Depth=1
	v_xor_b32_e32 v2, 0x80000000, v3
	v_dual_mov_b32 v4, 0 :: v_dual_mov_b32 v5, 1.0
.LBB28_19:                              ;   in Loop: Header=BB28_9 Depth=1
	global_load_b32 v6, v1, s[8:9]
	global_store_b32 v1, v2, s[8:9] offset:-4
	global_load_b32 v3, v1, s[24:25]
	s_and_not1_b32 vcc_lo, exec_lo, s11
	s_waitcnt vmcnt(1)
	v_mul_f32_e64 v2, v6, -v5
	global_store_b32 v1, v2, s[24:25] offset:-4
	global_load_b32 v2, v1, s[8:9]
	s_cbranch_vccnz .LBB28_8
; %bb.20:                               ;   in Loop: Header=BB28_9 Depth=1
	s_add_i32 s12, s16, s29
	s_delay_alu instid0(SALU_CYCLE_1) | instskip(NEXT) | instid1(SALU_CYCLE_1)
	s_lshl_b64 s[30:31], s[12:13], 2
	s_add_u32 s30, s14, s30
	s_addc_u32 s31, s15, s31
	s_clause 0x1
	global_store_b32 v1, v4, s[26:27]
	global_store_b32 v1, v5, s[30:31]
	s_branch .LBB28_8
.LBB28_21:
	s_ashr_i32 s11, s10, 31
	v_mov_b32_e32 v1, 0
	s_lshl_b64 s[8:9], s[10:11], 2
	s_delay_alu instid0(SALU_CYCLE_1)
	s_add_u32 s4, s4, s8
	s_addc_u32 s5, s5, s9
	global_store_b32 v1, v2, s[4:5]
.LBB28_22:
	s_or_b32 exec_lo, exec_lo, s6
	s_delay_alu instid0(SALU_CYCLE_1)
	s_mov_b32 s24, exec_lo
	s_waitcnt_vscnt null, 0x0
	s_barrier
	buffer_gl0_inv
	v_cmpx_gt_i32_e64 s17, v0
	s_cbranch_execz .LBB28_28
; %bb.23:
	s_load_b32 s2, s[0:1], 0x8c
	s_add_i32 s25, s16, -1
	s_cmp_gt_i32 s16, 1
	s_mul_i32 s12, s25, s7
	s_cselect_b32 s26, -1, 0
	v_dual_mov_b32 v6, 0 :: v_dual_mov_b32 v1, v0
	s_mov_b32 s10, s7
	s_mov_b32 s5, 0
	;; [unrolled: 1-line block ×3, first 2 shown]
	s_waitcnt lgkmcnt(0)
	s_and_b32 s27, s2, 0xffff
	s_add_u32 s8, s19, 16
	s_addc_u32 s9, s28, 0
	s_ashr_i32 s13, s12, 31
	s_ashr_i32 s11, s7, 31
	s_lshl_b64 s[6:7], s[4:5], 2
	s_lshl_b64 s[10:11], s[10:11], 2
	;; [unrolled: 1-line block ×3, first 2 shown]
	s_branch .LBB28_25
.LBB28_24:                              ;   in Loop: Header=BB28_25 Depth=1
	v_add_nc_u32_e32 v1, s27, v1
	v_add_co_u32 v2, s2, v2, s12
	s_delay_alu instid0(VALU_DEP_1) | instskip(NEXT) | instid1(VALU_DEP_3)
	v_add_co_ci_u32_e64 v3, s2, s13, v3, s2
	v_cmp_le_i32_e32 vcc_lo, s17, v1
	s_waitcnt vmcnt(0) lgkmcnt(0)
	flat_store_b32 v[2:3], v7
	s_or_b32 s5, vcc_lo, s5
	s_delay_alu instid0(SALU_CYCLE_1)
	s_and_not1_b32 exec_lo, exec_lo, s5
	s_cbranch_execz .LBB28_28
.LBB28_25:                              ; =>This Loop Header: Depth=1
                                        ;     Child Loop BB28_27 Depth 2
	v_ashrrev_i32_e32 v2, 31, v1
	s_delay_alu instid0(VALU_DEP_1) | instskip(NEXT) | instid1(VALU_DEP_1)
	v_lshlrev_b64 v[2:3], 2, v[1:2]
	v_add_co_u32 v2, vcc_lo, s22, v2
	s_delay_alu instid0(VALU_DEP_2)
	v_add_co_ci_u32_e32 v3, vcc_lo, s23, v3, vcc_lo
	s_and_not1_b32 vcc_lo, exec_lo, s26
	flat_load_b32 v7, v[2:3]
	s_cbranch_vccnz .LBB28_24
; %bb.26:                               ;   in Loop: Header=BB28_25 Depth=1
	v_dual_mov_b32 v5, v3 :: v_dual_mov_b32 v4, v2
	s_mov_b32 s2, s25
	s_mov_b64 s[14:15], s[8:9]
	.p2align	6
.LBB28_27:                              ;   Parent Loop BB28_25 Depth=1
                                        ; =>  This Inner Loop Header: Depth=2
	s_delay_alu instid0(VALU_DEP_1) | instskip(NEXT) | instid1(VALU_DEP_2)
	v_add_co_u32 v8, vcc_lo, v4, s10
	v_add_co_ci_u32_e32 v9, vcc_lo, s11, v5, vcc_lo
	s_add_u32 s30, s14, s6
	s_addc_u32 s31, s15, s7
	global_load_b32 v10, v6, s[30:31]
	flat_load_b32 v11, v[8:9]
	global_load_b32 v12, v6, s[14:15]
	s_add_u32 s14, s14, 4
	s_addc_u32 s15, s15, 0
	s_add_i32 s2, s2, -1
	s_delay_alu instid0(SALU_CYCLE_1) | instskip(SKIP_3) | instid1(VALU_DEP_1)
	s_cmp_lg_u32 s2, 0
	s_waitcnt vmcnt(1) lgkmcnt(0)
	v_mul_f32_e32 v13, v11, v10
	s_waitcnt vmcnt(0)
	v_fma_f32 v13, v7, v12, -v13
	v_mul_f32_e32 v7, v7, v10
	flat_store_b32 v[4:5], v13
	v_dual_mov_b32 v4, v8 :: v_dual_fmac_f32 v7, v11, v12
	v_mov_b32_e32 v5, v9
	s_cbranch_scc1 .LBB28_27
	s_branch .LBB28_24
.LBB28_28:
	s_or_b32 exec_lo, exec_lo, s24
	s_delay_alu instid0(SALU_CYCLE_1)
	s_mov_b32 s2, exec_lo
	v_cmpx_gt_i32_e64 s18, v0
	s_cbranch_execz .LBB28_34
; %bb.29:
	s_load_b32 s0, s[0:1], 0x8c
	s_add_i32 s4, s16, -1
	v_mul_lo_u32 v1, v0, s3
	s_cmp_gt_i32 s16, 1
	v_mov_b32_e32 v7, 0
	s_cselect_b32 s2, -1, 0
	s_mov_b32 s17, 0
	s_waitcnt lgkmcnt(0)
	s_and_b32 s12, s0, 0xffff
	s_add_u32 s6, s19, 16
	s_addc_u32 s7, s28, 0
	s_ashr_i32 s5, s4, 31
	s_mul_i32 s13, s3, s12
	s_lshl_b64 s[8:9], s[16:17], 2
	s_lshl_b64 s[10:11], s[4:5], 2
	s_branch .LBB28_31
.LBB28_30:                              ;   in Loop: Header=BB28_31 Depth=1
	v_add_nc_u32_e32 v0, s12, v0
	v_add_co_u32 v2, s0, v3, s10
	s_delay_alu instid0(VALU_DEP_1) | instskip(NEXT) | instid1(VALU_DEP_3)
	v_add_co_ci_u32_e64 v3, s0, s11, v4, s0
	v_cmp_le_i32_e32 vcc_lo, s18, v0
	v_add_nc_u32_e32 v1, s13, v1
	s_waitcnt vmcnt(0) lgkmcnt(0)
	flat_store_b32 v[2:3], v8
	s_or_b32 s17, vcc_lo, s17
	s_delay_alu instid0(SALU_CYCLE_1)
	s_and_not1_b32 exec_lo, exec_lo, s17
	s_cbranch_execz .LBB28_34
.LBB28_31:                              ; =>This Loop Header: Depth=1
                                        ;     Child Loop BB28_33 Depth 2
	v_mul_lo_u32 v2, v0, s3
	s_delay_alu instid0(VALU_DEP_1) | instskip(NEXT) | instid1(VALU_DEP_1)
	v_ashrrev_i32_e32 v3, 31, v2
	v_lshlrev_b64 v[3:4], 2, v[2:3]
	s_delay_alu instid0(VALU_DEP_1) | instskip(NEXT) | instid1(VALU_DEP_2)
	v_add_co_u32 v3, vcc_lo, s20, v3
	v_add_co_ci_u32_e32 v4, vcc_lo, s21, v4, vcc_lo
	s_and_not1_b32 vcc_lo, exec_lo, s2
	flat_load_b32 v8, v[3:4]
	s_cbranch_vccnz .LBB28_30
; %bb.32:                               ;   in Loop: Header=BB28_31 Depth=1
	v_ashrrev_i32_e32 v2, 31, v1
	s_mov_b32 s5, s4
	s_mov_b64 s[0:1], s[6:7]
	s_delay_alu instid0(VALU_DEP_1) | instskip(NEXT) | instid1(VALU_DEP_1)
	v_lshlrev_b64 v[5:6], 2, v[1:2]
	v_add_co_u32 v5, vcc_lo, s20, v5
	s_delay_alu instid0(VALU_DEP_2)
	v_add_co_ci_u32_e32 v6, vcc_lo, s21, v6, vcc_lo
	.p2align	6
.LBB28_33:                              ;   Parent Loop BB28_31 Depth=1
                                        ; =>  This Inner Loop Header: Depth=2
	s_add_u32 s14, s0, s8
	s_addc_u32 s15, s1, s9
	flat_load_b32 v2, v[5:6] offset:4
	s_clause 0x1
	global_load_b32 v11, v7, s[0:1]
	global_load_b32 v12, v7, s[14:15]
	v_add_co_u32 v9, vcc_lo, v5, 4
	v_add_co_ci_u32_e32 v10, vcc_lo, 0, v6, vcc_lo
	s_add_u32 s0, s0, 4
	s_addc_u32 s1, s1, 0
	s_add_i32 s5, s5, -1
	s_delay_alu instid0(SALU_CYCLE_1) | instskip(SKIP_2) | instid1(VALU_DEP_1)
	s_cmp_lg_u32 s5, 0
	s_waitcnt vmcnt(0) lgkmcnt(0)
	v_mul_f32_e32 v13, v2, v12
	v_fma_f32 v13, v8, v11, -v13
	v_mul_f32_e32 v8, v8, v12
	flat_store_b32 v[5:6], v13
	v_dual_mov_b32 v5, v9 :: v_dual_fmac_f32 v8, v2, v11
	v_mov_b32_e32 v6, v10
	s_cbranch_scc1 .LBB28_33
	s_branch .LBB28_30
.LBB28_34:
	s_endpgm
	.section	.rodata,"a",@progbits
	.p2align	6, 0x0
	.amdhsa_kernel _ZN9rocsolver6v33100L17bdsqr_lower2upperIffPfS2_EEviiiPT0_lS4_lT1_iilT2_iilPiS4_lS7_
		.amdhsa_group_segment_fixed_size 0
		.amdhsa_private_segment_fixed_size 0
		.amdhsa_kernarg_size 384
		.amdhsa_user_sgpr_count 14
		.amdhsa_user_sgpr_dispatch_ptr 0
		.amdhsa_user_sgpr_queue_ptr 0
		.amdhsa_user_sgpr_kernarg_segment_ptr 1
		.amdhsa_user_sgpr_dispatch_id 0
		.amdhsa_user_sgpr_private_segment_size 0
		.amdhsa_wavefront_size32 1
		.amdhsa_uses_dynamic_stack 0
		.amdhsa_enable_private_segment 0
		.amdhsa_system_sgpr_workgroup_id_x 1
		.amdhsa_system_sgpr_workgroup_id_y 1
		.amdhsa_system_sgpr_workgroup_id_z 0
		.amdhsa_system_sgpr_workgroup_info 0
		.amdhsa_system_vgpr_workitem_id 0
		.amdhsa_next_free_vgpr 14
		.amdhsa_next_free_sgpr 32
		.amdhsa_reserve_vcc 1
		.amdhsa_float_round_mode_32 0
		.amdhsa_float_round_mode_16_64 0
		.amdhsa_float_denorm_mode_32 3
		.amdhsa_float_denorm_mode_16_64 3
		.amdhsa_dx10_clamp 1
		.amdhsa_ieee_mode 1
		.amdhsa_fp16_overflow 0
		.amdhsa_workgroup_processor_mode 1
		.amdhsa_memory_ordered 1
		.amdhsa_forward_progress 0
		.amdhsa_shared_vgpr_count 0
		.amdhsa_exception_fp_ieee_invalid_op 0
		.amdhsa_exception_fp_denorm_src 0
		.amdhsa_exception_fp_ieee_div_zero 0
		.amdhsa_exception_fp_ieee_overflow 0
		.amdhsa_exception_fp_ieee_underflow 0
		.amdhsa_exception_fp_ieee_inexact 0
		.amdhsa_exception_int_div_zero 0
	.end_amdhsa_kernel
	.section	.text._ZN9rocsolver6v33100L17bdsqr_lower2upperIffPfS2_EEviiiPT0_lS4_lT1_iilT2_iilPiS4_lS7_,"axG",@progbits,_ZN9rocsolver6v33100L17bdsqr_lower2upperIffPfS2_EEviiiPT0_lS4_lT1_iilT2_iilPiS4_lS7_,comdat
.Lfunc_end28:
	.size	_ZN9rocsolver6v33100L17bdsqr_lower2upperIffPfS2_EEviiiPT0_lS4_lT1_iilT2_iilPiS4_lS7_, .Lfunc_end28-_ZN9rocsolver6v33100L17bdsqr_lower2upperIffPfS2_EEviiiPT0_lS4_lT1_iilT2_iilPiS4_lS7_
                                        ; -- End function
	.section	.AMDGPU.csdata,"",@progbits
; Kernel info:
; codeLenInByte = 2228
; NumSgprs: 34
; NumVgprs: 14
; ScratchSize: 0
; MemoryBound: 0
; FloatMode: 240
; IeeeMode: 1
; LDSByteSize: 0 bytes/workgroup (compile time only)
; SGPRBlocks: 4
; VGPRBlocks: 1
; NumSGPRsForWavesPerEU: 34
; NumVGPRsForWavesPerEU: 14
; Occupancy: 16
; WaveLimiterHint : 0
; COMPUTE_PGM_RSRC2:SCRATCH_EN: 0
; COMPUTE_PGM_RSRC2:USER_SGPR: 14
; COMPUTE_PGM_RSRC2:TRAP_HANDLER: 0
; COMPUTE_PGM_RSRC2:TGID_X_EN: 1
; COMPUTE_PGM_RSRC2:TGID_Y_EN: 1
; COMPUTE_PGM_RSRC2:TGID_Z_EN: 0
; COMPUTE_PGM_RSRC2:TIDIG_COMP_CNT: 0
	.section	.text._ZN9rocsolver6v33100L13bdsqr_computeILi256EffPfS2_S2_EEviiiiPT1_lS4_lT2_iilT3_iilT4_iiliS3_S3_S3_S3_PiS4_ilS8_,"axG",@progbits,_ZN9rocsolver6v33100L13bdsqr_computeILi256EffPfS2_S2_EEviiiiPT1_lS4_lT2_iilT3_iilT4_iiliS3_S3_S3_S3_PiS4_ilS8_,comdat
	.globl	_ZN9rocsolver6v33100L13bdsqr_computeILi256EffPfS2_S2_EEviiiiPT1_lS4_lT2_iilT3_iilT4_iiliS3_S3_S3_S3_PiS4_ilS8_ ; -- Begin function _ZN9rocsolver6v33100L13bdsqr_computeILi256EffPfS2_S2_EEviiiiPT1_lS4_lT2_iilT3_iilT4_iiliS3_S3_S3_S3_PiS4_ilS8_
	.p2align	8
	.type	_ZN9rocsolver6v33100L13bdsqr_computeILi256EffPfS2_S2_EEviiiiPT1_lS4_lT2_iilT3_iilT4_iiliS3_S3_S3_S3_PiS4_ilS8_,@function
_ZN9rocsolver6v33100L13bdsqr_computeILi256EffPfS2_S2_EEviiiiPT1_lS4_lT2_iilT3_iilT4_iiliS3_S3_S3_S3_PiS4_ilS8_: ; @_ZN9rocsolver6v33100L13bdsqr_computeILi256EffPfS2_S2_EEviiiiPT1_lS4_lT2_iilT3_iilT4_iiliS3_S3_S3_S3_PiS4_ilS8_
; %bb.0:
	s_load_b128 s[4:7], s[0:1], 0xa8
	s_mov_b32 s38, s15
	s_ashr_i32 s39, s15, 31
	s_delay_alu instid0(SALU_CYCLE_1)
	s_lshl_b64 s[2:3], s[38:39], 2
	s_waitcnt lgkmcnt(0)
	s_add_u32 s2, s6, s2
	s_addc_u32 s3, s7, s3
	s_load_b32 s2, s[2:3], 0x8
	s_waitcnt lgkmcnt(0)
	s_cmp_lg_u32 s2, 0
	s_cbranch_scc1 .LBB29_182
; %bb.1:
	s_load_b256 s[16:23], s[0:1], 0x30
	s_mov_b64 s[12:13], 0
	s_mov_b64 s[28:29], 0
	s_waitcnt lgkmcnt(0)
	s_cmp_eq_u64 s[16:17], 0
	s_cbranch_scc1 .LBB29_3
; %bb.2:
	s_mul_i32 s2, s38, s21
	s_mul_hi_u32 s3, s38, s20
	s_mul_i32 s6, s39, s20
	s_add_i32 s2, s3, s2
	s_ashr_i32 s7, s18, 31
	s_add_i32 s3, s2, s6
	s_mul_i32 s2, s38, s20
	s_mov_b32 s6, s18
	s_lshl_b64 s[2:3], s[2:3], 2
	s_delay_alu instid0(SALU_CYCLE_1) | instskip(SKIP_2) | instid1(SALU_CYCLE_1)
	s_add_u32 s8, s16, s2
	s_addc_u32 s9, s17, s3
	s_lshl_b64 s[2:3], s[6:7], 2
	s_add_u32 s28, s8, s2
	s_addc_u32 s29, s9, s3
.LBB29_3:
	s_clause 0x1
	s_load_b64 s[16:17], s[0:1], 0x50
	s_load_b128 s[8:11], s[0:1], 0x58
	s_cmp_eq_u64 s[22:23], 0
	s_cbranch_scc1 .LBB29_5
; %bb.4:
	s_waitcnt lgkmcnt(0)
	s_mul_i32 s2, s38, s9
	s_mul_hi_u32 s3, s38, s8
	s_mul_i32 s6, s39, s8
	s_add_i32 s2, s3, s2
	s_ashr_i32 s7, s16, 31
	s_add_i32 s3, s2, s6
	s_mul_i32 s2, s38, s8
	s_mov_b32 s6, s16
	s_lshl_b64 s[2:3], s[2:3], 2
	s_delay_alu instid0(SALU_CYCLE_1) | instskip(SKIP_2) | instid1(SALU_CYCLE_1)
	s_add_u32 s8, s22, s2
	s_addc_u32 s9, s23, s3
	s_lshl_b64 s[2:3], s[6:7], 2
	s_add_u32 s12, s8, s2
	s_addc_u32 s13, s9, s3
.LBB29_5:
	s_load_b64 s[30:31], s[0:1], 0x68
	s_waitcnt lgkmcnt(0)
	s_cmp_eq_u64 s[10:11], 0
	s_mov_b64 s[34:35], 0
	s_cbranch_scc1 .LBB29_7
; %bb.6:
	s_load_b64 s[2:3], s[0:1], 0x70
	s_waitcnt lgkmcnt(0)
	s_mul_i32 s3, s38, s3
	s_mul_hi_u32 s6, s38, s2
	s_mul_i32 s7, s39, s2
	s_add_i32 s3, s6, s3
	s_mul_i32 s2, s38, s2
	s_add_i32 s3, s3, s7
	s_ashr_i32 s7, s30, 31
	s_lshl_b64 s[2:3], s[2:3], 2
	s_mov_b32 s6, s30
	s_add_u32 s8, s10, s2
	s_addc_u32 s9, s11, s3
	s_lshl_b64 s[2:3], s[6:7], 2
	s_delay_alu instid0(SALU_CYCLE_1)
	s_add_u32 s34, s8, s2
	s_addc_u32 s35, s9, s3
.LBB29_7:
	s_load_b128 s[24:27], s[0:1], 0x90
	s_mul_i32 s2, s38, s5
	s_mul_hi_u32 s3, s38, s4
	s_delay_alu instid0(SALU_CYCLE_1) | instskip(SKIP_1) | instid1(SALU_CYCLE_1)
	s_add_i32 s2, s3, s2
	s_mul_i32 s3, s39, s4
	s_add_i32 s3, s2, s3
	s_mul_i32 s2, s38, s4
	s_delay_alu instid0(SALU_CYCLE_1)
	s_lshl_b64 s[42:43], s[2:3], 2
	s_waitcnt lgkmcnt(0)
	s_add_u32 s36, s26, s42
	s_addc_u32 s37, s27, s43
	s_load_b32 s2, s[36:37], 0x8
	s_waitcnt lgkmcnt(0)
	v_cvt_i32_f32_e32 v7, s2
	s_delay_alu instid0(VALU_DEP_1)
	v_cmp_ge_i32_e32 vcc_lo, s14, v7
	s_cbranch_vccnz .LBB29_182
; %bb.8:
	s_clause 0x1
	s_load_b128 s[20:23], s[0:1], 0x0
	s_load_b256 s[4:11], s[0:1], 0x10
	v_dual_mov_b32 v11, 0 :: v_dual_lshlrev_b32 v8, 2, v0
	v_mul_lo_u32 v9, v0, s19
	v_mul_lo_u32 v10, v0, s31
	v_cmp_gt_u32_e64 s2, 0x80, v0
	v_cmp_gt_u32_e64 s3, 64, v0
	v_mov_b32_e32 v18, 1
	v_add_nc_u32_e32 v12, -1, v9
	v_add_nc_u32_e32 v13, -1, v10
	s_waitcnt lgkmcnt(0)
	s_mul_i32 s15, s38, s20
	s_mul_i32 s7, s38, s7
	s_lshl_b32 s40, s15, 1
	s_mul_hi_u32 s16, s38, s6
	s_ashr_i32 s41, s40, 31
	s_mul_i32 s20, s39, s6
	s_lshl_b64 s[40:41], s[40:41], 2
	s_mul_i32 s6, s38, s6
	s_add_u32 s15, s24, s40
	s_addc_u32 s18, s25, s41
	s_add_i32 s7, s16, s7
	s_mul_i32 s11, s38, s11
	s_add_i32 s7, s7, s20
	s_mul_hi_u32 s16, s38, s10
	s_lshl_b64 s[6:7], s[6:7], 2
	s_mul_i32 s24, s39, s10
	s_add_u32 s20, s4, s6
	s_addc_u32 s30, s5, s7
	s_add_i32 s4, s16, s11
	s_mul_i32 s10, s38, s10
	s_add_i32 s11, s4, s24
	s_clause 0x3
	s_load_b64 s[24:25], s[0:1], 0x78
	s_load_b64 s[38:39], s[0:1], 0x84
	s_load_b32 s74, s[0:1], 0xa0
	s_load_b32 s75, s[0:1], 0xbc
	s_lshl_b64 s[44:45], s[10:11], 2
	v_add_co_u32 v14, s16, s20, v8
	s_add_u32 s33, s8, s44
	s_addc_u32 s72, s9, s45
	s_cmp_lg_u32 s21, 0
	v_add_co_ci_u32_e64 v15, null, s30, 0, s16
	s_cselect_b32 s73, -1, 0
	s_or_b32 s6, s23, s22
	v_add_co_u32 v16, s46, s33, v8
	s_cmp_eq_u32 s6, 0
	v_cmp_gt_u32_e64 s4, 32, v0
	s_cselect_b32 s76, -1, 0
	s_cmp_lg_u64 s[28:29], 0
	v_cmp_eq_u32_e64 s5, 0, v0
	s_cselect_b32 s6, -1, 0
	v_add_co_ci_u32_e64 v17, null, s72, 0, s46
	s_and_b32 s77, s73, s6
	s_add_u32 s40, s0, 0xb8
	s_addc_u32 s41, s1, 0
	s_cmp_lg_u64 s[12:13], 0
	v_cmp_gt_i32_e64 s0, s21, v0
	s_cselect_b32 s6, -1, 0
	s_cmp_lg_u32 s22, 0
	v_cmp_gt_i32_e64 s1, s22, v0
	s_cselect_b32 s7, -1, 0
	s_delay_alu instid0(SALU_CYCLE_1)
	s_and_b32 s78, s7, s6
	s_cmp_lg_u64 s[34:35], 0
	v_cmp_gt_i32_e64 s6, s23, v0
	s_cselect_b32 s7, -1, 0
	s_cmp_lg_u32 s23, 0
	s_cselect_b32 s16, -1, 0
	s_delay_alu instid0(SALU_CYCLE_1)
	s_and_b32 s79, s16, s7
	s_add_u32 s80, s26, s42
	s_addc_u32 s81, s27, s43
	s_add_u32 s82, s80, 12
	s_addc_u32 s83, s81, 0
	s_add_u32 s84, s8, -4
	s_addc_u32 s85, s9, -1
	s_add_u32 s103, s84, s44
	s_addc_u32 s104, s85, s45
	s_add_u32 s88, s20, -4
	s_addc_u32 s89, s30, -1
	s_add_u32 s90, s80, 20
	s_addc_u32 s91, s81, 0
	s_branch .LBB29_11
.LBB29_9:                               ;   in Loop: Header=BB29_11 Depth=1
	s_or_b32 exec_lo, exec_lo, s50
.LBB29_10:                              ;   in Loop: Header=BB29_11 Depth=1
	s_waitcnt lgkmcnt(0)
	s_add_i32 s14, s75, s14
	s_delay_alu instid0(SALU_CYCLE_1)
	v_cmp_lt_i32_e32 vcc_lo, s14, v7
	s_cbranch_vccz .LBB29_182
.LBB29_11:                              ; =>This Loop Header: Depth=1
                                        ;     Child Loop BB29_15 Depth 2
                                        ;     Child Loop BB29_42 Depth 2
	;; [unrolled: 1-line block ×5, first 2 shown]
                                        ;       Child Loop BB29_165 Depth 3
                                        ;     Child Loop BB29_170 Depth 2
                                        ;       Child Loop BB29_172 Depth 3
                                        ;     Child Loop BB29_177 Depth 2
                                        ;       Child Loop BB29_179 Depth 3
	s_lshl_b32 s8, s14, 2
	s_delay_alu instid0(SALU_CYCLE_1) | instskip(NEXT) | instid1(SALU_CYCLE_1)
	s_ashr_i32 s9, s8, 31
	s_lshl_b64 s[8:9], s[8:9], 2
	s_delay_alu instid0(SALU_CYCLE_1)
	s_add_u32 s48, s15, s8
	s_addc_u32 s49, s18, s9
	global_load_b64 v[1:2], v11, s[48:49] offset:4
	s_waitcnt vmcnt(0)
	v_readfirstlane_b32 s42, v1
	v_readfirstlane_b32 s26, v2
	s_delay_alu instid0(VALU_DEP_1)
	s_cmp_le_i32 s26, s42
	s_cbranch_scc1 .LBB29_10
; %bb.12:                               ;   in Loop: Header=BB29_11 Depth=1
	global_load_b32 v1, v11, s[48:49] offset:12
	s_waitcnt vmcnt(0) lgkmcnt(0)
	v_cmp_le_i32_e32 vcc_lo, s24, v1
	s_cbranch_vccnz .LBB29_10
; %bb.13:                               ;   in Loop: Header=BB29_11 Depth=1
	v_mov_b32_e32 v3, 0
	s_sub_i32 s8, s26, s42
	s_ashr_i32 s43, s42, 31
	s_mov_b32 s9, exec_lo
	v_cmpx_ge_i32_e64 s8, v0
	s_cbranch_execz .LBB29_17
; %bb.14:                               ;   in Loop: Header=BB29_11 Depth=1
	s_lshl_b64 s[44:45], s[42:43], 2
	v_dual_mov_b32 v3, 0 :: v_dual_mov_b32 v4, v0
	v_add_co_u32 v1, vcc_lo, v14, s44
	v_add_co_ci_u32_e32 v2, vcc_lo, s45, v15, vcc_lo
	s_mov_b32 s16, 0
	.p2align	6
.LBB29_15:                              ;   Parent Loop BB29_11 Depth=1
                                        ; =>  This Inner Loop Header: Depth=2
	global_load_b32 v5, v[1:2], off
	v_add_nc_u32_e32 v4, 0x100, v4
	v_add_co_u32 v1, vcc_lo, 0x400, v1
	v_add_co_ci_u32_e32 v2, vcc_lo, 0, v2, vcc_lo
	s_delay_alu instid0(VALU_DEP_3) | instskip(NEXT) | instid1(VALU_DEP_1)
	v_cmp_lt_i32_e64 s7, s8, v4
	s_or_b32 s16, s7, s16
	s_waitcnt vmcnt(0)
	v_cmp_lt_f32_e64 s27, v3, |v5|
	s_delay_alu instid0(VALU_DEP_1)
	v_cndmask_b32_e64 v3, v3, |v5|, s27
	s_and_not1_b32 exec_lo, exec_lo, s16
	s_cbranch_execnz .LBB29_15
; %bb.16:                               ;   in Loop: Header=BB29_11 Depth=1
	s_or_b32 exec_lo, exec_lo, s16
.LBB29_17:                              ;   in Loop: Header=BB29_11 Depth=1
	s_delay_alu instid0(SALU_CYCLE_1)
	s_or_b32 exec_lo, exec_lo, s9
	s_cmp_lt_i32 s8, 1
	ds_store_b32 v8, v3
	s_waitcnt lgkmcnt(0)
	s_waitcnt_vscnt null, 0x0
	s_barrier
	buffer_gl0_inv
	s_cbranch_scc1 .LBB29_40
; %bb.18:                               ;   in Loop: Header=BB29_11 Depth=1
	s_and_saveexec_b32 s7, s2
	s_cbranch_execz .LBB29_22
; %bb.19:                               ;   in Loop: Header=BB29_11 Depth=1
	ds_load_b32 v1, v8 offset:512
	s_mov_b32 s9, exec_lo
	s_waitcnt lgkmcnt(0)
	v_cmpx_lt_f32_e32 v3, v1
	s_cbranch_execz .LBB29_21
; %bb.20:                               ;   in Loop: Header=BB29_11 Depth=1
	v_mov_b32_e32 v3, v1
	ds_store_b32 v8, v1
.LBB29_21:                              ;   in Loop: Header=BB29_11 Depth=1
	s_or_b32 exec_lo, exec_lo, s9
.LBB29_22:                              ;   in Loop: Header=BB29_11 Depth=1
	s_delay_alu instid0(SALU_CYCLE_1)
	s_or_b32 exec_lo, exec_lo, s7
	s_waitcnt lgkmcnt(0)
	s_barrier
	buffer_gl0_inv
	s_and_saveexec_b32 s7, s3
	s_cbranch_execz .LBB29_26
; %bb.23:                               ;   in Loop: Header=BB29_11 Depth=1
	ds_load_b32 v1, v8 offset:256
	s_mov_b32 s9, exec_lo
	s_waitcnt lgkmcnt(0)
	v_cmpx_lt_f32_e32 v3, v1
	s_cbranch_execz .LBB29_25
; %bb.24:                               ;   in Loop: Header=BB29_11 Depth=1
	v_mov_b32_e32 v3, v1
	ds_store_b32 v8, v1
.LBB29_25:                              ;   in Loop: Header=BB29_11 Depth=1
	s_or_b32 exec_lo, exec_lo, s9
.LBB29_26:                              ;   in Loop: Header=BB29_11 Depth=1
	s_delay_alu instid0(SALU_CYCLE_1)
	s_or_b32 exec_lo, exec_lo, s7
	s_waitcnt lgkmcnt(0)
	s_barrier
	buffer_gl0_inv
	s_and_saveexec_b32 s7, s4
	s_cbranch_execz .LBB29_39
; %bb.27:                               ;   in Loop: Header=BB29_11 Depth=1
	ds_load_b32 v1, v8 offset:128
	s_mov_b32 s9, exec_lo
	s_waitcnt lgkmcnt(0)
	v_cmpx_lt_f32_e32 v3, v1
	s_cbranch_execz .LBB29_29
; %bb.28:                               ;   in Loop: Header=BB29_11 Depth=1
	v_mov_b32_e32 v3, v1
	ds_store_b32 v8, v1
.LBB29_29:                              ;   in Loop: Header=BB29_11 Depth=1
	s_or_b32 exec_lo, exec_lo, s9
	ds_load_b32 v1, v8 offset:64
	s_mov_b32 s9, exec_lo
	s_waitcnt lgkmcnt(0)
	v_cmpx_lt_f32_e32 v3, v1
	s_cbranch_execz .LBB29_31
; %bb.30:                               ;   in Loop: Header=BB29_11 Depth=1
	v_mov_b32_e32 v3, v1
	ds_store_b32 v8, v1
.LBB29_31:                              ;   in Loop: Header=BB29_11 Depth=1
	s_or_b32 exec_lo, exec_lo, s9
	;; [unrolled: 10-line block ×5, first 2 shown]
	ds_load_b32 v1, v8 offset:4
	s_waitcnt lgkmcnt(0)
	v_cmp_lt_f32_e32 vcc_lo, v3, v1
	s_and_b32 exec_lo, exec_lo, vcc_lo
	s_cbranch_execz .LBB29_39
; %bb.38:                               ;   in Loop: Header=BB29_11 Depth=1
	ds_store_b32 v8, v1
.LBB29_39:                              ;   in Loop: Header=BB29_11 Depth=1
	s_or_b32 exec_lo, exec_lo, s7
.LBB29_40:                              ;   in Loop: Header=BB29_11 Depth=1
	v_mov_b32_e32 v3, 0
	s_mov_b32 s9, exec_lo
	s_waitcnt lgkmcnt(0)
	s_barrier
	buffer_gl0_inv
	v_cmpx_gt_i32_e64 s8, v0
	s_cbranch_execz .LBB29_44
; %bb.41:                               ;   in Loop: Header=BB29_11 Depth=1
	s_lshl_b64 s[44:45], s[42:43], 2
	v_dual_mov_b32 v3, 0 :: v_dual_mov_b32 v4, v0
	v_add_co_u32 v1, vcc_lo, v16, s44
	v_add_co_ci_u32_e32 v2, vcc_lo, s45, v17, vcc_lo
	s_mov_b32 s16, 0
	.p2align	6
.LBB29_42:                              ;   Parent Loop BB29_11 Depth=1
                                        ; =>  This Inner Loop Header: Depth=2
	global_load_b32 v5, v[1:2], off
	v_add_nc_u32_e32 v4, 0x100, v4
	v_add_co_u32 v1, vcc_lo, 0x400, v1
	v_add_co_ci_u32_e32 v2, vcc_lo, 0, v2, vcc_lo
	s_delay_alu instid0(VALU_DEP_3) | instskip(NEXT) | instid1(VALU_DEP_1)
	v_cmp_le_i32_e64 s7, s8, v4
	s_or_b32 s16, s7, s16
	s_waitcnt vmcnt(0)
	v_cmp_lt_f32_e64 s27, v3, |v5|
	s_delay_alu instid0(VALU_DEP_1)
	v_cndmask_b32_e64 v3, v3, |v5|, s27
	s_and_not1_b32 exec_lo, exec_lo, s16
	s_cbranch_execnz .LBB29_42
; %bb.43:                               ;   in Loop: Header=BB29_11 Depth=1
	s_or_b32 exec_lo, exec_lo, s16
.LBB29_44:                              ;   in Loop: Header=BB29_11 Depth=1
	s_delay_alu instid0(SALU_CYCLE_1)
	s_or_b32 exec_lo, exec_lo, s9
	s_cmp_lt_i32 s8, 2
	ds_store_b32 v8, v3 offset:4
	s_waitcnt lgkmcnt(0)
	s_barrier
	buffer_gl0_inv
	s_cbranch_scc1 .LBB29_67
; %bb.45:                               ;   in Loop: Header=BB29_11 Depth=1
	s_and_saveexec_b32 s7, s2
	s_cbranch_execz .LBB29_49
; %bb.46:                               ;   in Loop: Header=BB29_11 Depth=1
	ds_load_b32 v1, v8 offset:516
	s_mov_b32 s9, exec_lo
	s_waitcnt lgkmcnt(0)
	v_cmpx_lt_f32_e32 v3, v1
	s_cbranch_execz .LBB29_48
; %bb.47:                               ;   in Loop: Header=BB29_11 Depth=1
	v_mov_b32_e32 v3, v1
	ds_store_b32 v8, v1 offset:4
.LBB29_48:                              ;   in Loop: Header=BB29_11 Depth=1
	s_or_b32 exec_lo, exec_lo, s9
.LBB29_49:                              ;   in Loop: Header=BB29_11 Depth=1
	s_delay_alu instid0(SALU_CYCLE_1)
	s_or_b32 exec_lo, exec_lo, s7
	s_waitcnt lgkmcnt(0)
	s_barrier
	buffer_gl0_inv
	s_and_saveexec_b32 s7, s3
	s_cbranch_execz .LBB29_53
; %bb.50:                               ;   in Loop: Header=BB29_11 Depth=1
	ds_load_b32 v1, v8 offset:260
	s_mov_b32 s9, exec_lo
	s_waitcnt lgkmcnt(0)
	v_cmpx_lt_f32_e32 v3, v1
	s_cbranch_execz .LBB29_52
; %bb.51:                               ;   in Loop: Header=BB29_11 Depth=1
	v_mov_b32_e32 v3, v1
	ds_store_b32 v8, v1 offset:4
.LBB29_52:                              ;   in Loop: Header=BB29_11 Depth=1
	s_or_b32 exec_lo, exec_lo, s9
.LBB29_53:                              ;   in Loop: Header=BB29_11 Depth=1
	s_delay_alu instid0(SALU_CYCLE_1)
	s_or_b32 exec_lo, exec_lo, s7
	s_waitcnt lgkmcnt(0)
	s_barrier
	buffer_gl0_inv
	s_and_saveexec_b32 s7, s4
	s_cbranch_execz .LBB29_66
; %bb.54:                               ;   in Loop: Header=BB29_11 Depth=1
	ds_load_b32 v1, v8 offset:132
	s_mov_b32 s9, exec_lo
	s_waitcnt lgkmcnt(0)
	v_cmpx_lt_f32_e32 v3, v1
	s_cbranch_execz .LBB29_56
; %bb.55:                               ;   in Loop: Header=BB29_11 Depth=1
	v_mov_b32_e32 v3, v1
	ds_store_b32 v8, v1 offset:4
.LBB29_56:                              ;   in Loop: Header=BB29_11 Depth=1
	s_or_b32 exec_lo, exec_lo, s9
	ds_load_b32 v1, v8 offset:68
	s_mov_b32 s9, exec_lo
	s_waitcnt lgkmcnt(0)
	v_cmpx_lt_f32_e32 v3, v1
	s_cbranch_execz .LBB29_58
; %bb.57:                               ;   in Loop: Header=BB29_11 Depth=1
	v_mov_b32_e32 v3, v1
	ds_store_b32 v8, v1 offset:4
.LBB29_58:                              ;   in Loop: Header=BB29_11 Depth=1
	s_or_b32 exec_lo, exec_lo, s9
	ds_load_b32 v1, v8 offset:36
	s_mov_b32 s9, exec_lo
	s_waitcnt lgkmcnt(0)
	v_cmpx_lt_f32_e32 v3, v1
	s_cbranch_execz .LBB29_60
; %bb.59:                               ;   in Loop: Header=BB29_11 Depth=1
	v_mov_b32_e32 v3, v1
	ds_store_b32 v8, v1 offset:4
.LBB29_60:                              ;   in Loop: Header=BB29_11 Depth=1
	s_or_b32 exec_lo, exec_lo, s9
	ds_load_b32 v1, v8 offset:20
	s_mov_b32 s9, exec_lo
	s_waitcnt lgkmcnt(0)
	v_cmpx_lt_f32_e32 v3, v1
	s_cbranch_execz .LBB29_62
; %bb.61:                               ;   in Loop: Header=BB29_11 Depth=1
	v_mov_b32_e32 v3, v1
	ds_store_b32 v8, v1 offset:4
.LBB29_62:                              ;   in Loop: Header=BB29_11 Depth=1
	s_or_b32 exec_lo, exec_lo, s9
	ds_load_b32 v1, v8 offset:12
	s_mov_b32 s9, exec_lo
	s_waitcnt lgkmcnt(0)
	v_cmpx_lt_f32_e32 v3, v1
	s_cbranch_execz .LBB29_64
; %bb.63:                               ;   in Loop: Header=BB29_11 Depth=1
	v_mov_b32_e32 v3, v1
	ds_store_b32 v8, v1 offset:4
.LBB29_64:                              ;   in Loop: Header=BB29_11 Depth=1
	s_or_b32 exec_lo, exec_lo, s9
	ds_load_b32 v1, v8 offset:8
	s_waitcnt lgkmcnt(0)
	v_cmp_lt_f32_e32 vcc_lo, v3, v1
	s_and_b32 exec_lo, exec_lo, vcc_lo
	s_cbranch_execz .LBB29_66
; %bb.65:                               ;   in Loop: Header=BB29_11 Depth=1
	ds_store_b32 v8, v1 offset:4
.LBB29_66:                              ;   in Loop: Header=BB29_11 Depth=1
	s_or_b32 exec_lo, exec_lo, s7
.LBB29_67:                              ;   in Loop: Header=BB29_11 Depth=1
	s_lshl_b64 s[44:45], s[42:43], 2
	s_waitcnt lgkmcnt(0)
	s_add_u32 s16, s33, s44
	s_addc_u32 s92, s72, s45
	s_add_u32 s58, s20, s44
	s_addc_u32 s59, s30, s45
	s_barrier
	buffer_gl0_inv
	s_and_saveexec_b32 s50, s5
	s_cbranch_execz .LBB29_82
; %bb.68:                               ;   in Loop: Header=BB29_11 Depth=1
	s_ashr_i32 s27, s26, 31
	s_delay_alu instid0(SALU_CYCLE_1) | instskip(NEXT) | instid1(SALU_CYCLE_1)
	s_lshl_b64 s[46:47], s[26:27], 2
	s_add_u32 s46, s20, s46
	s_addc_u32 s47, s30, s47
	s_clause 0x1
	global_load_b32 v2, v11, s[58:59]
	global_load_b32 v3, v11, s[46:47]
	s_ashr_i32 s9, s8, 31
	s_delay_alu instid0(SALU_CYCLE_1) | instskip(NEXT) | instid1(SALU_CYCLE_1)
	s_lshl_b64 s[46:47], s[8:9], 2
	s_add_u32 s9, s58, s46
	s_addc_u32 s27, s59, s47
	s_waitcnt vmcnt(0)
	v_cmp_ge_f32_e64 s7, |v2|, |v3|
	s_delay_alu instid0(VALU_DEP_1)
	s_and_b32 s46, s7, exec_lo
	s_cselect_b32 s47, s59, s27
	s_cselect_b32 s46, s58, s9
	v_cndmask_b32_e64 v4, 0, 1, s7
	global_load_b32 v1, v11, s[46:47]
	s_cmp_lt_i32 s8, 1
	ds_store_b32 v11, v4 offset:1028
	s_waitcnt vmcnt(0)
	v_and_b32_e32 v1, 0x7fffffff, v1
	s_cbranch_scc1 .LBB29_75
; %bb.69:                               ;   in Loop: Header=BB29_11 Depth=1
	s_delay_alu instid0(VALU_DEP_1)
	v_mov_b32_e32 v4, v1
	s_not_b32 s9, s42
	s_mov_b32 s27, 0
	s_add_i32 s9, s9, s26
	s_branch .LBB29_71
.LBB29_70:                              ;   in Loop: Header=BB29_71 Depth=2
	s_add_i32 s27, s27, 1
	s_and_b32 s51, s7, exec_lo
	s_cselect_b32 s52, s27, s9
	v_add_f32_e64 v5, v4, |v5|
	s_ashr_i32 s53, s52, 31
	s_mov_b32 s51, 0
	s_lshl_b64 s[52:53], s[52:53], 2
	s_delay_alu instid0(VALU_DEP_1)
	v_div_scale_f32 v19, null, v5, v5, v4
	s_add_u32 s52, s58, s52
	s_addc_u32 s53, s59, s53
	v_div_scale_f32 v22, vcc_lo, v4, v5, v4
	global_load_b32 v6, v11, s[52:53]
	v_rcp_f32_e32 v20, v19
	s_add_i32 s9, s9, -1
	s_delay_alu instid0(SALU_CYCLE_1) | instskip(SKIP_3) | instid1(VALU_DEP_1)
	s_cmp_eq_u32 s9, -1
	s_cselect_b32 s52, -1, 0
	s_waitcnt_depctr 0xfff
	v_fma_f32 v21, -v19, v20, 1.0
	v_fmac_f32_e32 v20, v21, v20
	s_delay_alu instid0(VALU_DEP_1) | instskip(NEXT) | instid1(VALU_DEP_1)
	v_mul_f32_e32 v21, v22, v20
	v_fma_f32 v23, -v19, v21, v22
	s_delay_alu instid0(VALU_DEP_1) | instskip(NEXT) | instid1(VALU_DEP_1)
	v_fmac_f32_e32 v21, v23, v20
	v_fma_f32 v19, -v19, v21, v22
	s_delay_alu instid0(VALU_DEP_1) | instskip(NEXT) | instid1(VALU_DEP_1)
	v_div_fmas_f32 v19, v19, v20, v21
	v_div_fixup_f32 v4, v19, v5, v4
	s_waitcnt vmcnt(0)
	s_delay_alu instid0(VALU_DEP_1) | instskip(NEXT) | instid1(VALU_DEP_1)
	v_mul_f32_e64 v4, v4, |v6|
	v_cmp_lt_f32_e32 vcc_lo, v4, v1
	v_cndmask_b32_e32 v1, v1, v4, vcc_lo
	s_and_not1_b32 vcc_lo, exec_lo, s52
	s_cbranch_vccz .LBB29_73
.LBB29_71:                              ;   Parent Loop BB29_11 Depth=1
                                        ; =>  This Inner Loop Header: Depth=2
	s_and_b32 s46, s7, exec_lo
	s_cselect_b32 s46, s27, s9
	v_mul_f32_e32 v6, s38, v4
	s_ashr_i32 s47, s46, 31
	s_delay_alu instid0(SALU_CYCLE_1) | instskip(NEXT) | instid1(SALU_CYCLE_1)
	s_lshl_b64 s[46:47], s[46:47], 2
	s_add_u32 s46, s16, s46
	s_addc_u32 s47, s92, s47
	global_load_b32 v5, v11, s[46:47]
	s_waitcnt vmcnt(0)
	v_cmp_nle_f32_e64 s51, |v5|, v6
	s_delay_alu instid0(VALU_DEP_1)
	s_and_b32 vcc_lo, exec_lo, s51
	s_cbranch_vccnz .LBB29_70
; %bb.72:                               ;   in Loop: Header=BB29_11 Depth=1
	s_mov_b32 s51, -1
                                        ; implicit-def: $vgpr4
                                        ; implicit-def: $sgpr9
                                        ; implicit-def: $sgpr27
                                        ; implicit-def: $vgpr1
.LBB29_73:                              ;   in Loop: Header=BB29_11 Depth=1
	s_delay_alu instid0(SALU_CYCLE_1)
	s_and_b32 vcc_lo, exec_lo, s51
	s_cbranch_vccz .LBB29_75
; %bb.74:                               ;   in Loop: Header=BB29_11 Depth=1
	v_mov_b32_e32 v1, -1.0
	global_store_b32 v11, v11, s[46:47]
.LBB29_75:                              ;   in Loop: Header=BB29_11 Depth=1
	s_delay_alu instid0(VALU_DEP_1)
	v_cmp_nle_f32_e32 vcc_lo, 0, v1
	v_and_b32_e32 v2, 0x7fffffff, v2
	v_and_b32_e32 v3, 0x7fffffff, v3
	ds_store_b32 v11, v1 offset:1032
	ds_store_b8 v11, v11 offset:1036
	s_cbranch_vccnz .LBB29_82
; %bb.76:                               ;   in Loop: Header=BB29_11 Depth=1
	ds_load_b64 v[4:5], v11
	s_mov_b32 s9, -1
	s_waitcnt lgkmcnt(0)
	v_cmp_lt_f32_e32 vcc_lo, v4, v5
	v_cndmask_b32_e32 v4, v4, v5, vcc_lo
	s_delay_alu instid0(VALU_DEP_1) | instskip(NEXT) | instid1(VALU_DEP_1)
	v_div_scale_f32 v5, null, v4, v4, v1
	v_rcp_f32_e32 v6, v5
	s_waitcnt_depctr 0xfff
	v_fma_f32 v19, -v5, v6, 1.0
	s_delay_alu instid0(VALU_DEP_1) | instskip(SKIP_1) | instid1(VALU_DEP_1)
	v_fmac_f32_e32 v6, v19, v6
	v_div_scale_f32 v19, vcc_lo, v1, v4, v1
	v_mul_f32_e32 v20, v19, v6
	s_delay_alu instid0(VALU_DEP_1) | instskip(NEXT) | instid1(VALU_DEP_1)
	v_fma_f32 v21, -v5, v20, v19
	v_fmac_f32_e32 v20, v21, v6
	s_delay_alu instid0(VALU_DEP_1) | instskip(NEXT) | instid1(VALU_DEP_1)
	v_fma_f32 v5, -v5, v20, v19
	v_div_fmas_f32 v5, v5, v6, v20
	s_delay_alu instid0(VALU_DEP_1) | instskip(NEXT) | instid1(VALU_DEP_1)
	v_div_fixup_f32 v4, v5, v4, v1
	v_cmp_ge_f32_e32 vcc_lo, s39, v4
	s_cbranch_vccnz .LBB29_79
; %bb.77:                               ;   in Loop: Header=BB29_11 Depth=1
	v_cndmask_b32_e64 v2, v3, v2, s7
	s_mov_b32 s9, 0
	s_delay_alu instid0(VALU_DEP_1)
	v_cmp_lt_f32_e32 vcc_lo, 0, v2
	s_cbranch_vccz .LBB29_79
; %bb.78:                               ;   in Loop: Header=BB29_11 Depth=1
	v_mul_f32_e32 v1, v1, v1
	s_delay_alu instid0(VALU_DEP_1) | instskip(SKIP_1) | instid1(VALU_DEP_2)
	v_div_scale_f32 v3, null, v2, v2, v1
	v_div_scale_f32 v6, vcc_lo, v1, v2, v1
	v_rcp_f32_e32 v4, v3
	s_waitcnt_depctr 0xfff
	v_fma_f32 v5, -v3, v4, 1.0
	s_delay_alu instid0(VALU_DEP_1) | instskip(NEXT) | instid1(VALU_DEP_1)
	v_fmac_f32_e32 v4, v5, v4
	v_mul_f32_e32 v5, v6, v4
	s_delay_alu instid0(VALU_DEP_1) | instskip(NEXT) | instid1(VALU_DEP_1)
	v_fma_f32 v19, -v3, v5, v6
	v_fmac_f32_e32 v5, v19, v4
	s_delay_alu instid0(VALU_DEP_1) | instskip(NEXT) | instid1(VALU_DEP_1)
	v_fma_f32 v3, -v3, v5, v6
	v_div_fmas_f32 v3, v3, v4, v5
	s_delay_alu instid0(VALU_DEP_1) | instskip(NEXT) | instid1(VALU_DEP_1)
	v_div_fixup_f32 v1, v3, v2, v1
	v_div_scale_f32 v3, null, v2, v2, v1
	s_delay_alu instid0(VALU_DEP_1) | instskip(SKIP_2) | instid1(VALU_DEP_1)
	v_rcp_f32_e32 v4, v3
	s_waitcnt_depctr 0xfff
	v_fma_f32 v5, -v3, v4, 1.0
	v_fmac_f32_e32 v4, v5, v4
	v_div_scale_f32 v5, vcc_lo, v1, v2, v1
	s_delay_alu instid0(VALU_DEP_1) | instskip(NEXT) | instid1(VALU_DEP_1)
	v_mul_f32_e32 v6, v5, v4
	v_fma_f32 v19, -v3, v6, v5
	s_delay_alu instid0(VALU_DEP_1) | instskip(NEXT) | instid1(VALU_DEP_1)
	v_fmac_f32_e32 v6, v19, v4
	v_fma_f32 v3, -v3, v6, v5
	s_delay_alu instid0(VALU_DEP_1) | instskip(NEXT) | instid1(VALU_DEP_1)
	v_div_fmas_f32 v3, v3, v4, v6
	v_div_fixup_f32 v1, v3, v2, v1
	s_delay_alu instid0(VALU_DEP_1)
	v_cmp_gt_f32_e64 s9, s25, v1
.LBB29_79:                              ;   in Loop: Header=BB29_11 Depth=1
	s_delay_alu instid0(VALU_DEP_1)
	s_and_b32 vcc_lo, exec_lo, s9
	s_cbranch_vccz .LBB29_81
; %bb.80:                               ;   in Loop: Header=BB29_11 Depth=1
	ds_store_b32 v11, v11 offset:1032
.LBB29_81:                              ;   in Loop: Header=BB29_11 Depth=1
	ds_store_b8 v11, v18 offset:1036
.LBB29_82:                              ;   in Loop: Header=BB29_11 Depth=1
	s_or_b32 exec_lo, exec_lo, s50
	s_waitcnt lgkmcnt(0)
	s_waitcnt_vscnt null, 0x0
	s_barrier
	buffer_gl0_inv
	ds_load_u8 v1, v11 offset:1036
	s_mov_b32 s7, -1
	s_waitcnt lgkmcnt(0)
	v_cmp_eq_u32_e32 vcc_lo, 0, v1
	s_cbranch_vccz .LBB29_86
; %bb.83:                               ;   in Loop: Header=BB29_11 Depth=1
	s_and_saveexec_b32 s7, s5
	s_cbranch_execz .LBB29_85
; %bb.84:                               ;   in Loop: Header=BB29_11 Depth=1
	global_store_b32 v11, v11, s[48:49]
.LBB29_85:                              ;   in Loop: Header=BB29_11 Depth=1
	s_or_b32 exec_lo, exec_lo, s7
	s_mov_b32 s7, 0
.LBB29_86:                              ;   in Loop: Header=BB29_11 Depth=1
	s_delay_alu instid0(SALU_CYCLE_1)
	s_and_not1_b32 vcc_lo, exec_lo, s7
	s_cbranch_vccnz .LBB29_10
; %bb.87:                               ;   in Loop: Header=BB29_11 Depth=1
	ds_load_b32 v1, v11 offset:1028
	s_waitcnt lgkmcnt(0)
	v_readfirstlane_b32 s46, v1
	s_and_saveexec_b32 s7, s5
	s_cbranch_execz .LBB29_89
; %bb.88:                               ;   in Loop: Header=BB29_11 Depth=1
	s_delay_alu instid0(VALU_DEP_1) | instskip(SKIP_1) | instid1(SALU_CYCLE_1)
	s_cmp_eq_u32 s46, 0
	s_cselect_b32 s9, -1, 1
	v_mov_b32_e32 v1, s9
	global_store_b32 v11, v1, s[48:49]
.LBB29_89:                              ;   in Loop: Header=BB29_11 Depth=1
	s_or_b32 exec_lo, exec_lo, s7
	s_add_i32 s54, s8, 1
	s_mul_i32 s48, s42, s74
	s_sub_i32 s52, 1, s46
	s_ashr_i32 s49, s48, 31
	s_sub_i32 s50, s46, s52
	s_lshl_b32 s7, s54, 1
	s_and_b32 s9, s73, exec_lo
	s_cselect_b32 s9, s7, 0
	s_and_saveexec_b32 s27, s5
	s_cbranch_execz .LBB29_157
; %bb.90:                               ;   in Loop: Header=BB29_11 Depth=1
	s_cmp_lg_u32 s46, 0
	v_mov_b32_e32 v4, 0
	s_cselect_b32 s93, -1, 0
	s_delay_alu instid0(SALU_CYCLE_1) | instskip(SKIP_1) | instid1(SALU_CYCLE_1)
	s_and_b32 s7, s93, exec_lo
	s_cselect_b32 s56, 0, s8
	s_ashr_i32 s57, s56, 31
	s_delay_alu instid0(SALU_CYCLE_1) | instskip(NEXT) | instid1(SALU_CYCLE_1)
	s_lshl_b64 s[60:61], s[56:57], 2
	s_add_u32 s58, s58, s60
	s_addc_u32 s59, s59, s61
	global_load_b32 v3, v11, s[58:59]
	s_waitcnt vmcnt(0)
	v_cmp_eq_f32_e32 vcc_lo, 0, v3
	s_cbranch_vccnz .LBB29_92
; %bb.91:                               ;   in Loop: Header=BB29_11 Depth=1
	ds_load_b32 v1, v11 offset:1032
	v_cmp_lt_f32_e64 s7, 0, v3
	s_waitcnt lgkmcnt(0)
	v_div_scale_f32 v2, null, v3, v3, v1
	v_div_scale_f32 v6, vcc_lo, v1, v3, v1
	s_delay_alu instid0(VALU_DEP_2) | instskip(SKIP_2) | instid1(VALU_DEP_1)
	v_rcp_f32_e32 v4, v2
	s_waitcnt_depctr 0xfff
	v_fma_f32 v5, -v2, v4, 1.0
	v_fmac_f32_e32 v4, v5, v4
	s_delay_alu instid0(VALU_DEP_1) | instskip(NEXT) | instid1(VALU_DEP_1)
	v_mul_f32_e32 v5, v6, v4
	v_fma_f32 v19, -v2, v5, v6
	s_delay_alu instid0(VALU_DEP_1) | instskip(SKIP_2) | instid1(VALU_DEP_3)
	v_fmac_f32_e32 v5, v19, v4
	v_cndmask_b32_e64 v19, 0, 1, s7
	v_cmp_gt_f32_e64 s7, 0, v3
	v_fma_f32 v2, -v2, v5, v6
	s_delay_alu instid0(VALU_DEP_2) | instskip(NEXT) | instid1(VALU_DEP_2)
	v_subrev_co_ci_u32_e64 v6, s7, 0, v19, s7
	v_div_fmas_f32 v2, v2, v4, v5
	s_delay_alu instid0(VALU_DEP_2) | instskip(NEXT) | instid1(VALU_DEP_2)
	v_cvt_f32_i32_e32 v4, v6
	v_div_fixup_f32 v2, v2, v3, v1
	v_sub_f32_e64 v1, |v3|, v1
	s_delay_alu instid0(VALU_DEP_2) | instskip(NEXT) | instid1(VALU_DEP_1)
	v_add_f32_e32 v2, v2, v4
	v_mul_f32_e32 v4, v1, v2
.LBB29_92:                              ;   in Loop: Header=BB29_11 Depth=1
	s_cmp_gt_i32 s8, 0
	s_cbranch_scc1 .LBB29_94
; %bb.93:                               ;   in Loop: Header=BB29_11 Depth=1
	s_add_i32 s51, s8, -1
	s_cbranch_execz .LBB29_95
	s_branch .LBB29_156
.LBB29_94:                              ;   in Loop: Header=BB29_11 Depth=1
                                        ; implicit-def: $sgpr51
.LBB29_95:                              ;   in Loop: Header=BB29_11 Depth=1
	s_ashr_i32 s47, s46, 31
	s_sub_u32 s51, 0, s46
	s_subb_u32 s55, 0, s47
	s_add_u32 s60, s56, s46
	s_addc_u32 s61, s57, s47
	v_mov_b32_e32 v19, 0
	s_lshl_b64 s[62:63], s[60:61], 2
	s_delay_alu instid0(SALU_CYCLE_1)
	s_add_u32 s64, s16, s62
	s_addc_u32 s65, s92, s63
	global_load_b32 v5, v11, s[64:65] offset:-4
	s_waitcnt vmcnt(0)
	v_cmp_eq_f32_e32 vcc_lo, 0, v5
	s_cbranch_vccnz .LBB29_99
; %bb.96:                               ;   in Loop: Header=BB29_11 Depth=1
	v_cmp_eq_f32_e32 vcc_lo, 0, v4
	v_mov_b32_e32 v6, 0
	s_cbranch_vccnz .LBB29_100
; %bb.97:                               ;   in Loop: Header=BB29_11 Depth=1
	v_cmp_gt_f32_e64 s7, |v5|, |v4|
	s_delay_alu instid0(VALU_DEP_1)
	s_and_b32 vcc_lo, exec_lo, s7
	s_cbranch_vccnz .LBB29_101
; %bb.98:                               ;   in Loop: Header=BB29_11 Depth=1
	v_div_scale_f32 v1, null, v4, v4, -v5
	v_div_scale_f32 v19, vcc_lo, -v5, v4, -v5
	s_delay_alu instid0(VALU_DEP_2) | instskip(SKIP_2) | instid1(VALU_DEP_1)
	v_rcp_f32_e32 v2, v1
	s_waitcnt_depctr 0xfff
	v_fma_f32 v6, -v1, v2, 1.0
	v_fmac_f32_e32 v2, v6, v2
	s_delay_alu instid0(VALU_DEP_1) | instskip(NEXT) | instid1(VALU_DEP_1)
	v_mul_f32_e32 v6, v19, v2
	v_fma_f32 v20, -v1, v6, v19
	s_delay_alu instid0(VALU_DEP_1) | instskip(NEXT) | instid1(VALU_DEP_1)
	v_fmac_f32_e32 v6, v20, v2
	v_fma_f32 v1, -v1, v6, v19
	s_delay_alu instid0(VALU_DEP_1) | instskip(NEXT) | instid1(VALU_DEP_1)
	v_div_fmas_f32 v1, v1, v2, v6
	v_div_fixup_f32 v1, v1, v4, -v5
	s_delay_alu instid0(VALU_DEP_1) | instskip(NEXT) | instid1(VALU_DEP_1)
	v_fma_f32 v2, v1, v1, 1.0
	v_mul_f32_e32 v6, 0x4f800000, v2
	v_cmp_gt_f32_e32 vcc_lo, 0xf800000, v2
	s_delay_alu instid0(VALU_DEP_2) | instskip(NEXT) | instid1(VALU_DEP_1)
	v_cndmask_b32_e32 v2, v2, v6, vcc_lo
	v_sqrt_f32_e32 v6, v2
	s_waitcnt_depctr 0xfff
	v_add_nc_u32_e32 v19, -1, v6
	v_add_nc_u32_e32 v20, 1, v6
	s_delay_alu instid0(VALU_DEP_2) | instskip(NEXT) | instid1(VALU_DEP_2)
	v_fma_f32 v21, -v19, v6, v2
	v_fma_f32 v22, -v20, v6, v2
	s_delay_alu instid0(VALU_DEP_2) | instskip(NEXT) | instid1(VALU_DEP_1)
	v_cmp_ge_f32_e64 s7, 0, v21
	v_cndmask_b32_e64 v6, v6, v19, s7
	s_delay_alu instid0(VALU_DEP_3) | instskip(NEXT) | instid1(VALU_DEP_1)
	v_cmp_lt_f32_e64 s7, 0, v22
	v_cndmask_b32_e64 v6, v6, v20, s7
	s_mov_b32 s7, 0
	s_delay_alu instid0(VALU_DEP_1) | instskip(NEXT) | instid1(VALU_DEP_1)
	v_mul_f32_e32 v19, 0x37800000, v6
	v_cndmask_b32_e32 v6, v6, v19, vcc_lo
	v_cmp_class_f32_e64 vcc_lo, v2, 0x260
	s_delay_alu instid0(VALU_DEP_2) | instskip(NEXT) | instid1(VALU_DEP_1)
	v_cndmask_b32_e32 v2, v6, v2, vcc_lo
	v_div_scale_f32 v6, null, v2, v2, 1.0
	s_delay_alu instid0(VALU_DEP_1) | instskip(SKIP_2) | instid1(VALU_DEP_1)
	v_rcp_f32_e32 v19, v6
	s_waitcnt_depctr 0xfff
	v_fma_f32 v20, -v6, v19, 1.0
	v_fmac_f32_e32 v19, v20, v19
	v_div_scale_f32 v20, vcc_lo, 1.0, v2, 1.0
	s_delay_alu instid0(VALU_DEP_1) | instskip(NEXT) | instid1(VALU_DEP_1)
	v_mul_f32_e32 v21, v20, v19
	v_fma_f32 v22, -v6, v21, v20
	s_delay_alu instid0(VALU_DEP_1) | instskip(NEXT) | instid1(VALU_DEP_1)
	v_fmac_f32_e32 v21, v22, v19
	v_fma_f32 v6, -v6, v21, v20
	s_delay_alu instid0(VALU_DEP_1) | instskip(NEXT) | instid1(VALU_DEP_1)
	v_div_fmas_f32 v6, v6, v19, v21
	v_div_fixup_f32 v6, v6, v2, 1.0
	s_delay_alu instid0(VALU_DEP_1)
	v_mul_f32_e32 v19, v1, v6
	s_branch .LBB29_102
.LBB29_99:                              ;   in Loop: Header=BB29_11 Depth=1
	v_mov_b32_e32 v6, 1.0
	s_branch .LBB29_104
.LBB29_100:                             ;   in Loop: Header=BB29_11 Depth=1
	v_mov_b32_e32 v19, 1.0
	s_branch .LBB29_104
.LBB29_101:                             ;   in Loop: Header=BB29_11 Depth=1
	s_mov_b32 s7, -1
                                        ; implicit-def: $vgpr19
                                        ; implicit-def: $vgpr6
.LBB29_102:                             ;   in Loop: Header=BB29_11 Depth=1
	s_delay_alu instid0(SALU_CYCLE_1)
	s_and_not1_b32 vcc_lo, exec_lo, s7
	s_cbranch_vccnz .LBB29_104
; %bb.103:                              ;   in Loop: Header=BB29_11 Depth=1
	v_div_scale_f32 v1, null, v5, v5, -v4
	v_div_scale_f32 v19, vcc_lo, -v4, v5, -v4
	s_delay_alu instid0(VALU_DEP_2) | instskip(SKIP_2) | instid1(VALU_DEP_1)
	v_rcp_f32_e32 v2, v1
	s_waitcnt_depctr 0xfff
	v_fma_f32 v6, -v1, v2, 1.0
	v_fmac_f32_e32 v2, v6, v2
	s_delay_alu instid0(VALU_DEP_1) | instskip(NEXT) | instid1(VALU_DEP_1)
	v_mul_f32_e32 v6, v19, v2
	v_fma_f32 v20, -v1, v6, v19
	s_delay_alu instid0(VALU_DEP_1) | instskip(NEXT) | instid1(VALU_DEP_1)
	v_fmac_f32_e32 v6, v20, v2
	v_fma_f32 v1, -v1, v6, v19
	s_delay_alu instid0(VALU_DEP_1) | instskip(NEXT) | instid1(VALU_DEP_1)
	v_div_fmas_f32 v1, v1, v2, v6
	v_div_fixup_f32 v1, v1, v5, -v4
	s_delay_alu instid0(VALU_DEP_1) | instskip(NEXT) | instid1(VALU_DEP_1)
	v_fma_f32 v2, v1, v1, 1.0
	v_mul_f32_e32 v4, 0x4f800000, v2
	v_cmp_gt_f32_e32 vcc_lo, 0xf800000, v2
	s_delay_alu instid0(VALU_DEP_2) | instskip(NEXT) | instid1(VALU_DEP_1)
	v_cndmask_b32_e32 v2, v2, v4, vcc_lo
	v_sqrt_f32_e32 v4, v2
	s_waitcnt_depctr 0xfff
	v_add_nc_u32_e32 v19, 1, v4
	v_add_nc_u32_e32 v6, -1, v4
	s_delay_alu instid0(VALU_DEP_2) | instskip(NEXT) | instid1(VALU_DEP_2)
	v_fma_f32 v21, -v19, v4, v2
	v_fma_f32 v20, -v6, v4, v2
	s_delay_alu instid0(VALU_DEP_1) | instskip(NEXT) | instid1(VALU_DEP_1)
	v_cmp_ge_f32_e64 s7, 0, v20
	v_cndmask_b32_e64 v4, v4, v6, s7
	s_delay_alu instid0(VALU_DEP_4) | instskip(NEXT) | instid1(VALU_DEP_1)
	v_cmp_lt_f32_e64 s7, 0, v21
	v_cndmask_b32_e64 v4, v4, v19, s7
	s_delay_alu instid0(VALU_DEP_1) | instskip(NEXT) | instid1(VALU_DEP_1)
	v_mul_f32_e32 v6, 0x37800000, v4
	v_cndmask_b32_e32 v4, v4, v6, vcc_lo
	v_cmp_class_f32_e64 vcc_lo, v2, 0x260
	s_delay_alu instid0(VALU_DEP_2) | instskip(NEXT) | instid1(VALU_DEP_1)
	v_cndmask_b32_e32 v2, v4, v2, vcc_lo
	v_div_scale_f32 v4, null, v2, v2, 1.0
	s_delay_alu instid0(VALU_DEP_1) | instskip(SKIP_2) | instid1(VALU_DEP_1)
	v_rcp_f32_e32 v6, v4
	s_waitcnt_depctr 0xfff
	v_fma_f32 v19, -v4, v6, 1.0
	v_fmac_f32_e32 v6, v19, v6
	v_div_scale_f32 v19, vcc_lo, 1.0, v2, 1.0
	s_delay_alu instid0(VALU_DEP_1) | instskip(NEXT) | instid1(VALU_DEP_1)
	v_mul_f32_e32 v20, v19, v6
	v_fma_f32 v21, -v4, v20, v19
	s_delay_alu instid0(VALU_DEP_1) | instskip(NEXT) | instid1(VALU_DEP_1)
	v_fmac_f32_e32 v20, v21, v6
	v_fma_f32 v4, -v4, v20, v19
	s_delay_alu instid0(VALU_DEP_1) | instskip(NEXT) | instid1(VALU_DEP_1)
	v_div_fmas_f32 v4, v4, v6, v20
	v_div_fixup_f32 v19, v4, v2, 1.0
	s_delay_alu instid0(VALU_DEP_1)
	v_mul_f32_e32 v6, v1, v19
.LBB29_104:                             ;   in Loop: Header=BB29_11 Depth=1
	s_lshl_b64 s[66:67], s[48:49], 2
	s_and_b32 s7, s73, s93
	s_add_u32 s53, s36, s66
	s_addc_u32 s57, s37, s67
	v_mul_f32_e32 v1, v3, v19
	s_add_u32 s53, s53, 16
	s_addc_u32 s57, s57, 0
	s_sub_u32 s68, s46, s51
	s_subb_u32 s69, s47, s55
	v_fmac_f32_e32 v1, v5, v6
	s_lshl_b64 s[70:71], s[68:69], 2
	s_delay_alu instid0(SALU_CYCLE_1)
	s_add_u32 s70, s58, s70
	s_addc_u32 s71, s59, s71
	global_store_b32 v11, v1, s[64:65] offset:-4
	global_load_b32 v2, v11, s[70:71] offset:-4
	v_cndmask_b32_e64 v1, 0, 1, s7
	s_and_not1_b32 vcc_lo, exec_lo, s7
	s_waitcnt vmcnt(0)
	v_mul_f32_e32 v4, v6, v2
	global_store_b32 v11, v4, s[70:71] offset:-4
	s_cbranch_vccnz .LBB29_106
; %bb.105:                              ;   in Loop: Header=BB29_11 Depth=1
	s_add_u32 s94, s53, s62
	s_addc_u32 s95, s57, s63
	s_ashr_i32 s55, s54, 31
	s_delay_alu instid0(SALU_CYCLE_1) | instskip(NEXT) | instid1(SALU_CYCLE_1)
	s_lshl_b64 s[96:97], s[54:55], 2
	s_add_u32 s96, s94, s96
	s_addc_u32 s97, s95, s97
	s_clause 0x1
	global_store_b32 v11, v6, s[94:95] offset:-4
	global_store_b32 v11, v19, s[96:97] offset:-4
.LBB29_106:                             ;   in Loop: Header=BB29_11 Depth=1
	s_cmp_lg_u32 s46, 1
	s_cselect_b32 s95, -1, 0
	s_cmp_eq_u32 s46, 1
	s_cselect_b32 s7, -1, 0
	s_delay_alu instid0(SALU_CYCLE_1) | instskip(NEXT) | instid1(SALU_CYCLE_1)
	s_or_b32 s94, s76, s7
	s_and_b32 vcc_lo, exec_lo, s94
	s_cbranch_vccnz .LBB29_108
; %bb.107:                              ;   in Loop: Header=BB29_11 Depth=1
	s_ashr_i32 s7, s9, 31
	s_add_u32 s96, s60, s9
	s_addc_u32 s97, s61, s7
	s_delay_alu instid0(SALU_CYCLE_1) | instskip(NEXT) | instid1(SALU_CYCLE_1)
	s_lshl_b64 s[96:97], s[96:97], 2
	s_add_u32 s96, s53, s96
	s_addc_u32 s97, s57, s97
	s_ashr_i32 s55, s54, 31
	s_delay_alu instid0(SALU_CYCLE_1) | instskip(NEXT) | instid1(SALU_CYCLE_1)
	s_lshl_b64 s[98:99], s[54:55], 2
	s_add_u32 s98, s96, s98
	s_addc_u32 s99, s97, s99
	s_clause 0x1
	global_store_b32 v11, v6, s[96:97] offset:-4
	global_store_b32 v11, v19, s[98:99] offset:-4
.LBB29_108:                             ;   in Loop: Header=BB29_11 Depth=1
	v_mul_f32_e64 v2, v2, -v19
	v_mul_f32_e32 v4, v5, v19
	s_delay_alu instid0(VALU_DEP_2) | instskip(NEXT) | instid1(VALU_DEP_2)
	v_cmp_eq_f32_e32 vcc_lo, 0, v2
	v_fma_f32 v3, v3, v6, -v4
	v_mov_b32_e32 v4, 0
	s_cbranch_vccnz .LBB29_112
; %bb.109:                              ;   in Loop: Header=BB29_11 Depth=1
	s_delay_alu instid0(VALU_DEP_2)
	v_cmp_eq_f32_e32 vcc_lo, 0, v3
	s_cbranch_vccnz .LBB29_113
; %bb.110:                              ;   in Loop: Header=BB29_11 Depth=1
	v_cmp_gt_f32_e64 s7, |v2|, |v3|
	s_delay_alu instid0(VALU_DEP_1)
	s_and_b32 vcc_lo, exec_lo, s7
	s_cbranch_vccnz .LBB29_114
; %bb.111:                              ;   in Loop: Header=BB29_11 Depth=1
	v_div_scale_f32 v4, null, v3, v3, -v2
	v_div_scale_f32 v19, vcc_lo, -v2, v3, -v2
	s_delay_alu instid0(VALU_DEP_2) | instskip(SKIP_2) | instid1(VALU_DEP_1)
	v_rcp_f32_e32 v5, v4
	s_waitcnt_depctr 0xfff
	v_fma_f32 v6, -v4, v5, 1.0
	v_fmac_f32_e32 v5, v6, v5
	s_delay_alu instid0(VALU_DEP_1) | instskip(NEXT) | instid1(VALU_DEP_1)
	v_mul_f32_e32 v6, v19, v5
	v_fma_f32 v20, -v4, v6, v19
	s_delay_alu instid0(VALU_DEP_1) | instskip(NEXT) | instid1(VALU_DEP_1)
	v_fmac_f32_e32 v6, v20, v5
	v_fma_f32 v4, -v4, v6, v19
	s_delay_alu instid0(VALU_DEP_1) | instskip(NEXT) | instid1(VALU_DEP_1)
	v_div_fmas_f32 v4, v4, v5, v6
	v_div_fixup_f32 v4, v4, v3, -v2
	s_delay_alu instid0(VALU_DEP_1) | instskip(NEXT) | instid1(VALU_DEP_1)
	v_fma_f32 v5, v4, v4, 1.0
	v_mul_f32_e32 v6, 0x4f800000, v5
	v_cmp_gt_f32_e32 vcc_lo, 0xf800000, v5
	s_delay_alu instid0(VALU_DEP_2) | instskip(NEXT) | instid1(VALU_DEP_1)
	v_cndmask_b32_e32 v5, v5, v6, vcc_lo
	v_sqrt_f32_e32 v6, v5
	s_waitcnt_depctr 0xfff
	v_add_nc_u32_e32 v19, -1, v6
	v_add_nc_u32_e32 v20, 1, v6
	s_delay_alu instid0(VALU_DEP_2) | instskip(NEXT) | instid1(VALU_DEP_2)
	v_fma_f32 v21, -v19, v6, v5
	v_fma_f32 v22, -v20, v6, v5
	s_delay_alu instid0(VALU_DEP_2) | instskip(NEXT) | instid1(VALU_DEP_1)
	v_cmp_ge_f32_e64 s7, 0, v21
	v_cndmask_b32_e64 v6, v6, v19, s7
	s_delay_alu instid0(VALU_DEP_3) | instskip(NEXT) | instid1(VALU_DEP_1)
	v_cmp_lt_f32_e64 s7, 0, v22
	v_cndmask_b32_e64 v6, v6, v20, s7
	s_mov_b32 s7, 0
	s_delay_alu instid0(VALU_DEP_1) | instskip(NEXT) | instid1(VALU_DEP_1)
	v_mul_f32_e32 v19, 0x37800000, v6
	v_cndmask_b32_e32 v6, v6, v19, vcc_lo
	v_cmp_class_f32_e64 vcc_lo, v5, 0x260
	s_delay_alu instid0(VALU_DEP_2) | instskip(NEXT) | instid1(VALU_DEP_1)
	v_cndmask_b32_e32 v5, v6, v5, vcc_lo
	v_div_scale_f32 v6, null, v5, v5, 1.0
	s_delay_alu instid0(VALU_DEP_1) | instskip(SKIP_2) | instid1(VALU_DEP_1)
	v_rcp_f32_e32 v19, v6
	s_waitcnt_depctr 0xfff
	v_fma_f32 v20, -v6, v19, 1.0
	v_fmac_f32_e32 v19, v20, v19
	v_div_scale_f32 v20, vcc_lo, 1.0, v5, 1.0
	s_delay_alu instid0(VALU_DEP_1) | instskip(NEXT) | instid1(VALU_DEP_1)
	v_mul_f32_e32 v21, v20, v19
	v_fma_f32 v22, -v6, v21, v20
	s_delay_alu instid0(VALU_DEP_1) | instskip(NEXT) | instid1(VALU_DEP_1)
	v_fmac_f32_e32 v21, v22, v19
	v_fma_f32 v6, -v6, v21, v20
	s_delay_alu instid0(VALU_DEP_1) | instskip(NEXT) | instid1(VALU_DEP_1)
	v_div_fmas_f32 v6, v6, v19, v21
	v_div_fixup_f32 v5, v6, v5, 1.0
	s_delay_alu instid0(VALU_DEP_1)
	v_mul_f32_e32 v4, v4, v5
	s_branch .LBB29_115
.LBB29_112:                             ;   in Loop: Header=BB29_11 Depth=1
	v_mov_b32_e32 v5, 1.0
	s_branch .LBB29_119
.LBB29_113:                             ;   in Loop: Header=BB29_11 Depth=1
                                        ; implicit-def: $vgpr3
                                        ; implicit-def: $vgpr4
                                        ; implicit-def: $vgpr5
	s_cbranch_execnz .LBB29_118
	s_branch .LBB29_119
.LBB29_114:                             ;   in Loop: Header=BB29_11 Depth=1
	s_mov_b32 s7, -1
                                        ; implicit-def: $vgpr4
                                        ; implicit-def: $vgpr5
.LBB29_115:                             ;   in Loop: Header=BB29_11 Depth=1
	s_delay_alu instid0(SALU_CYCLE_1)
	s_and_not1_b32 vcc_lo, exec_lo, s7
	s_cbranch_vccnz .LBB29_117
; %bb.116:                              ;   in Loop: Header=BB29_11 Depth=1
	v_div_scale_f32 v4, null, v2, v2, -v3
	v_div_scale_f32 v19, vcc_lo, -v3, v2, -v3
	s_delay_alu instid0(VALU_DEP_2) | instskip(SKIP_2) | instid1(VALU_DEP_1)
	v_rcp_f32_e32 v5, v4
	s_waitcnt_depctr 0xfff
	v_fma_f32 v6, -v4, v5, 1.0
	v_fmac_f32_e32 v5, v6, v5
	s_delay_alu instid0(VALU_DEP_1) | instskip(NEXT) | instid1(VALU_DEP_1)
	v_mul_f32_e32 v6, v19, v5
	v_fma_f32 v20, -v4, v6, v19
	s_delay_alu instid0(VALU_DEP_1) | instskip(NEXT) | instid1(VALU_DEP_1)
	v_fmac_f32_e32 v6, v20, v5
	v_fma_f32 v4, -v4, v6, v19
	s_delay_alu instid0(VALU_DEP_1) | instskip(NEXT) | instid1(VALU_DEP_1)
	v_div_fmas_f32 v4, v4, v5, v6
	v_div_fixup_f32 v5, v4, v2, -v3
	s_delay_alu instid0(VALU_DEP_1) | instskip(NEXT) | instid1(VALU_DEP_1)
	v_fma_f32 v4, v5, v5, 1.0
	v_mul_f32_e32 v6, 0x4f800000, v4
	v_cmp_gt_f32_e32 vcc_lo, 0xf800000, v4
	s_delay_alu instid0(VALU_DEP_2) | instskip(NEXT) | instid1(VALU_DEP_1)
	v_cndmask_b32_e32 v4, v4, v6, vcc_lo
	v_sqrt_f32_e32 v6, v4
	s_waitcnt_depctr 0xfff
	v_add_nc_u32_e32 v19, -1, v6
	v_add_nc_u32_e32 v20, 1, v6
	s_delay_alu instid0(VALU_DEP_2) | instskip(NEXT) | instid1(VALU_DEP_2)
	v_fma_f32 v21, -v19, v6, v4
	v_fma_f32 v22, -v20, v6, v4
	s_delay_alu instid0(VALU_DEP_2) | instskip(NEXT) | instid1(VALU_DEP_1)
	v_cmp_ge_f32_e64 s7, 0, v21
	v_cndmask_b32_e64 v6, v6, v19, s7
	s_delay_alu instid0(VALU_DEP_3) | instskip(NEXT) | instid1(VALU_DEP_1)
	v_cmp_lt_f32_e64 s7, 0, v22
	v_cndmask_b32_e64 v6, v6, v20, s7
	s_delay_alu instid0(VALU_DEP_1) | instskip(NEXT) | instid1(VALU_DEP_1)
	v_mul_f32_e32 v19, 0x37800000, v6
	v_cndmask_b32_e32 v6, v6, v19, vcc_lo
	v_cmp_class_f32_e64 vcc_lo, v4, 0x260
	s_delay_alu instid0(VALU_DEP_2) | instskip(NEXT) | instid1(VALU_DEP_1)
	v_cndmask_b32_e32 v4, v6, v4, vcc_lo
	v_div_scale_f32 v6, null, v4, v4, 1.0
	s_delay_alu instid0(VALU_DEP_1) | instskip(SKIP_2) | instid1(VALU_DEP_1)
	v_rcp_f32_e32 v19, v6
	s_waitcnt_depctr 0xfff
	v_fma_f32 v20, -v6, v19, 1.0
	v_fmac_f32_e32 v19, v20, v19
	v_div_scale_f32 v20, vcc_lo, 1.0, v4, 1.0
	s_delay_alu instid0(VALU_DEP_1) | instskip(NEXT) | instid1(VALU_DEP_1)
	v_mul_f32_e32 v21, v20, v19
	v_fma_f32 v22, -v6, v21, v20
	s_delay_alu instid0(VALU_DEP_1) | instskip(NEXT) | instid1(VALU_DEP_1)
	v_fmac_f32_e32 v21, v22, v19
	v_fma_f32 v6, -v6, v21, v20
	s_delay_alu instid0(VALU_DEP_1) | instskip(NEXT) | instid1(VALU_DEP_1)
	v_div_fmas_f32 v6, v6, v19, v21
	v_div_fixup_f32 v4, v6, v4, 1.0
	s_delay_alu instid0(VALU_DEP_1)
	v_mul_f32_e32 v5, v5, v4
.LBB29_117:                             ;   in Loop: Header=BB29_11 Depth=1
	s_delay_alu instid0(VALU_DEP_1) | instskip(NEXT) | instid1(VALU_DEP_1)
	v_mul_f32_e32 v6, v2, v4
	v_fma_f32 v3, v3, v5, -v6
	s_branch .LBB29_119
.LBB29_118:                             ;   in Loop: Header=BB29_11 Depth=1
	v_xor_b32_e32 v3, 0x80000000, v2
	v_dual_mov_b32 v5, 0 :: v_dual_mov_b32 v4, 1.0
.LBB29_119:                             ;   in Loop: Header=BB29_11 Depth=1
	global_store_b32 v11, v3, s[58:59]
	s_clause 0x1
	global_load_b32 v19, v11, s[70:71] offset:-4
	global_load_b32 v6, v11, s[64:65] offset:-4
	s_cmp_eq_u32 s54, 2
	s_waitcnt vmcnt(1)
	v_mul_f32_e32 v3, v5, v19
	s_waitcnt vmcnt(0)
	s_delay_alu instid0(VALU_DEP_1)
	v_fmac_f32_e32 v3, v4, v6
	global_store_b32 v11, v3, s[70:71] offset:-4
	s_cbranch_scc0 .LBB29_180
; %bb.120:                              ;   in Loop: Header=BB29_11 Depth=1
	s_and_b32 s7, s73, s95
	s_delay_alu instid0(SALU_CYCLE_1)
	v_cndmask_b32_e64 v3, 0, 1, s7
	s_and_not1_b32 vcc_lo, exec_lo, s7
	s_cbranch_vccz .LBB29_181
.LBB29_121:                             ;   in Loop: Header=BB29_11 Depth=1
	s_xor_b32 s7, s93, -1
	s_delay_alu instid0(SALU_CYCLE_1) | instskip(NEXT) | instid1(SALU_CYCLE_1)
	s_or_b32 s7, s76, s7
	s_and_b32 vcc_lo, exec_lo, s7
	s_cbranch_vccnz .LBB29_123
.LBB29_122:                             ;   in Loop: Header=BB29_11 Depth=1
	s_ashr_i32 s51, s9, 31
	s_add_u32 s58, s60, s9
	s_addc_u32 s59, s61, s51
	s_delay_alu instid0(SALU_CYCLE_1) | instskip(NEXT) | instid1(SALU_CYCLE_1)
	s_lshl_b64 s[58:59], s[58:59], 2
	s_add_u32 s58, s53, s58
	s_addc_u32 s59, s57, s59
	s_ashr_i32 s55, s54, 31
	s_delay_alu instid0(SALU_CYCLE_1) | instskip(NEXT) | instid1(SALU_CYCLE_1)
	s_lshl_b64 s[60:61], s[54:55], 2
	s_add_u32 s60, s58, s60
	s_addc_u32 s61, s59, s61
	s_clause 0x1
	global_store_b32 v11, v5, s[58:59] offset:-4
	global_store_b32 v11, v4, s[60:61] offset:-4
.LBB29_123:                             ;   in Loop: Header=BB29_11 Depth=1
	v_mul_f32_e32 v4, v4, v19
	s_cmp_eq_u32 s8, 1
	s_mov_b32 s51, 0
	s_delay_alu instid0(VALU_DEP_1)
	v_fma_f32 v4, v5, v6, -v4
	s_cbranch_scc1 .LBB29_156
; %bb.124:                              ;   in Loop: Header=BB29_11 Depth=1
	s_xor_b32 s62, s94, -1
	s_xor_b32 s63, s7, -1
	s_add_i32 s58, s56, s50
	s_add_i32 s51, s8, -1
	s_sub_i32 s56, s56, s52
	s_ashr_i32 s7, s9, 31
	s_ashr_i32 s55, s54, 31
	s_add_u32 s53, s68, s9
	s_addc_u32 s7, s69, s7
	s_ashr_i32 s57, s56, 31
	s_add_u32 s60, s53, s56
	s_addc_u32 s61, s7, s57
	s_mov_b32 s98, 1
	s_lshl_b64 s[60:61], s[60:61], 2
	s_delay_alu instid0(SALU_CYCLE_1) | instskip(SKIP_2) | instid1(SALU_CYCLE_1)
	s_add_u32 s7, s60, s66
	s_addc_u32 s53, s61, s67
	s_lshl_b64 s[60:61], s[54:55], 2
	s_add_u32 s54, s7, s60
	s_addc_u32 s55, s53, s61
	s_add_u32 s64, s82, s54
	s_addc_u32 s65, s83, s55
	s_lshl_b32 s54, s46, 1
	s_delay_alu instid0(SALU_CYCLE_1) | instskip(NEXT) | instid1(SALU_CYCLE_1)
	s_add_i32 s54, s54, -2
	s_ashr_i32 s55, s54, 31
	s_delay_alu instid0(SALU_CYCLE_1) | instskip(NEXT) | instid1(SALU_CYCLE_1)
	s_lshl_b64 s[54:55], s[54:55], 2
	s_or_b32 s54, s54, 4
	s_add_u32 s68, s82, s7
	s_addc_u32 s69, s83, s53
	s_lshl_b64 s[94:95], s[46:47], 3
	s_delay_alu instid0(SALU_CYCLE_1) | instskip(SKIP_2) | instid1(SALU_CYCLE_1)
	s_add_u32 s7, s94, s66
	s_addc_u32 s47, s95, s67
	s_lshl_b64 s[96:97], s[56:57], 2
	s_add_u32 s7, s7, s96
	s_addc_u32 s53, s47, s97
	s_add_u32 s47, s7, s60
	s_addc_u32 s59, s53, s61
	;; [unrolled: 2-line block ×6, first 2 shown]
	s_mul_i32 s7, s46, 12
	s_lshl_b64 s[56:57], s[56:57], 2
	s_mul_hi_i32 s43, s46, 12
	s_add_u32 s7, s7, s56
	s_addc_u32 s43, s43, s57
	s_ashr_i32 s53, s52, 31
	s_delay_alu instid0(SALU_CYCLE_1) | instskip(NEXT) | instid1(SALU_CYCLE_1)
	s_lshl_b64 s[52:53], s[52:53], 2
	s_sub_u32 s7, s7, s52
	s_subb_u32 s52, s43, s53
	s_add_u32 s43, s84, s7
	s_addc_u32 s71, s85, s52
	s_add_u32 s7, s94, s44
	s_addc_u32 s56, s95, s45
	;; [unrolled: 2-line block ×6, first 2 shown]
	s_ashr_i32 s59, s58, 31
	s_delay_alu instid0(SALU_CYCLE_1) | instskip(NEXT) | instid1(SALU_CYCLE_1)
	s_lshl_b64 s[52:53], s[58:59], 2
	s_add_u32 s7, s7, s52
	s_addc_u32 s56, s56, s53
	s_add_u32 s99, s88, s7
	s_addc_u32 s100, s89, s56
	s_add_u32 s7, s44, s52
	s_addc_u32 s52, s45, s53
	s_add_u32 s101, s20, s7
	s_addc_u32 s102, s30, s52
	s_mov_b64 s[52:53], 0
	s_branch .LBB29_126
.LBB29_125:                             ;   in Loop: Header=BB29_126 Depth=2
	v_mul_f32_e32 v5, v5, v19
	s_add_i32 s98, s98, 1
	s_add_u32 s52, s52, s54
	s_addc_u32 s53, s53, s55
	s_cmp_eq_u32 s8, s98
	v_fma_f32 v4, v6, v4, -v5
	s_cbranch_scc1 .LBB29_156
.LBB29_126:                             ;   Parent Loop BB29_11 Depth=1
                                        ; =>  This Inner Loop Header: Depth=2
	v_cmp_eq_f32_e32 vcc_lo, 0, v2
	v_mov_b32_e32 v5, 0
	s_cbranch_vccnz .LBB29_130
; %bb.127:                              ;   in Loop: Header=BB29_126 Depth=2
	v_cmp_neq_f32_e32 vcc_lo, 0, v4
	s_cbranch_vccz .LBB29_131
; %bb.128:                              ;   in Loop: Header=BB29_126 Depth=2
	v_cmp_ngt_f32_e64 s7, |v2|, |v4|
	s_delay_alu instid0(VALU_DEP_1)
	s_and_b32 vcc_lo, exec_lo, s7
	s_cbranch_vccz .LBB29_132
; %bb.129:                              ;   in Loop: Header=BB29_126 Depth=2
	v_div_scale_f32 v5, null, v4, v4, -v2
	v_div_scale_f32 v20, vcc_lo, -v2, v4, -v2
	s_delay_alu instid0(VALU_DEP_2) | instskip(SKIP_2) | instid1(VALU_DEP_1)
	v_rcp_f32_e32 v6, v5
	s_waitcnt_depctr 0xfff
	v_fma_f32 v19, -v5, v6, 1.0
	v_fmac_f32_e32 v6, v19, v6
	s_delay_alu instid0(VALU_DEP_1) | instskip(NEXT) | instid1(VALU_DEP_1)
	v_mul_f32_e32 v19, v20, v6
	v_fma_f32 v21, -v5, v19, v20
	s_delay_alu instid0(VALU_DEP_1) | instskip(NEXT) | instid1(VALU_DEP_1)
	v_fmac_f32_e32 v19, v21, v6
	v_fma_f32 v5, -v5, v19, v20
	s_delay_alu instid0(VALU_DEP_1) | instskip(NEXT) | instid1(VALU_DEP_1)
	v_div_fmas_f32 v5, v5, v6, v19
	v_div_fixup_f32 v5, v5, v4, -v2
	s_delay_alu instid0(VALU_DEP_1) | instskip(NEXT) | instid1(VALU_DEP_1)
	v_fma_f32 v6, v5, v5, 1.0
	v_mul_f32_e32 v19, 0x4f800000, v6
	v_cmp_gt_f32_e32 vcc_lo, 0xf800000, v6
	s_delay_alu instid0(VALU_DEP_2) | instskip(NEXT) | instid1(VALU_DEP_1)
	v_cndmask_b32_e32 v6, v6, v19, vcc_lo
	v_sqrt_f32_e32 v19, v6
	s_waitcnt_depctr 0xfff
	v_add_nc_u32_e32 v20, -1, v19
	v_add_nc_u32_e32 v21, 1, v19
	s_delay_alu instid0(VALU_DEP_2) | instskip(NEXT) | instid1(VALU_DEP_2)
	v_fma_f32 v22, -v20, v19, v6
	v_fma_f32 v23, -v21, v19, v6
	s_delay_alu instid0(VALU_DEP_2) | instskip(NEXT) | instid1(VALU_DEP_1)
	v_cmp_ge_f32_e64 s7, 0, v22
	v_cndmask_b32_e64 v19, v19, v20, s7
	s_delay_alu instid0(VALU_DEP_3) | instskip(NEXT) | instid1(VALU_DEP_1)
	v_cmp_lt_f32_e64 s7, 0, v23
	v_cndmask_b32_e64 v19, v19, v21, s7
	s_delay_alu instid0(VALU_DEP_1) | instskip(NEXT) | instid1(VALU_DEP_1)
	v_mul_f32_e32 v20, 0x37800000, v19
	v_cndmask_b32_e32 v19, v19, v20, vcc_lo
	v_cmp_class_f32_e64 vcc_lo, v6, 0x260
	s_delay_alu instid0(VALU_DEP_2) | instskip(NEXT) | instid1(VALU_DEP_1)
	v_cndmask_b32_e32 v6, v19, v6, vcc_lo
	v_div_scale_f32 v19, null, v6, v6, 1.0
	s_delay_alu instid0(VALU_DEP_1) | instskip(SKIP_2) | instid1(VALU_DEP_1)
	v_rcp_f32_e32 v20, v19
	s_waitcnt_depctr 0xfff
	v_fma_f32 v21, -v19, v20, 1.0
	v_fmac_f32_e32 v20, v21, v20
	v_div_scale_f32 v21, vcc_lo, 1.0, v6, 1.0
	s_delay_alu instid0(VALU_DEP_1) | instskip(NEXT) | instid1(VALU_DEP_1)
	v_mul_f32_e32 v22, v21, v20
	v_fma_f32 v23, -v19, v22, v21
	s_delay_alu instid0(VALU_DEP_1) | instskip(NEXT) | instid1(VALU_DEP_1)
	v_fmac_f32_e32 v22, v23, v20
	v_fma_f32 v19, -v19, v22, v21
	s_delay_alu instid0(VALU_DEP_1) | instskip(NEXT) | instid1(VALU_DEP_1)
	v_div_fmas_f32 v19, v19, v20, v22
	v_div_fixup_f32 v6, v19, v6, 1.0
	s_delay_alu instid0(VALU_DEP_1)
	v_mul_f32_e32 v5, v5, v6
	s_cbranch_execz .LBB29_133
	s_branch .LBB29_134
.LBB29_130:                             ;   in Loop: Header=BB29_126 Depth=2
	v_mov_b32_e32 v6, 1.0
	s_branch .LBB29_136
.LBB29_131:                             ;   in Loop: Header=BB29_126 Depth=2
                                        ; implicit-def: $vgpr4
                                        ; implicit-def: $vgpr5
                                        ; implicit-def: $vgpr6
	s_cbranch_execnz .LBB29_135
	s_branch .LBB29_136
.LBB29_132:                             ;   in Loop: Header=BB29_126 Depth=2
                                        ; implicit-def: $vgpr5
                                        ; implicit-def: $vgpr6
.LBB29_133:                             ;   in Loop: Header=BB29_126 Depth=2
	v_div_scale_f32 v5, null, v2, v2, -v4
	v_div_scale_f32 v20, vcc_lo, -v4, v2, -v4
	s_delay_alu instid0(VALU_DEP_2) | instskip(SKIP_2) | instid1(VALU_DEP_1)
	v_rcp_f32_e32 v6, v5
	s_waitcnt_depctr 0xfff
	v_fma_f32 v19, -v5, v6, 1.0
	v_fmac_f32_e32 v6, v19, v6
	s_delay_alu instid0(VALU_DEP_1) | instskip(NEXT) | instid1(VALU_DEP_1)
	v_mul_f32_e32 v19, v20, v6
	v_fma_f32 v21, -v5, v19, v20
	s_delay_alu instid0(VALU_DEP_1) | instskip(NEXT) | instid1(VALU_DEP_1)
	v_fmac_f32_e32 v19, v21, v6
	v_fma_f32 v5, -v5, v19, v20
	s_delay_alu instid0(VALU_DEP_1) | instskip(NEXT) | instid1(VALU_DEP_1)
	v_div_fmas_f32 v5, v5, v6, v19
	v_div_fixup_f32 v6, v5, v2, -v4
	s_delay_alu instid0(VALU_DEP_1) | instskip(NEXT) | instid1(VALU_DEP_1)
	v_fma_f32 v5, v6, v6, 1.0
	v_mul_f32_e32 v19, 0x4f800000, v5
	v_cmp_gt_f32_e32 vcc_lo, 0xf800000, v5
	s_delay_alu instid0(VALU_DEP_2) | instskip(NEXT) | instid1(VALU_DEP_1)
	v_cndmask_b32_e32 v5, v5, v19, vcc_lo
	v_sqrt_f32_e32 v19, v5
	s_waitcnt_depctr 0xfff
	v_add_nc_u32_e32 v20, -1, v19
	v_add_nc_u32_e32 v21, 1, v19
	s_delay_alu instid0(VALU_DEP_2) | instskip(NEXT) | instid1(VALU_DEP_2)
	v_fma_f32 v22, -v20, v19, v5
	v_fma_f32 v23, -v21, v19, v5
	s_delay_alu instid0(VALU_DEP_2) | instskip(NEXT) | instid1(VALU_DEP_1)
	v_cmp_ge_f32_e64 s7, 0, v22
	v_cndmask_b32_e64 v19, v19, v20, s7
	s_delay_alu instid0(VALU_DEP_3) | instskip(NEXT) | instid1(VALU_DEP_1)
	v_cmp_lt_f32_e64 s7, 0, v23
	v_cndmask_b32_e64 v19, v19, v21, s7
	s_delay_alu instid0(VALU_DEP_1) | instskip(NEXT) | instid1(VALU_DEP_1)
	v_mul_f32_e32 v20, 0x37800000, v19
	v_cndmask_b32_e32 v19, v19, v20, vcc_lo
	v_cmp_class_f32_e64 vcc_lo, v5, 0x260
	s_delay_alu instid0(VALU_DEP_2) | instskip(NEXT) | instid1(VALU_DEP_1)
	v_cndmask_b32_e32 v5, v19, v5, vcc_lo
	v_div_scale_f32 v19, null, v5, v5, 1.0
	s_delay_alu instid0(VALU_DEP_1) | instskip(SKIP_2) | instid1(VALU_DEP_1)
	v_rcp_f32_e32 v20, v19
	s_waitcnt_depctr 0xfff
	v_fma_f32 v21, -v19, v20, 1.0
	v_fmac_f32_e32 v20, v21, v20
	v_div_scale_f32 v21, vcc_lo, 1.0, v5, 1.0
	s_delay_alu instid0(VALU_DEP_1) | instskip(NEXT) | instid1(VALU_DEP_1)
	v_mul_f32_e32 v22, v21, v20
	v_fma_f32 v23, -v19, v22, v21
	s_delay_alu instid0(VALU_DEP_1) | instskip(NEXT) | instid1(VALU_DEP_1)
	v_fmac_f32_e32 v22, v23, v20
	v_fma_f32 v19, -v19, v22, v21
	s_delay_alu instid0(VALU_DEP_1) | instskip(NEXT) | instid1(VALU_DEP_1)
	v_div_fmas_f32 v19, v19, v20, v22
	v_div_fixup_f32 v5, v19, v5, 1.0
	s_delay_alu instid0(VALU_DEP_1)
	v_mul_f32_e32 v6, v6, v5
.LBB29_134:                             ;   in Loop: Header=BB29_126 Depth=2
	s_delay_alu instid0(VALU_DEP_1) | instskip(NEXT) | instid1(VALU_DEP_1)
	v_mul_f32_e32 v19, v2, v5
	v_fma_f32 v4, v4, v6, -v19
	s_branch .LBB29_136
.LBB29_135:                             ;   in Loop: Header=BB29_126 Depth=2
	v_xor_b32_e32 v4, 0x80000000, v2
	v_dual_mov_b32 v6, 0 :: v_dual_mov_b32 v5, 1.0
.LBB29_136:                             ;   in Loop: Header=BB29_126 Depth=2
	s_add_u32 s60, s96, s52
	s_addc_u32 s61, s97, s53
	s_add_u32 s56, s101, s52
	s_addc_u32 s57, s102, s53
	;; [unrolled: 2-line block ×3, first 2 shown]
	global_store_b32 v11, v4, s[60:61]
	s_clause 0x1
	global_load_b32 v19, v11, s[58:59]
	global_load_b32 v4, v11, s[56:57]
	s_add_u32 s60, s99, s52
	s_addc_u32 s61, s100, s53
	v_cmp_ne_u32_e32 vcc_lo, 1, v1
	s_and_b32 vcc_lo, exec_lo, vcc_lo
	s_waitcnt vmcnt(1)
	v_mul_f32_e32 v2, v6, v19
	s_waitcnt vmcnt(0)
	s_delay_alu instid0(VALU_DEP_1)
	v_fmac_f32_e32 v2, v5, v4
	global_store_b32 v11, v2, s[58:59]
	global_load_b32 v2, v11, s[60:61]
	s_waitcnt vmcnt(0)
	v_mul_f32_e32 v20, v6, v2
	global_store_b32 v11, v20, s[60:61]
	s_cbranch_vccnz .LBB29_138
; %bb.137:                              ;   in Loop: Header=BB29_126 Depth=2
	s_add_u32 vcc_lo, s67, s52
	s_addc_u32 vcc_hi, s70, s53
	s_add_u32 s86, s47, s52
	s_addc_u32 s87, s66, s53
	s_clause 0x1
	global_store_b32 v11, v6, vcc
	global_store_b32 v11, v5, s[86:87]
.LBB29_138:                             ;   in Loop: Header=BB29_126 Depth=2
	s_and_not1_b32 vcc_lo, exec_lo, s62
	s_cbranch_vccnz .LBB29_140
; %bb.139:                              ;   in Loop: Header=BB29_126 Depth=2
	s_add_u32 s86, s68, s52
	s_addc_u32 s87, s69, s53
	s_add_u32 vcc_lo, s64, s52
	s_addc_u32 vcc_hi, s65, s53
	s_clause 0x1
	global_store_b32 v11, v6, s[86:87]
	global_store_b32 v11, v5, vcc
.LBB29_140:                             ;   in Loop: Header=BB29_126 Depth=2
	v_mul_f32_e64 v2, v2, -v5
	v_mul_f32_e32 v5, v5, v19
	s_delay_alu instid0(VALU_DEP_2) | instskip(NEXT) | instid1(VALU_DEP_2)
	v_cmp_eq_f32_e32 vcc_lo, 0, v2
	v_fma_f32 v4, v6, v4, -v5
	v_mov_b32_e32 v5, 0
	s_cbranch_vccnz .LBB29_144
; %bb.141:                              ;   in Loop: Header=BB29_126 Depth=2
	s_delay_alu instid0(VALU_DEP_2)
	v_cmp_neq_f32_e32 vcc_lo, 0, v4
	s_cbranch_vccz .LBB29_145
; %bb.142:                              ;   in Loop: Header=BB29_126 Depth=2
	v_cmp_ngt_f32_e64 s7, |v2|, |v4|
	s_delay_alu instid0(VALU_DEP_1)
	s_and_b32 vcc_lo, exec_lo, s7
	s_cbranch_vccz .LBB29_146
; %bb.143:                              ;   in Loop: Header=BB29_126 Depth=2
	v_div_scale_f32 v5, null, v4, v4, -v2
	v_div_scale_f32 v20, vcc_lo, -v2, v4, -v2
	s_delay_alu instid0(VALU_DEP_2) | instskip(SKIP_2) | instid1(VALU_DEP_1)
	v_rcp_f32_e32 v6, v5
	s_waitcnt_depctr 0xfff
	v_fma_f32 v19, -v5, v6, 1.0
	v_fmac_f32_e32 v6, v19, v6
	s_delay_alu instid0(VALU_DEP_1) | instskip(NEXT) | instid1(VALU_DEP_1)
	v_mul_f32_e32 v19, v20, v6
	v_fma_f32 v21, -v5, v19, v20
	s_delay_alu instid0(VALU_DEP_1) | instskip(NEXT) | instid1(VALU_DEP_1)
	v_fmac_f32_e32 v19, v21, v6
	v_fma_f32 v5, -v5, v19, v20
	s_delay_alu instid0(VALU_DEP_1) | instskip(NEXT) | instid1(VALU_DEP_1)
	v_div_fmas_f32 v5, v5, v6, v19
	v_div_fixup_f32 v5, v5, v4, -v2
	s_delay_alu instid0(VALU_DEP_1) | instskip(NEXT) | instid1(VALU_DEP_1)
	v_fma_f32 v6, v5, v5, 1.0
	v_mul_f32_e32 v19, 0x4f800000, v6
	v_cmp_gt_f32_e32 vcc_lo, 0xf800000, v6
	s_delay_alu instid0(VALU_DEP_2) | instskip(NEXT) | instid1(VALU_DEP_1)
	v_cndmask_b32_e32 v6, v6, v19, vcc_lo
	v_sqrt_f32_e32 v19, v6
	s_waitcnt_depctr 0xfff
	v_add_nc_u32_e32 v20, -1, v19
	v_add_nc_u32_e32 v21, 1, v19
	s_delay_alu instid0(VALU_DEP_2) | instskip(NEXT) | instid1(VALU_DEP_2)
	v_fma_f32 v22, -v20, v19, v6
	v_fma_f32 v23, -v21, v19, v6
	s_delay_alu instid0(VALU_DEP_2) | instskip(NEXT) | instid1(VALU_DEP_1)
	v_cmp_ge_f32_e64 s7, 0, v22
	v_cndmask_b32_e64 v19, v19, v20, s7
	s_delay_alu instid0(VALU_DEP_3) | instskip(NEXT) | instid1(VALU_DEP_1)
	v_cmp_lt_f32_e64 s7, 0, v23
	v_cndmask_b32_e64 v19, v19, v21, s7
	s_delay_alu instid0(VALU_DEP_1) | instskip(NEXT) | instid1(VALU_DEP_1)
	v_mul_f32_e32 v20, 0x37800000, v19
	v_cndmask_b32_e32 v19, v19, v20, vcc_lo
	v_cmp_class_f32_e64 vcc_lo, v6, 0x260
	s_delay_alu instid0(VALU_DEP_2) | instskip(NEXT) | instid1(VALU_DEP_1)
	v_cndmask_b32_e32 v6, v19, v6, vcc_lo
	v_div_scale_f32 v19, null, v6, v6, 1.0
	s_delay_alu instid0(VALU_DEP_1) | instskip(SKIP_2) | instid1(VALU_DEP_1)
	v_rcp_f32_e32 v20, v19
	s_waitcnt_depctr 0xfff
	v_fma_f32 v21, -v19, v20, 1.0
	v_fmac_f32_e32 v20, v21, v20
	v_div_scale_f32 v21, vcc_lo, 1.0, v6, 1.0
	s_delay_alu instid0(VALU_DEP_1) | instskip(NEXT) | instid1(VALU_DEP_1)
	v_mul_f32_e32 v22, v21, v20
	v_fma_f32 v23, -v19, v22, v21
	s_delay_alu instid0(VALU_DEP_1) | instskip(NEXT) | instid1(VALU_DEP_1)
	v_fmac_f32_e32 v22, v23, v20
	v_fma_f32 v19, -v19, v22, v21
	s_delay_alu instid0(VALU_DEP_1) | instskip(NEXT) | instid1(VALU_DEP_1)
	v_div_fmas_f32 v19, v19, v20, v22
	v_div_fixup_f32 v6, v19, v6, 1.0
	s_delay_alu instid0(VALU_DEP_1)
	v_mul_f32_e32 v5, v5, v6
	s_cbranch_execz .LBB29_147
	s_branch .LBB29_148
.LBB29_144:                             ;   in Loop: Header=BB29_126 Depth=2
	v_mov_b32_e32 v6, 1.0
	s_branch .LBB29_150
.LBB29_145:                             ;   in Loop: Header=BB29_126 Depth=2
                                        ; implicit-def: $vgpr4
                                        ; implicit-def: $vgpr5
                                        ; implicit-def: $vgpr6
	s_cbranch_execnz .LBB29_149
	s_branch .LBB29_150
.LBB29_146:                             ;   in Loop: Header=BB29_126 Depth=2
                                        ; implicit-def: $vgpr5
                                        ; implicit-def: $vgpr6
.LBB29_147:                             ;   in Loop: Header=BB29_126 Depth=2
	v_div_scale_f32 v5, null, v2, v2, -v4
	v_div_scale_f32 v20, vcc_lo, -v4, v2, -v4
	s_delay_alu instid0(VALU_DEP_2) | instskip(SKIP_2) | instid1(VALU_DEP_1)
	v_rcp_f32_e32 v6, v5
	s_waitcnt_depctr 0xfff
	v_fma_f32 v19, -v5, v6, 1.0
	v_fmac_f32_e32 v6, v19, v6
	s_delay_alu instid0(VALU_DEP_1) | instskip(NEXT) | instid1(VALU_DEP_1)
	v_mul_f32_e32 v19, v20, v6
	v_fma_f32 v21, -v5, v19, v20
	s_delay_alu instid0(VALU_DEP_1) | instskip(NEXT) | instid1(VALU_DEP_1)
	v_fmac_f32_e32 v19, v21, v6
	v_fma_f32 v5, -v5, v19, v20
	s_delay_alu instid0(VALU_DEP_1) | instskip(NEXT) | instid1(VALU_DEP_1)
	v_div_fmas_f32 v5, v5, v6, v19
	v_div_fixup_f32 v6, v5, v2, -v4
	s_delay_alu instid0(VALU_DEP_1) | instskip(NEXT) | instid1(VALU_DEP_1)
	v_fma_f32 v5, v6, v6, 1.0
	v_mul_f32_e32 v19, 0x4f800000, v5
	v_cmp_gt_f32_e32 vcc_lo, 0xf800000, v5
	s_delay_alu instid0(VALU_DEP_2) | instskip(NEXT) | instid1(VALU_DEP_1)
	v_cndmask_b32_e32 v5, v5, v19, vcc_lo
	v_sqrt_f32_e32 v19, v5
	s_waitcnt_depctr 0xfff
	v_add_nc_u32_e32 v20, -1, v19
	v_add_nc_u32_e32 v21, 1, v19
	s_delay_alu instid0(VALU_DEP_2) | instskip(NEXT) | instid1(VALU_DEP_2)
	v_fma_f32 v22, -v20, v19, v5
	v_fma_f32 v23, -v21, v19, v5
	s_delay_alu instid0(VALU_DEP_2) | instskip(NEXT) | instid1(VALU_DEP_1)
	v_cmp_ge_f32_e64 s7, 0, v22
	v_cndmask_b32_e64 v19, v19, v20, s7
	s_delay_alu instid0(VALU_DEP_3) | instskip(NEXT) | instid1(VALU_DEP_1)
	v_cmp_lt_f32_e64 s7, 0, v23
	v_cndmask_b32_e64 v19, v19, v21, s7
	s_delay_alu instid0(VALU_DEP_1) | instskip(NEXT) | instid1(VALU_DEP_1)
	v_mul_f32_e32 v20, 0x37800000, v19
	v_cndmask_b32_e32 v19, v19, v20, vcc_lo
	v_cmp_class_f32_e64 vcc_lo, v5, 0x260
	s_delay_alu instid0(VALU_DEP_2) | instskip(NEXT) | instid1(VALU_DEP_1)
	v_cndmask_b32_e32 v5, v19, v5, vcc_lo
	v_div_scale_f32 v19, null, v5, v5, 1.0
	s_delay_alu instid0(VALU_DEP_1) | instskip(SKIP_2) | instid1(VALU_DEP_1)
	v_rcp_f32_e32 v20, v19
	s_waitcnt_depctr 0xfff
	v_fma_f32 v21, -v19, v20, 1.0
	v_fmac_f32_e32 v20, v21, v20
	v_div_scale_f32 v21, vcc_lo, 1.0, v5, 1.0
	s_delay_alu instid0(VALU_DEP_1) | instskip(NEXT) | instid1(VALU_DEP_1)
	v_mul_f32_e32 v22, v21, v20
	v_fma_f32 v23, -v19, v22, v21
	s_delay_alu instid0(VALU_DEP_1) | instskip(NEXT) | instid1(VALU_DEP_1)
	v_fmac_f32_e32 v22, v23, v20
	v_fma_f32 v19, -v19, v22, v21
	s_delay_alu instid0(VALU_DEP_1) | instskip(NEXT) | instid1(VALU_DEP_1)
	v_div_fmas_f32 v19, v19, v20, v22
	v_div_fixup_f32 v5, v19, v5, 1.0
	s_delay_alu instid0(VALU_DEP_1)
	v_mul_f32_e32 v6, v6, v5
.LBB29_148:                             ;   in Loop: Header=BB29_126 Depth=2
	s_delay_alu instid0(VALU_DEP_1) | instskip(NEXT) | instid1(VALU_DEP_1)
	v_mul_f32_e32 v19, v2, v5
	v_fma_f32 v4, v4, v6, -v19
	s_branch .LBB29_150
.LBB29_149:                             ;   in Loop: Header=BB29_126 Depth=2
	v_xor_b32_e32 v4, 0x80000000, v2
	v_dual_mov_b32 v6, 0 :: v_dual_mov_b32 v5, 1.0
.LBB29_150:                             ;   in Loop: Header=BB29_126 Depth=2
	global_store_b32 v11, v4, s[56:57]
	s_clause 0x1
	global_load_b32 v19, v11, s[60:61]
	global_load_b32 v4, v11, s[58:59]
	s_cmp_ge_i32 s98, s51
	s_waitcnt vmcnt(1)
	v_mul_f32_e32 v20, v6, v19
	s_waitcnt vmcnt(0)
	s_delay_alu instid0(VALU_DEP_1)
	v_fmac_f32_e32 v20, v5, v4
	global_store_b32 v11, v20, s[60:61]
	s_cbranch_scc0 .LBB29_153
; %bb.151:                              ;   in Loop: Header=BB29_126 Depth=2
	v_cmp_ne_u32_e32 vcc_lo, 1, v3
	s_cbranch_vccz .LBB29_154
.LBB29_152:                             ;   in Loop: Header=BB29_126 Depth=2
	s_and_not1_b32 vcc_lo, exec_lo, s63
	s_cbranch_vccnz .LBB29_125
	s_branch .LBB29_155
.LBB29_153:                             ;   in Loop: Header=BB29_126 Depth=2
	s_add_u32 s56, s43, s52
	s_addc_u32 s57, s71, s53
	global_load_b32 v2, v11, s[56:57]
	s_waitcnt vmcnt(0)
	v_mul_f32_e32 v20, v6, v2
	v_mul_f32_e64 v2, v2, -v5
	global_store_b32 v11, v20, s[56:57]
	v_cmp_ne_u32_e32 vcc_lo, 1, v3
	s_cbranch_vccnz .LBB29_152
.LBB29_154:                             ;   in Loop: Header=BB29_126 Depth=2
	s_add_u32 s56, s67, s52
	s_addc_u32 s57, s70, s53
	s_add_u32 s58, s47, s52
	s_addc_u32 s59, s66, s53
	s_clause 0x1
	global_store_b32 v11, v6, s[56:57]
	global_store_b32 v11, v5, s[58:59]
	s_and_not1_b32 vcc_lo, exec_lo, s63
	s_cbranch_vccnz .LBB29_125
.LBB29_155:                             ;   in Loop: Header=BB29_126 Depth=2
	s_add_u32 s56, s68, s52
	s_addc_u32 s57, s69, s53
	s_add_u32 s58, s64, s52
	s_addc_u32 s59, s65, s53
	s_clause 0x1
	global_store_b32 v11, v6, s[56:57]
	global_store_b32 v11, v5, s[58:59]
	s_branch .LBB29_125
.LBB29_156:                             ;   in Loop: Header=BB29_11 Depth=1
	s_and_b32 s7, s93, exec_lo
	s_cselect_b32 s52, s51, 0
	s_delay_alu instid0(SALU_CYCLE_1) | instskip(NEXT) | instid1(SALU_CYCLE_1)
	s_ashr_i32 s53, s52, 31
	s_lshl_b64 s[52:53], s[52:53], 2
	s_delay_alu instid0(SALU_CYCLE_1)
	s_add_u32 s52, s16, s52
	s_addc_u32 s53, s92, s53
	global_store_b32 v11, v4, s[52:53]
.LBB29_157:                             ;   in Loop: Header=BB29_11 Depth=1
	s_or_b32 exec_lo, exec_lo, s27
	s_delay_alu instid0(SALU_CYCLE_1)
	s_and_not1_b32 vcc_lo, exec_lo, s77
	s_waitcnt_vscnt null, 0x0
	s_barrier
	buffer_gl0_inv
	s_cbranch_vccz .LBB29_160
; %bb.158:                              ;   in Loop: Header=BB29_11 Depth=1
	s_and_not1_b32 vcc_lo, exec_lo, s78
	s_cbranch_vccz .LBB29_167
.LBB29_159:                             ;   in Loop: Header=BB29_11 Depth=1
	s_and_not1_b32 vcc_lo, exec_lo, s79
	s_cbranch_vccnz .LBB29_10
	s_branch .LBB29_174
.LBB29_160:                             ;   in Loop: Header=BB29_11 Depth=1
	s_and_saveexec_b32 s43, s0
	s_cbranch_execz .LBB29_166
; %bb.161:                              ;   in Loop: Header=BB29_11 Depth=1
	s_load_b32 s7, s[40:41], 0xc
	s_add_u32 s47, s28, s44
	s_addc_u32 s51, s29, s45
	s_add_i32 s27, s8, -1
	s_cmp_eq_u32 s46, 0
	v_mov_b32_e32 v19, v0
	s_cselect_b32 s16, s8, 0
	s_cselect_b32 s52, s27, 0
	s_cmp_gt_i32 s8, 0
	v_add_nc_u32_e32 v1, s16, v9
	s_cselect_b32 s61, -1, 0
	s_ashr_i32 s53, s52, 31
	s_lshl_b64 s[54:55], s[48:49], 2
	s_lshl_b64 s[52:53], s[52:53], 2
	s_mov_b32 s60, 0
	s_waitcnt lgkmcnt(0)
	s_and_b32 s62, s7, 0xffff
	s_add_u32 s7, s52, s54
	s_addc_u32 s58, s53, s55
	s_add_u32 s63, s80, s7
	s_addc_u32 s64, s81, s58
	s_lshl_b32 s59, s46, 1
	s_ashr_i32 s27, s26, 31
	s_add_i32 s52, s59, -2
	s_lshl_b64 s[56:57], s[26:27], 2
	s_ashr_i32 s53, s52, 31
	v_add3_u32 v3, s59, s16, v12
	s_lshl_b64 s[54:55], s[52:53], 2
	s_mul_i32 s65, s19, s62
	s_or_b32 s54, s54, 4
	s_add_u32 s7, s7, s56
	s_addc_u32 s27, s58, s57
	s_sub_u32 s7, s7, s44
	s_subb_u32 s56, s27, s45
	s_add_u32 s27, s90, s7
	s_addc_u32 s66, s91, s56
	s_not_b64 s[56:57], s[52:53]
	s_or_b32 s52, s52, 1
	s_branch .LBB29_163
.LBB29_162:                             ;   in Loop: Header=BB29_163 Depth=2
	v_lshlrev_b64 v[4:5], 2, v[5:6]
	v_add_nc_u32_e32 v19, s62, v19
	v_add_nc_u32_e32 v1, s65, v1
	;; [unrolled: 1-line block ×3, first 2 shown]
	s_delay_alu instid0(VALU_DEP_3) | instskip(SKIP_1) | instid1(VALU_DEP_1)
	v_cmp_le_i32_e32 vcc_lo, s21, v19
	v_add_co_u32 v4, s7, s47, v4
	v_add_co_ci_u32_e64 v5, s7, s51, v5, s7
	s_or_b32 s60, vcc_lo, s60
	s_waitcnt vmcnt(0) lgkmcnt(0)
	flat_store_b32 v[4:5], v20
	s_and_not1_b32 exec_lo, exec_lo, s60
	s_cbranch_execz .LBB29_166
.LBB29_163:                             ;   Parent Loop BB29_11 Depth=1
                                        ; =>  This Loop Header: Depth=2
                                        ;       Child Loop BB29_165 Depth 3
	v_mad_u64_u32 v[5:6], null, v19, s19, s[16:17]
	s_delay_alu instid0(VALU_DEP_1) | instskip(NEXT) | instid1(VALU_DEP_1)
	v_ashrrev_i32_e32 v6, 31, v5
	v_lshlrev_b64 v[20:21], 2, v[5:6]
	s_delay_alu instid0(VALU_DEP_1) | instskip(NEXT) | instid1(VALU_DEP_2)
	v_add_co_u32 v20, vcc_lo, s47, v20
	v_add_co_ci_u32_e32 v21, vcc_lo, s51, v21, vcc_lo
	s_and_not1_b32 vcc_lo, exec_lo, s61
	flat_load_b32 v20, v[20:21]
	s_cbranch_vccnz .LBB29_162
; %bb.164:                              ;   in Loop: Header=BB29_163 Depth=2
	v_ashrrev_i32_e32 v2, 31, v1
	v_ashrrev_i32_e32 v4, 31, v3
	v_add_co_u32 v5, vcc_lo, s56, v3
	s_mov_b64 s[58:59], 0
	s_delay_alu instid0(VALU_DEP_3) | instskip(NEXT) | instid1(VALU_DEP_3)
	v_lshlrev_b64 v[21:22], 2, v[1:2]
	v_lshlrev_b64 v[23:24], 2, v[3:4]
	v_add_co_ci_u32_e32 v6, vcc_lo, s57, v4, vcc_lo
	s_mov_b32 s7, s8
	s_delay_alu instid0(VALU_DEP_3) | instskip(NEXT) | instid1(VALU_DEP_4)
	v_add_co_u32 v2, vcc_lo, s47, v21
	v_add_co_ci_u32_e32 v4, vcc_lo, s51, v22, vcc_lo
	s_delay_alu instid0(VALU_DEP_4)
	v_add_co_u32 v21, vcc_lo, s47, v23
	v_add_co_ci_u32_e32 v22, vcc_lo, s51, v24, vcc_lo
	.p2align	6
.LBB29_165:                             ;   Parent Loop BB29_11 Depth=1
                                        ;     Parent Loop BB29_163 Depth=2
                                        ; =>    This Inner Loop Header: Depth=3
	s_delay_alu instid0(VALU_DEP_2) | instskip(NEXT) | instid1(VALU_DEP_2)
	v_add_co_u32 v23, vcc_lo, v21, s58
	v_add_co_ci_u32_e32 v24, vcc_lo, s59, v22, vcc_lo
	s_add_u32 s68, s63, s58
	s_addc_u32 s69, s64, s59
	s_add_u32 s70, s27, s58
	s_addc_u32 s71, s66, s59
	global_load_b32 v25, v11, s[68:69] offset:16
	flat_load_b32 v26, v[23:24]
	global_load_b32 v27, v11, s[70:71]
	v_add_co_u32 v23, vcc_lo, v2, s58
	v_add_co_ci_u32_e32 v24, vcc_lo, s59, v4, vcc_lo
	v_add_co_u32 v5, vcc_lo, v5, s52
	v_add_co_ci_u32_e32 v6, vcc_lo, s53, v6, vcc_lo
	s_add_i32 s7, s7, -1
	s_add_u32 s58, s58, s54
	s_addc_u32 s59, s59, s55
	s_cmp_eq_u32 s7, 0
	s_waitcnt vmcnt(0) lgkmcnt(0)
	v_mul_f32_e32 v28, v26, v27
	s_delay_alu instid0(VALU_DEP_1)
	v_fma_f32 v28, v20, v25, -v28
	v_mul_f32_e32 v20, v20, v27
	flat_store_b32 v[23:24], v28
	v_fmac_f32_e32 v20, v26, v25
	s_cbranch_scc0 .LBB29_165
	s_branch .LBB29_162
.LBB29_166:                             ;   in Loop: Header=BB29_11 Depth=1
	s_or_b32 exec_lo, exec_lo, s43
	s_delay_alu instid0(SALU_CYCLE_1)
	s_and_not1_b32 vcc_lo, exec_lo, s78
	s_cbranch_vccnz .LBB29_159
.LBB29_167:                             ;   in Loop: Header=BB29_11 Depth=1
	s_and_saveexec_b32 s16, s1
	s_cbranch_execz .LBB29_173
; %bb.168:                              ;   in Loop: Header=BB29_11 Depth=1
	s_load_b32 s7, s[40:41], 0xc
	s_mul_i32 s42, s42, s17
	s_mul_i32 s60, s17, s50
	s_ashr_i32 s43, s42, 31
	v_mov_b32_e32 v5, v0
	s_lshl_b64 s[42:43], s[42:43], 2
	s_delay_alu instid0(SALU_CYCLE_1)
	s_add_u32 s47, s12, s42
	s_addc_u32 s54, s13, s43
	s_add_i32 s27, s8, -1
	s_cmp_eq_u32 s46, 0
	s_cselect_b32 s27, s27, 0
	s_cselect_b32 s51, s8, 0
	s_add_i32 s42, s27, s9
	s_cmp_gt_i32 s8, 0
	s_cselect_b32 s55, -1, 0
	s_ashr_i32 s43, s42, 31
	s_lshl_b64 s[52:53], s[48:49], 2
	s_lshl_b64 s[42:43], s[42:43], 2
	s_waitcnt lgkmcnt(0)
	s_and_b32 s56, s7, 0xffff
	s_add_u32 s7, s52, s42
	s_addc_u32 s27, s53, s43
	s_add_u32 s42, s80, s7
	s_addc_u32 s43, s81, s27
	s_lshl_b32 s7, s46, 1
	s_ashr_i32 s27, s26, 31
	s_add_i32 s52, s7, -2
	s_lshl_b64 s[58:59], s[26:27], 2
	s_ashr_i32 s53, s52, 31
	s_delay_alu instid0(SALU_CYCLE_1) | instskip(NEXT) | instid1(SALU_CYCLE_1)
	s_lshl_b64 s[52:53], s[52:53], 2
	s_or_b32 s52, s52, 4
	s_sub_u32 s27, s58, s44
	s_subb_u32 s57, s59, s45
	s_add_u32 s27, s27, 20
	s_addc_u32 s57, s57, 0
	s_add_i32 s7, s51, s7
	s_mul_i32 s58, s51, s17
	s_add_i32 s7, s7, -1
	v_add_nc_u32_e32 v4, s58, v0
	v_mad_u64_u32 v[1:2], null, s17, s7, v[0:1]
	s_mov_b32 s59, 0
	s_branch .LBB29_170
.LBB29_169:                             ;   in Loop: Header=BB29_170 Depth=2
	s_set_inst_prefetch_distance 0x2
	v_lshlrev_b64 v[2:3], 2, v[2:3]
	v_add_nc_u32_e32 v5, s56, v5
	v_add_nc_u32_e32 v4, s56, v4
	;; [unrolled: 1-line block ×3, first 2 shown]
	s_delay_alu instid0(VALU_DEP_3) | instskip(SKIP_1) | instid1(VALU_DEP_1)
	v_cmp_le_i32_e32 vcc_lo, s22, v5
	v_add_co_u32 v2, s7, s47, v2
	v_add_co_ci_u32_e64 v3, s7, s54, v3, s7
	s_or_b32 s59, vcc_lo, s59
	s_waitcnt vmcnt(0) lgkmcnt(0)
	flat_store_b32 v[2:3], v6
	s_and_not1_b32 exec_lo, exec_lo, s59
	s_cbranch_execz .LBB29_173
.LBB29_170:                             ;   Parent Loop BB29_11 Depth=1
                                        ; =>  This Loop Header: Depth=2
                                        ;       Child Loop BB29_172 Depth 3
	v_add_nc_u32_e32 v2, s58, v5
	s_delay_alu instid0(VALU_DEP_1) | instskip(NEXT) | instid1(VALU_DEP_1)
	v_ashrrev_i32_e32 v3, 31, v2
	v_lshlrev_b64 v[19:20], 2, v[2:3]
	s_delay_alu instid0(VALU_DEP_1) | instskip(NEXT) | instid1(VALU_DEP_2)
	v_add_co_u32 v19, vcc_lo, s47, v19
	v_add_co_ci_u32_e32 v20, vcc_lo, s54, v20, vcc_lo
	s_and_not1_b32 vcc_lo, exec_lo, s55
	flat_load_b32 v6, v[19:20]
	s_cbranch_vccnz .LBB29_169
; %bb.171:                              ;   in Loop: Header=BB29_170 Depth=2
	s_mov_b32 s7, 0
	s_mov_b64 s[50:51], s[42:43]
	s_mov_b32 s61, s8
	s_set_inst_prefetch_distance 0x1
	.p2align	6
.LBB29_172:                             ;   Parent Loop BB29_11 Depth=1
                                        ;     Parent Loop BB29_170 Depth=2
                                        ; =>    This Inner Loop Header: Depth=3
	v_add_nc_u32_e32 v2, s7, v1
	s_add_u32 s62, s50, s27
	s_addc_u32 s63, s51, s57
	global_load_b32 v21, v11, s[50:51] offset:16
	s_add_i32 s61, s61, -1
	v_ashrrev_i32_e32 v3, 31, v2
	s_add_u32 s50, s50, s52
	s_addc_u32 s51, s51, s53
	s_delay_alu instid0(VALU_DEP_1) | instskip(NEXT) | instid1(VALU_DEP_1)
	v_lshlrev_b64 v[19:20], 2, v[2:3]
	v_add_co_u32 v19, vcc_lo, s47, v19
	s_delay_alu instid0(VALU_DEP_2)
	v_add_co_ci_u32_e32 v20, vcc_lo, s54, v20, vcc_lo
	global_load_b32 v22, v11, s[62:63]
	flat_load_b32 v23, v[19:20]
	v_add_nc_u32_e32 v19, s7, v4
	s_add_i32 s7, s7, s60
	s_cmp_eq_u32 s61, 0
	s_waitcnt vmcnt(0) lgkmcnt(0)
	v_mul_f32_e32 v24, v23, v22
	v_ashrrev_i32_e32 v20, 31, v19
	s_delay_alu instid0(VALU_DEP_2) | instskip(NEXT) | instid1(VALU_DEP_2)
	v_fma_f32 v24, v6, v21, -v24
	v_lshlrev_b64 v[19:20], 2, v[19:20]
	v_mul_f32_e32 v6, v6, v22
	s_delay_alu instid0(VALU_DEP_1) | instskip(NEXT) | instid1(VALU_DEP_3)
	v_fmac_f32_e32 v6, v23, v21
	v_add_co_u32 v19, vcc_lo, s47, v19
	s_delay_alu instid0(VALU_DEP_4)
	v_add_co_ci_u32_e32 v20, vcc_lo, s54, v20, vcc_lo
	flat_store_b32 v[19:20], v24
	s_cbranch_scc0 .LBB29_172
	s_branch .LBB29_169
.LBB29_173:                             ;   in Loop: Header=BB29_11 Depth=1
	s_or_b32 exec_lo, exec_lo, s16
	s_delay_alu instid0(SALU_CYCLE_1)
	s_and_not1_b32 vcc_lo, exec_lo, s79
	s_cbranch_vccnz .LBB29_10
.LBB29_174:                             ;   in Loop: Header=BB29_11 Depth=1
	s_and_saveexec_b32 s50, s6
	s_cbranch_execz .LBB29_9
; %bb.175:                              ;   in Loop: Header=BB29_11 Depth=1
	s_load_b32 s7, s[40:41], 0xc
	s_add_u32 s51, s34, s44
	s_addc_u32 s53, s35, s45
	s_add_i32 s16, s8, -1
	s_cmp_eq_u32 s46, 0
	v_mov_b32_e32 v19, v0
	s_cselect_b32 s27, s16, 0
	s_cselect_b32 s16, s8, 0
	s_add_i32 s42, s27, s9
	s_cmp_gt_i32 s8, 0
	v_add_nc_u32_e32 v1, s16, v10
	s_cselect_b32 s9, -1, 0
	s_ashr_i32 s43, s42, 31
	s_lshl_b64 s[54:55], s[48:49], 2
	s_lshl_b64 s[42:43], s[42:43], 2
	s_mov_b32 s52, 0
	s_waitcnt lgkmcnt(0)
	s_and_b32 s48, s7, 0xffff
	s_add_u32 s7, s54, s42
	s_addc_u32 s56, s55, s43
	s_add_u32 s49, s80, s7
	s_addc_u32 s54, s81, s56
	s_lshl_b32 s57, s46, 1
	s_ashr_i32 s27, s26, 31
	s_add_i32 s42, s57, -2
	s_lshl_b64 s[46:47], s[26:27], 2
	s_ashr_i32 s43, s42, 31
	v_add3_u32 v3, s57, s16, v13
	s_lshl_b64 s[26:27], s[42:43], 2
	s_mul_i32 s55, s31, s48
	s_or_b32 s26, s26, 4
	s_add_u32 s7, s7, s46
	s_addc_u32 s46, s56, s47
	s_sub_u32 s7, s7, s44
	s_subb_u32 s44, s46, s45
	s_add_u32 s56, s90, s7
	s_addc_u32 s57, s91, s44
	s_not_b64 s[44:45], s[42:43]
	s_or_b32 s42, s42, 1
	s_branch .LBB29_177
.LBB29_176:                             ;   in Loop: Header=BB29_177 Depth=2
	v_lshlrev_b64 v[4:5], 2, v[5:6]
	v_add_nc_u32_e32 v19, s48, v19
	v_add_nc_u32_e32 v1, s55, v1
	;; [unrolled: 1-line block ×3, first 2 shown]
	s_delay_alu instid0(VALU_DEP_3) | instskip(SKIP_1) | instid1(VALU_DEP_1)
	v_cmp_le_i32_e32 vcc_lo, s23, v19
	v_add_co_u32 v4, s7, s51, v4
	v_add_co_ci_u32_e64 v5, s7, s53, v5, s7
	s_or_b32 s52, vcc_lo, s52
	s_waitcnt vmcnt(0) lgkmcnt(0)
	flat_store_b32 v[4:5], v20
	s_and_not1_b32 exec_lo, exec_lo, s52
	s_cbranch_execz .LBB29_9
.LBB29_177:                             ;   Parent Loop BB29_11 Depth=1
                                        ; =>  This Loop Header: Depth=2
                                        ;       Child Loop BB29_179 Depth 3
	v_mad_u64_u32 v[5:6], null, v19, s31, s[16:17]
	s_delay_alu instid0(VALU_DEP_1) | instskip(NEXT) | instid1(VALU_DEP_1)
	v_ashrrev_i32_e32 v6, 31, v5
	v_lshlrev_b64 v[20:21], 2, v[5:6]
	s_delay_alu instid0(VALU_DEP_1) | instskip(NEXT) | instid1(VALU_DEP_2)
	v_add_co_u32 v20, vcc_lo, s51, v20
	v_add_co_ci_u32_e32 v21, vcc_lo, s53, v21, vcc_lo
	s_and_not1_b32 vcc_lo, exec_lo, s9
	flat_load_b32 v20, v[20:21]
	s_cbranch_vccnz .LBB29_176
; %bb.178:                              ;   in Loop: Header=BB29_177 Depth=2
	v_ashrrev_i32_e32 v2, 31, v1
	v_ashrrev_i32_e32 v4, 31, v3
	v_add_co_u32 v5, vcc_lo, s44, v3
	s_mov_b64 s[46:47], 0
	s_delay_alu instid0(VALU_DEP_3) | instskip(NEXT) | instid1(VALU_DEP_3)
	v_lshlrev_b64 v[21:22], 2, v[1:2]
	v_lshlrev_b64 v[23:24], 2, v[3:4]
	v_add_co_ci_u32_e32 v6, vcc_lo, s45, v4, vcc_lo
	s_mov_b32 s7, s8
	s_delay_alu instid0(VALU_DEP_3) | instskip(NEXT) | instid1(VALU_DEP_4)
	v_add_co_u32 v2, vcc_lo, s51, v21
	v_add_co_ci_u32_e32 v4, vcc_lo, s53, v22, vcc_lo
	s_delay_alu instid0(VALU_DEP_4)
	v_add_co_u32 v21, vcc_lo, s51, v23
	v_add_co_ci_u32_e32 v22, vcc_lo, s53, v24, vcc_lo
	.p2align	6
.LBB29_179:                             ;   Parent Loop BB29_11 Depth=1
                                        ;     Parent Loop BB29_177 Depth=2
                                        ; =>    This Inner Loop Header: Depth=3
	s_delay_alu instid0(VALU_DEP_2) | instskip(NEXT) | instid1(VALU_DEP_2)
	v_add_co_u32 v23, vcc_lo, v21, s46
	v_add_co_ci_u32_e32 v24, vcc_lo, s47, v22, vcc_lo
	s_add_u32 s58, s49, s46
	s_addc_u32 s59, s54, s47
	s_add_u32 s60, s56, s46
	s_addc_u32 s61, s57, s47
	global_load_b32 v25, v11, s[58:59] offset:16
	flat_load_b32 v26, v[23:24]
	global_load_b32 v27, v11, s[60:61]
	v_add_co_u32 v23, vcc_lo, v2, s46
	v_add_co_ci_u32_e32 v24, vcc_lo, s47, v4, vcc_lo
	v_add_co_u32 v5, vcc_lo, v5, s42
	v_add_co_ci_u32_e32 v6, vcc_lo, s43, v6, vcc_lo
	s_add_i32 s7, s7, -1
	s_add_u32 s46, s46, s26
	s_addc_u32 s47, s47, s27
	s_cmp_eq_u32 s7, 0
	s_waitcnt vmcnt(0) lgkmcnt(0)
	v_mul_f32_e32 v28, v26, v27
	s_delay_alu instid0(VALU_DEP_1)
	v_fma_f32 v28, v20, v25, -v28
	v_mul_f32_e32 v20, v20, v27
	flat_store_b32 v[23:24], v28
	v_fmac_f32_e32 v20, v26, v25
	s_cbranch_scc0 .LBB29_179
	s_branch .LBB29_176
.LBB29_180:                             ;   in Loop: Header=BB29_11 Depth=1
	s_ashr_i32 s51, s50, 31
	s_delay_alu instid0(SALU_CYCLE_1) | instskip(NEXT) | instid1(SALU_CYCLE_1)
	s_lshl_b64 s[58:59], s[50:51], 2
	s_add_u32 s58, s64, s58
	s_addc_u32 s59, s65, s59
	global_load_b32 v2, v11, s[58:59] offset:-4
	s_waitcnt vmcnt(0)
	v_mul_f32_e32 v3, v5, v2
	v_mul_f32_e64 v2, v2, -v4
	global_store_b32 v11, v3, s[58:59] offset:-4
	s_and_b32 s7, s73, s95
	s_delay_alu instid0(SALU_CYCLE_1)
	v_cndmask_b32_e64 v3, 0, 1, s7
	s_and_not1_b32 vcc_lo, exec_lo, s7
	s_cbranch_vccnz .LBB29_121
.LBB29_181:                             ;   in Loop: Header=BB29_11 Depth=1
	s_add_u32 s58, s53, s62
	s_addc_u32 s59, s57, s63
	s_ashr_i32 s55, s54, 31
	s_delay_alu instid0(SALU_CYCLE_1) | instskip(NEXT) | instid1(SALU_CYCLE_1)
	s_lshl_b64 s[62:63], s[54:55], 2
	s_add_u32 s62, s58, s62
	s_addc_u32 s63, s59, s63
	s_clause 0x1
	global_store_b32 v11, v5, s[58:59] offset:-4
	global_store_b32 v11, v4, s[62:63] offset:-4
	s_xor_b32 s7, s93, -1
	s_delay_alu instid0(SALU_CYCLE_1) | instskip(NEXT) | instid1(SALU_CYCLE_1)
	s_or_b32 s7, s76, s7
	s_and_b32 vcc_lo, exec_lo, s7
	s_cbranch_vccz .LBB29_122
	s_branch .LBB29_123
.LBB29_182:
	s_endpgm
	.section	.rodata,"a",@progbits
	.p2align	6, 0x0
	.amdhsa_kernel _ZN9rocsolver6v33100L13bdsqr_computeILi256EffPfS2_S2_EEviiiiPT1_lS4_lT2_iilT3_iilT4_iiliS3_S3_S3_S3_PiS4_ilS8_
		.amdhsa_group_segment_fixed_size 1040
		.amdhsa_private_segment_fixed_size 0
		.amdhsa_kernarg_size 440
		.amdhsa_user_sgpr_count 13
		.amdhsa_user_sgpr_dispatch_ptr 0
		.amdhsa_user_sgpr_queue_ptr 0
		.amdhsa_user_sgpr_kernarg_segment_ptr 1
		.amdhsa_user_sgpr_dispatch_id 0
		.amdhsa_user_sgpr_private_segment_size 0
		.amdhsa_wavefront_size32 1
		.amdhsa_uses_dynamic_stack 0
		.amdhsa_enable_private_segment 0
		.amdhsa_system_sgpr_workgroup_id_x 1
		.amdhsa_system_sgpr_workgroup_id_y 1
		.amdhsa_system_sgpr_workgroup_id_z 1
		.amdhsa_system_sgpr_workgroup_info 0
		.amdhsa_system_vgpr_workitem_id 0
		.amdhsa_next_free_vgpr 29
		.amdhsa_next_free_sgpr 105
		.amdhsa_reserve_vcc 1
		.amdhsa_float_round_mode_32 0
		.amdhsa_float_round_mode_16_64 0
		.amdhsa_float_denorm_mode_32 3
		.amdhsa_float_denorm_mode_16_64 3
		.amdhsa_dx10_clamp 1
		.amdhsa_ieee_mode 1
		.amdhsa_fp16_overflow 0
		.amdhsa_workgroup_processor_mode 1
		.amdhsa_memory_ordered 1
		.amdhsa_forward_progress 0
		.amdhsa_shared_vgpr_count 0
		.amdhsa_exception_fp_ieee_invalid_op 0
		.amdhsa_exception_fp_denorm_src 0
		.amdhsa_exception_fp_ieee_div_zero 0
		.amdhsa_exception_fp_ieee_overflow 0
		.amdhsa_exception_fp_ieee_underflow 0
		.amdhsa_exception_fp_ieee_inexact 0
		.amdhsa_exception_int_div_zero 0
	.end_amdhsa_kernel
	.section	.text._ZN9rocsolver6v33100L13bdsqr_computeILi256EffPfS2_S2_EEviiiiPT1_lS4_lT2_iilT3_iilT4_iiliS3_S3_S3_S3_PiS4_ilS8_,"axG",@progbits,_ZN9rocsolver6v33100L13bdsqr_computeILi256EffPfS2_S2_EEviiiiPT1_lS4_lT2_iilT3_iilT4_iiliS3_S3_S3_S3_PiS4_ilS8_,comdat
.Lfunc_end29:
	.size	_ZN9rocsolver6v33100L13bdsqr_computeILi256EffPfS2_S2_EEviiiiPT1_lS4_lT2_iilT3_iilT4_iiliS3_S3_S3_S3_PiS4_ilS8_, .Lfunc_end29-_ZN9rocsolver6v33100L13bdsqr_computeILi256EffPfS2_S2_EEviiiiPT1_lS4_lT2_iilT3_iilT4_iiliS3_S3_S3_S3_PiS4_ilS8_
                                        ; -- End function
	.section	.AMDGPU.csdata,"",@progbits
; Kernel info:
; codeLenInByte = 9716
; NumSgprs: 107
; NumVgprs: 29
; ScratchSize: 0
; MemoryBound: 0
; FloatMode: 240
; IeeeMode: 1
; LDSByteSize: 1040 bytes/workgroup (compile time only)
; SGPRBlocks: 13
; VGPRBlocks: 3
; NumSGPRsForWavesPerEU: 107
; NumVGPRsForWavesPerEU: 29
; Occupancy: 16
; WaveLimiterHint : 1
; COMPUTE_PGM_RSRC2:SCRATCH_EN: 0
; COMPUTE_PGM_RSRC2:USER_SGPR: 13
; COMPUTE_PGM_RSRC2:TRAP_HANDLER: 0
; COMPUTE_PGM_RSRC2:TGID_X_EN: 1
; COMPUTE_PGM_RSRC2:TGID_Y_EN: 1
; COMPUTE_PGM_RSRC2:TGID_Z_EN: 1
; COMPUTE_PGM_RSRC2:TIDIG_COMP_CNT: 0
	.section	.text._ZN9rocsolver6v33100L12bdsqr_rotateIffPfS2_S2_EEviiiiT1_iilT2_iilT3_iiliPiPT0_ilS6_,"axG",@progbits,_ZN9rocsolver6v33100L12bdsqr_rotateIffPfS2_S2_EEviiiiT1_iilT2_iilT3_iiliPiPT0_ilS6_,comdat
	.globl	_ZN9rocsolver6v33100L12bdsqr_rotateIffPfS2_S2_EEviiiiT1_iilT2_iilT3_iiliPiPT0_ilS6_ ; -- Begin function _ZN9rocsolver6v33100L12bdsqr_rotateIffPfS2_S2_EEviiiiT1_iilT2_iilT3_iiliPiPT0_ilS6_
	.p2align	8
	.type	_ZN9rocsolver6v33100L12bdsqr_rotateIffPfS2_S2_EEviiiiT1_iilT2_iilT3_iiliPiPT0_ilS6_,@function
_ZN9rocsolver6v33100L12bdsqr_rotateIffPfS2_S2_EEviiiiT1_iilT2_iilT3_iiliPiPT0_ilS6_: ; @_ZN9rocsolver6v33100L12bdsqr_rotateIffPfS2_S2_EEviiiiT1_iilT2_iilT3_iiliPiPT0_ilS6_
; %bb.0:
	s_load_b128 s[16:19], s[0:1], 0x78
	s_mov_b32 s26, s15
	s_ashr_i32 s27, s15, 31
	s_delay_alu instid0(SALU_CYCLE_1)
	s_lshl_b64 s[2:3], s[26:27], 2
	s_waitcnt lgkmcnt(0)
	s_add_u32 s2, s18, s2
	s_addc_u32 s3, s19, s3
	s_load_b32 s2, s[2:3], 0x8
	s_waitcnt lgkmcnt(0)
	s_cmp_lg_u32 s2, 0
	s_cbranch_scc1 .LBB30_25
; %bb.1:
	s_load_b256 s[4:11], s[0:1], 0x10
	s_add_u32 s24, s0, 0x88
	s_addc_u32 s25, s1, 0
	s_mov_b64 s[2:3], 0
	s_mov_b64 s[18:19], 0
	s_waitcnt lgkmcnt(0)
	s_cmp_eq_u64 s[4:5], 0
	s_cbranch_scc1 .LBB30_3
; %bb.2:
	s_mul_i32 s9, s26, s9
	s_mul_hi_u32 s12, s26, s8
	s_mul_i32 s15, s27, s8
	s_add_i32 s9, s12, s9
	s_mul_i32 s8, s26, s8
	s_add_i32 s9, s9, s15
	s_ashr_i32 s19, s6, 31
	s_lshl_b64 s[8:9], s[8:9], 2
	s_mov_b32 s18, s6
	s_add_u32 s6, s4, s8
	s_addc_u32 s8, s5, s9
	s_lshl_b64 s[4:5], s[18:19], 2
	s_delay_alu instid0(SALU_CYCLE_1)
	s_add_u32 s18, s6, s4
	s_addc_u32 s19, s8, s5
.LBB30_3:
	s_clause 0x1
	s_load_b64 s[4:5], s[0:1], 0x30
	s_load_b128 s[20:23], s[0:1], 0x38
	s_cmp_eq_u64 s[10:11], 0
	s_cbranch_scc1 .LBB30_5
; %bb.4:
	s_waitcnt lgkmcnt(0)
	s_mul_i32 s2, s26, s21
	s_mul_hi_u32 s3, s26, s20
	s_mul_i32 s6, s27, s20
	s_add_i32 s2, s3, s2
	s_ashr_i32 s9, s4, 31
	s_add_i32 s3, s2, s6
	s_mul_i32 s2, s26, s20
	s_mov_b32 s8, s4
	s_lshl_b64 s[2:3], s[2:3], 2
	s_delay_alu instid0(SALU_CYCLE_1) | instskip(SKIP_2) | instid1(SALU_CYCLE_1)
	s_add_u32 s4, s10, s2
	s_addc_u32 s6, s11, s3
	s_lshl_b64 s[2:3], s[8:9], 2
	s_add_u32 s2, s4, s2
	s_addc_u32 s3, s6, s3
.LBB30_5:
	s_load_b64 s[28:29], s[0:1], 0x48
	s_waitcnt lgkmcnt(0)
	s_cmp_eq_u64 s[22:23], 0
	s_mov_b64 s[20:21], 0
	s_cbranch_scc1 .LBB30_7
; %bb.6:
	s_load_b64 s[8:9], s[0:1], 0x50
	s_ashr_i32 s11, s28, 31
	s_mov_b32 s10, s28
	s_waitcnt lgkmcnt(0)
	s_mul_i32 s4, s26, s9
	s_mul_hi_u32 s6, s26, s8
	s_mul_i32 s9, s27, s8
	s_add_i32 s4, s6, s4
	s_mul_i32 s8, s26, s8
	s_add_i32 s9, s4, s9
	s_delay_alu instid0(SALU_CYCLE_1) | instskip(NEXT) | instid1(SALU_CYCLE_1)
	s_lshl_b64 s[8:9], s[8:9], 2
	s_add_u32 s4, s22, s8
	s_addc_u32 s6, s23, s9
	s_lshl_b64 s[8:9], s[10:11], 2
	s_delay_alu instid0(SALU_CYCLE_1)
	s_add_u32 s20, s4, s8
	s_addc_u32 s21, s6, s9
.LBB30_7:
	s_load_b128 s[8:11], s[0:1], 0x60
	s_mul_i32 s4, s26, s17
	s_mul_hi_u32 s6, s26, s16
	s_delay_alu instid0(SALU_CYCLE_1) | instskip(SKIP_3) | instid1(SALU_CYCLE_1)
	s_add_i32 s4, s6, s4
	s_mul_i32 s6, s27, s16
	s_mul_i32 s16, s26, s16
	s_add_i32 s17, s4, s6
	s_lshl_b64 s[16:17], s[16:17], 2
	s_waitcnt lgkmcnt(0)
	s_add_u32 s22, s10, s16
	s_addc_u32 s23, s11, s17
	s_load_b32 s4, s[22:23], 0x8
	s_waitcnt lgkmcnt(0)
	v_cvt_i32_f32_e32 v6, s4
	s_delay_alu instid0(VALU_DEP_1)
	v_cmp_ge_i32_e32 vcc_lo, s14, v6
	s_cbranch_vccnz .LBB30_25
; %bb.8:
	s_clause 0x3
	s_load_b128 s[36:39], s[0:1], 0x0
	s_load_b32 s6, s[0:1], 0x94
	s_load_b32 s4, s[0:1], 0x58
	;; [unrolled: 1-line block ×4, first 2 shown]
	v_mov_b32_e32 v8, 0
	s_waitcnt lgkmcnt(0)
	s_mul_i32 s0, s26, s36
	s_delay_alu instid0(SALU_CYCLE_1) | instskip(NEXT) | instid1(SALU_CYCLE_1)
	s_lshl_b32 s0, s0, 1
	s_ashr_i32 s1, s0, 31
	s_delay_alu instid0(SALU_CYCLE_1) | instskip(NEXT) | instid1(SALU_CYCLE_1)
	s_lshl_b64 s[0:1], s[0:1], 2
	s_add_u32 s22, s8, s0
	s_addc_u32 s23, s9, s1
	s_and_b32 s0, 0xffff, s6
	s_cmp_eq_u32 s37, 0
	v_mad_u64_u32 v[1:2], null, s13, s0, v[0:1]
	s_cselect_b32 s26, -1, 0
	s_cmp_lg_u64 s[18:19], 0
	s_cselect_b32 s1, -1, 0
	s_delay_alu instid0(VALU_DEP_1)
	v_cmp_gt_i32_e32 vcc_lo, s37, v1
	v_cmp_gt_i32_e64 s0, s38, v1
	v_mul_lo_u32 v0, v1, s7
	v_mul_lo_u32 v7, v1, s29
	s_and_b32 s25, vcc_lo, s1
	s_cmp_lg_u64 s[2:3], 0
	v_cmp_gt_i32_e32 vcc_lo, s39, v1
	s_cselect_b32 s1, -1, 0
	s_delay_alu instid0(SALU_CYCLE_1) | instskip(SKIP_2) | instid1(SALU_CYCLE_1)
	s_and_b32 s27, s0, s1
	s_cmp_lg_u64 s[20:21], 0
	s_cselect_b32 s0, -1, 0
	s_and_b32 s28, vcc_lo, s0
	s_add_u32 s29, s10, s16
	s_addc_u32 s30, s11, s17
	s_add_u32 s31, s29, 20
	s_addc_u32 s33, s30, 0
	s_branch .LBB30_12
.LBB30_9:                               ;   in Loop: Header=BB30_12 Depth=1
	v_sub_co_u32 v2, vcc_lo, v4, s6
	v_subrev_co_ci_u32_e32 v3, vcc_lo, s7, v5, vcc_lo
	s_add_u32 s0, s8, s20
	s_addc_u32 s1, s9, s21
	s_delay_alu instid0(VALU_DEP_2) | instskip(NEXT) | instid1(VALU_DEP_2)
	v_add_co_u32 v2, vcc_lo, s0, v2
	v_add_co_ci_u32_e32 v3, vcc_lo, s1, v3, vcc_lo
	flat_store_b32 v[2:3], v9
.LBB30_10:                              ;   in Loop: Header=BB30_12 Depth=1
	s_or_b32 exec_lo, exec_lo, s12
.LBB30_11:                              ;   in Loop: Header=BB30_12 Depth=1
	s_add_i32 s14, s24, s14
	s_delay_alu instid0(SALU_CYCLE_1)
	v_cmp_lt_i32_e32 vcc_lo, s14, v6
	s_cbranch_vccz .LBB30_25
.LBB30_12:                              ; =>This Loop Header: Depth=1
                                        ;     Child Loop BB30_16 Depth 2
                                        ;     Child Loop BB30_20 Depth 2
	;; [unrolled: 1-line block ×3, first 2 shown]
	s_lshl_b32 s0, s14, 2
	s_delay_alu instid0(SALU_CYCLE_1) | instskip(NEXT) | instid1(SALU_CYCLE_1)
	s_ashr_i32 s1, s0, 31
	s_lshl_b64 s[0:1], s[0:1], 2
	s_delay_alu instid0(SALU_CYCLE_1)
	s_add_u32 s0, s22, s0
	s_addc_u32 s1, s23, s1
	s_clause 0x1
	s_load_b64 s[6:7], s[0:1], 0x0
	s_load_b32 s10, s[0:1], 0x8
	s_waitcnt lgkmcnt(0)
	s_cmp_le_i32 s10, s7
	s_cbranch_scc1 .LBB30_11
; %bb.13:                               ;   in Loop: Header=BB30_12 Depth=1
	s_load_b32 s0, s[0:1], 0xc
	s_waitcnt lgkmcnt(0)
	s_cmp_lt_i32 s0, s4
	s_cselect_b32 s0, -1, 0
	s_cmp_lg_u32 s6, 0
	s_cselect_b32 s1, -1, 0
	s_delay_alu instid0(SALU_CYCLE_1) | instskip(NEXT) | instid1(SALU_CYCLE_1)
	s_and_b32 s0, s0, s1
	s_and_not1_b32 vcc_lo, exec_lo, s0
	s_cbranch_vccnz .LBB30_11
; %bb.14:                               ;   in Loop: Header=BB30_12 Depth=1
	s_mul_i32 s8, s7, s15
	s_delay_alu instid0(SALU_CYCLE_1)
	s_ashr_i32 s9, s8, 31
	s_cmp_gt_i32 s6, 0
	s_cselect_b32 s34, -1, 0
	s_sub_i32 s0, s10, s7
	s_and_saveexec_b32 s1, s25
	s_cbranch_execz .LBB30_18
; %bb.15:                               ;   in Loop: Header=BB30_12 Depth=1
	s_and_b32 s11, s34, exec_lo
	s_cselect_b32 s11, s7, s10
	s_delay_alu instid0(SALU_CYCLE_1)
	v_add_nc_u32_e32 v4, s11, v0
	s_add_i32 s11, s0, -1
	s_and_b32 s12, s34, exec_lo
	s_cselect_b32 s12, 0, s11
	s_lshl_b64 s[16:17], s[8:9], 2
	v_ashrrev_i32_e32 v5, 31, v4
	s_ashr_i32 s13, s12, 31
	s_delay_alu instid0(SALU_CYCLE_1) | instskip(NEXT) | instid1(SALU_CYCLE_1)
	s_lshl_b64 s[12:13], s[12:13], 2
	s_add_u32 s37, s12, s16
	s_delay_alu instid0(VALU_DEP_1)
	v_lshlrev_b64 v[2:3], 2, v[4:5]
	v_add_nc_u32_e32 v4, s6, v4
	s_addc_u32 s38, s13, s17
	s_add_u32 s35, s29, s37
	s_addc_u32 s36, s30, s38
	s_ashr_i32 s11, s10, 31
	v_add_co_u32 v2, vcc_lo, s18, v2
	v_add_co_ci_u32_e32 v3, vcc_lo, s19, v3, vcc_lo
	v_ashrrev_i32_e32 v5, 31, v4
	s_ashr_i32 s13, s6, 31
	s_mov_b32 s12, s6
	flat_load_b32 v9, v[2:3]
	s_lshl_b64 s[16:17], s[10:11], 2
	v_lshlrev_b64 v[4:5], 2, v[4:5]
	s_lshl_b64 s[12:13], s[12:13], 2
	s_add_u32 s11, s37, s16
	s_addc_u32 s37, s38, s17
	s_ashr_i32 s17, s7, 31
	s_mov_b32 s16, s7
	v_add_co_u32 v10, vcc_lo, s18, v4
	s_lshl_b64 s[16:17], s[16:17], 2
	v_add_co_ci_u32_e32 v11, vcc_lo, s19, v5, vcc_lo
	s_sub_u32 s11, s11, s16
	s_subb_u32 s16, s37, s17
	s_add_u32 s11, s31, s11
	s_addc_u32 s37, s33, s16
	s_mov_b64 s[16:17], 0
	s_mov_b32 s38, s0
	.p2align	6
.LBB30_16:                              ;   Parent Loop BB30_12 Depth=1
                                        ; =>  This Inner Loop Header: Depth=2
	v_add_co_u32 v12, vcc_lo, v10, s16
	v_add_co_ci_u32_e32 v13, vcc_lo, s17, v11, vcc_lo
	s_add_u32 s40, s35, s16
	s_addc_u32 s41, s36, s17
	s_add_u32 s42, s11, s16
	s_addc_u32 s43, s37, s17
	global_load_b32 v14, v8, s[40:41] offset:16
	flat_load_b32 v15, v[12:13]
	global_load_b32 v13, v8, s[42:43]
	v_add_co_u32 v12, vcc_lo, v2, s16
	s_add_i32 s38, s38, -1
	s_add_u32 s16, s16, s12
	s_waitcnt vmcnt(0) lgkmcnt(0)
	v_mul_f32_e32 v16, v15, v13
	s_delay_alu instid0(VALU_DEP_1) | instskip(SKIP_4) | instid1(VALU_DEP_2)
	v_fma_f32 v16, v9, v14, -v16
	v_mul_f32_e32 v9, v9, v13
	v_add_co_ci_u32_e32 v13, vcc_lo, s17, v3, vcc_lo
	s_addc_u32 s17, s17, s13
	s_cmp_eq_u32 s38, 0
	v_fmac_f32_e32 v9, v15, v14
	flat_store_b32 v[12:13], v16
	s_cbranch_scc0 .LBB30_16
; %bb.17:                               ;   in Loop: Header=BB30_12 Depth=1
	v_sub_co_u32 v2, vcc_lo, v4, s12
	v_subrev_co_ci_u32_e32 v3, vcc_lo, s13, v5, vcc_lo
	s_add_u32 s11, s16, s18
	s_addc_u32 s12, s17, s19
	s_delay_alu instid0(VALU_DEP_2) | instskip(NEXT) | instid1(VALU_DEP_2)
	v_add_co_u32 v2, vcc_lo, s11, v2
	v_add_co_ci_u32_e32 v3, vcc_lo, s12, v3, vcc_lo
	flat_store_b32 v[2:3], v9
.LBB30_18:                              ;   in Loop: Header=BB30_12 Depth=1
	s_or_b32 exec_lo, exec_lo, s1
	s_lshl_b32 s1, s0, 1
	s_delay_alu instid0(SALU_CYCLE_1)
	s_add_i32 s1, s1, 2
	s_and_b32 s11, s26, exec_lo
	s_cselect_b32 s11, 0, s1
	s_and_saveexec_b32 s35, s27
	s_cbranch_execz .LBB30_22
; %bb.19:                               ;   in Loop: Header=BB30_12 Depth=1
	s_and_b32 s1, s34, exec_lo
	s_cselect_b32 s40, s7, s10
	s_add_i32 s1, s0, -1
	s_mul_i32 s36, s40, s5
	s_and_b32 s12, s34, exec_lo
	v_dual_mov_b32 v5, v1 :: v_dual_add_nc_u32 v2, s36, v1
	s_cselect_b32 s1, 0, s1
	s_lshl_b64 s[16:17], s[8:9], 2
	s_add_i32 s12, s11, s1
	s_delay_alu instid0(VALU_DEP_1) | instskip(SKIP_3) | instid1(SALU_CYCLE_1)
	v_ashrrev_i32_e32 v3, 31, v2
	s_ashr_i32 s13, s12, 31
	s_ashr_i32 s1, s0, 31
	s_lshl_b64 s[12:13], s[12:13], 2
	s_add_u32 s12, s16, s12
	v_lshlrev_b64 v[2:3], 2, v[2:3]
	s_addc_u32 s13, s17, s13
	s_add_u32 s12, s29, s12
	s_addc_u32 s13, s30, s13
	s_ashr_i32 s17, s6, 31
	s_mov_b32 s16, s6
	v_add_co_u32 v2, vcc_lo, s2, v2
	v_add_co_ci_u32_e32 v3, vcc_lo, s3, v3, vcc_lo
	s_lshl_b64 s[38:39], s[0:1], 2
	s_lshl_b64 s[16:17], s[16:17], 2
	s_add_u32 s1, s38, 20
	flat_load_b32 v4, v[2:3]
	s_addc_u32 s37, s39, 0
	s_add_i32 s40, s40, s6
	s_mul_i32 s39, s5, s6
	s_mul_i32 s38, s5, s40
	s_mov_b32 s40, s0
	s_set_inst_prefetch_distance 0x1
	.p2align	6
.LBB30_20:                              ;   Parent Loop BB30_12 Depth=1
                                        ; =>  This Inner Loop Header: Depth=2
	v_add_nc_u32_e32 v2, s38, v5
	s_add_u32 s42, s12, s1
	s_addc_u32 s43, s13, s37
	global_load_b32 v11, v8, s[12:13] offset:16
	s_add_i32 s40, s40, -1
	v_ashrrev_i32_e32 v3, 31, v2
	s_add_u32 s12, s12, s16
	s_addc_u32 s13, s13, s17
	s_cmp_eq_u32 s40, 0
	s_delay_alu instid0(VALU_DEP_1) | instskip(NEXT) | instid1(VALU_DEP_1)
	v_lshlrev_b64 v[2:3], 2, v[2:3]
	v_add_co_u32 v2, vcc_lo, s2, v2
	s_delay_alu instid0(VALU_DEP_2)
	v_add_co_ci_u32_e32 v3, vcc_lo, s3, v3, vcc_lo
	global_load_b32 v12, v8, s[42:43]
	flat_load_b32 v13, v[2:3]
	v_add_nc_u32_e32 v9, s36, v5
	s_waitcnt vmcnt(0) lgkmcnt(0)
	v_dual_mul_f32 v14, v13, v12 :: v_dual_add_nc_u32 v5, s39, v5
	s_delay_alu instid0(VALU_DEP_2) | instskip(NEXT) | instid1(VALU_DEP_2)
	v_ashrrev_i32_e32 v10, 31, v9
	v_fma_f32 v14, v4, v11, -v14
	v_mul_f32_e32 v4, v4, v12
	s_delay_alu instid0(VALU_DEP_3) | instskip(NEXT) | instid1(VALU_DEP_2)
	v_lshlrev_b64 v[9:10], 2, v[9:10]
	v_fmac_f32_e32 v4, v13, v11
	s_delay_alu instid0(VALU_DEP_2) | instskip(NEXT) | instid1(VALU_DEP_3)
	v_add_co_u32 v9, vcc_lo, s2, v9
	v_add_co_ci_u32_e32 v10, vcc_lo, s3, v10, vcc_lo
	flat_store_b32 v[9:10], v14
	s_cbranch_scc0 .LBB30_20
; %bb.21:                               ;   in Loop: Header=BB30_12 Depth=1
	s_set_inst_prefetch_distance 0x2
	flat_store_b32 v[2:3], v4
.LBB30_22:                              ;   in Loop: Header=BB30_12 Depth=1
	s_or_b32 exec_lo, exec_lo, s35
	s_and_saveexec_b32 s12, s28
	s_cbranch_execz .LBB30_10
; %bb.23:                               ;   in Loop: Header=BB30_12 Depth=1
	s_and_b32 s1, s34, exec_lo
	s_cselect_b32 s1, s7, s10
	s_delay_alu instid0(SALU_CYCLE_1)
	v_add_nc_u32_e32 v4, s1, v7
	s_add_i32 s1, s0, -1
	s_and_b32 s7, s34, exec_lo
	s_cselect_b32 s1, 0, s1
	s_lshl_b64 s[8:9], s[8:9], 2
	v_ashrrev_i32_e32 v5, 31, v4
	s_add_i32 s10, s11, s1
	s_ashr_i32 s1, s0, 31
	s_ashr_i32 s11, s10, 31
	s_delay_alu instid0(SALU_CYCLE_1)
	s_lshl_b64 s[10:11], s[10:11], 2
	v_lshlrev_b64 v[2:3], 2, v[4:5]
	v_add_nc_u32_e32 v4, s6, v4
	s_add_u32 s13, s8, s10
	s_addc_u32 s16, s9, s11
	s_add_u32 s10, s29, s13
	s_addc_u32 s11, s30, s16
	v_add_co_u32 v2, vcc_lo, s20, v2
	v_add_co_ci_u32_e32 v3, vcc_lo, s21, v3, vcc_lo
	v_ashrrev_i32_e32 v5, 31, v4
	s_ashr_i32 s7, s6, 31
	s_lshl_b64 s[8:9], s[0:1], 2
	flat_load_b32 v9, v[2:3]
	s_lshl_b64 s[6:7], s[6:7], 2
	v_lshlrev_b64 v[4:5], 2, v[4:5]
	s_add_u32 s1, s13, s8
	s_addc_u32 s8, s16, s9
	s_add_u32 s1, s31, s1
	s_addc_u32 s13, s33, s8
	s_mov_b64 s[8:9], 0
	v_add_co_u32 v10, vcc_lo, s20, v4
	v_add_co_ci_u32_e32 v11, vcc_lo, s21, v5, vcc_lo
	.p2align	6
.LBB30_24:                              ;   Parent Loop BB30_12 Depth=1
                                        ; =>  This Inner Loop Header: Depth=2
	s_delay_alu instid0(VALU_DEP_2) | instskip(NEXT) | instid1(VALU_DEP_2)
	v_add_co_u32 v12, vcc_lo, v10, s8
	v_add_co_ci_u32_e32 v13, vcc_lo, s9, v11, vcc_lo
	s_add_u32 s16, s10, s8
	s_addc_u32 s17, s11, s9
	s_add_u32 s34, s1, s8
	s_addc_u32 s35, s13, s9
	global_load_b32 v14, v8, s[16:17] offset:16
	flat_load_b32 v15, v[12:13]
	global_load_b32 v13, v8, s[34:35]
	v_add_co_u32 v12, vcc_lo, v2, s8
	s_add_i32 s0, s0, -1
	s_add_u32 s8, s8, s6
	s_waitcnt vmcnt(0) lgkmcnt(0)
	v_mul_f32_e32 v16, v15, v13
	s_delay_alu instid0(VALU_DEP_1) | instskip(SKIP_4) | instid1(VALU_DEP_2)
	v_fma_f32 v16, v9, v14, -v16
	v_mul_f32_e32 v9, v9, v13
	v_add_co_ci_u32_e32 v13, vcc_lo, s9, v3, vcc_lo
	s_addc_u32 s9, s9, s7
	s_cmp_eq_u32 s0, 0
	v_fmac_f32_e32 v9, v15, v14
	flat_store_b32 v[12:13], v16
	s_cbranch_scc0 .LBB30_24
	s_branch .LBB30_9
.LBB30_25:
	s_endpgm
	.section	.rodata,"a",@progbits
	.p2align	6, 0x0
	.amdhsa_kernel _ZN9rocsolver6v33100L12bdsqr_rotateIffPfS2_S2_EEviiiiT1_iilT2_iilT3_iiliPiPT0_ilS6_
		.amdhsa_group_segment_fixed_size 0
		.amdhsa_private_segment_fixed_size 0
		.amdhsa_kernarg_size 392
		.amdhsa_user_sgpr_count 13
		.amdhsa_user_sgpr_dispatch_ptr 0
		.amdhsa_user_sgpr_queue_ptr 0
		.amdhsa_user_sgpr_kernarg_segment_ptr 1
		.amdhsa_user_sgpr_dispatch_id 0
		.amdhsa_user_sgpr_private_segment_size 0
		.amdhsa_wavefront_size32 1
		.amdhsa_uses_dynamic_stack 0
		.amdhsa_enable_private_segment 0
		.amdhsa_system_sgpr_workgroup_id_x 1
		.amdhsa_system_sgpr_workgroup_id_y 1
		.amdhsa_system_sgpr_workgroup_id_z 1
		.amdhsa_system_sgpr_workgroup_info 0
		.amdhsa_system_vgpr_workitem_id 0
		.amdhsa_next_free_vgpr 17
		.amdhsa_next_free_sgpr 44
		.amdhsa_reserve_vcc 1
		.amdhsa_float_round_mode_32 0
		.amdhsa_float_round_mode_16_64 0
		.amdhsa_float_denorm_mode_32 3
		.amdhsa_float_denorm_mode_16_64 3
		.amdhsa_dx10_clamp 1
		.amdhsa_ieee_mode 1
		.amdhsa_fp16_overflow 0
		.amdhsa_workgroup_processor_mode 1
		.amdhsa_memory_ordered 1
		.amdhsa_forward_progress 0
		.amdhsa_shared_vgpr_count 0
		.amdhsa_exception_fp_ieee_invalid_op 0
		.amdhsa_exception_fp_denorm_src 0
		.amdhsa_exception_fp_ieee_div_zero 0
		.amdhsa_exception_fp_ieee_overflow 0
		.amdhsa_exception_fp_ieee_underflow 0
		.amdhsa_exception_fp_ieee_inexact 0
		.amdhsa_exception_int_div_zero 0
	.end_amdhsa_kernel
	.section	.text._ZN9rocsolver6v33100L12bdsqr_rotateIffPfS2_S2_EEviiiiT1_iilT2_iilT3_iiliPiPT0_ilS6_,"axG",@progbits,_ZN9rocsolver6v33100L12bdsqr_rotateIffPfS2_S2_EEviiiiT1_iilT2_iilT3_iiliPiPT0_ilS6_,comdat
.Lfunc_end30:
	.size	_ZN9rocsolver6v33100L12bdsqr_rotateIffPfS2_S2_EEviiiiT1_iilT2_iilT3_iiliPiPT0_ilS6_, .Lfunc_end30-_ZN9rocsolver6v33100L12bdsqr_rotateIffPfS2_S2_EEviiiiT1_iilT2_iilT3_iiliPiPT0_ilS6_
                                        ; -- End function
	.section	.AMDGPU.csdata,"",@progbits
; Kernel info:
; codeLenInByte = 1844
; NumSgprs: 46
; NumVgprs: 17
; ScratchSize: 0
; MemoryBound: 0
; FloatMode: 240
; IeeeMode: 1
; LDSByteSize: 0 bytes/workgroup (compile time only)
; SGPRBlocks: 5
; VGPRBlocks: 2
; NumSGPRsForWavesPerEU: 46
; NumVGPRsForWavesPerEU: 17
; Occupancy: 16
; WaveLimiterHint : 1
; COMPUTE_PGM_RSRC2:SCRATCH_EN: 0
; COMPUTE_PGM_RSRC2:USER_SGPR: 13
; COMPUTE_PGM_RSRC2:TRAP_HANDLER: 0
; COMPUTE_PGM_RSRC2:TGID_X_EN: 1
; COMPUTE_PGM_RSRC2:TGID_Y_EN: 1
; COMPUTE_PGM_RSRC2:TGID_Z_EN: 1
; COMPUTE_PGM_RSRC2:TIDIG_COMP_CNT: 0
	.section	.text._ZN9rocsolver6v33100L22bdsqr_update_endpointsIffEEviPT0_lPiS3_lS4_,"axG",@progbits,_ZN9rocsolver6v33100L22bdsqr_update_endpointsIffEEviPT0_lPiS3_lS4_,comdat
	.globl	_ZN9rocsolver6v33100L22bdsqr_update_endpointsIffEEviPT0_lPiS3_lS4_ ; -- Begin function _ZN9rocsolver6v33100L22bdsqr_update_endpointsIffEEviPT0_lPiS3_lS4_
	.p2align	8
	.type	_ZN9rocsolver6v33100L22bdsqr_update_endpointsIffEEviPT0_lPiS3_lS4_,@function
_ZN9rocsolver6v33100L22bdsqr_update_endpointsIffEEviPT0_lPiS3_lS4_: ; @_ZN9rocsolver6v33100L22bdsqr_update_endpointsIffEEviPT0_lPiS3_lS4_
; %bb.0:
	s_load_b128 s[16:19], s[0:1], 0x28
	s_mov_b32 s12, s15
	s_ashr_i32 s13, s15, 31
	s_delay_alu instid0(SALU_CYCLE_1)
	s_lshl_b64 s[2:3], s[12:13], 2
	s_waitcnt lgkmcnt(0)
	s_add_u32 s2, s18, s2
	s_addc_u32 s3, s19, s3
	s_load_b32 s2, s[2:3], 0x8
	s_waitcnt lgkmcnt(0)
	s_cmp_lg_u32 s2, 0
	s_cbranch_scc1 .LBB31_32
; %bb.1:
	s_load_b256 s[4:11], s[0:1], 0x8
	s_mul_i32 s2, s12, s17
	s_mul_hi_u32 s3, s12, s16
	s_delay_alu instid0(SALU_CYCLE_1) | instskip(SKIP_1) | instid1(SALU_CYCLE_1)
	s_add_i32 s2, s3, s2
	s_mul_i32 s3, s13, s16
	s_add_i32 s3, s2, s3
	s_mul_i32 s2, s12, s16
	s_delay_alu instid0(SALU_CYCLE_1)
	s_lshl_b64 s[2:3], s[2:3], 2
	s_waitcnt lgkmcnt(0)
	s_add_u32 s2, s10, s2
	s_addc_u32 s3, s11, s3
	s_load_b64 s[10:11], s[2:3], 0x4
	s_waitcnt lgkmcnt(0)
	v_cvt_i32_f32_e32 v4, s11
	s_delay_alu instid0(VALU_DEP_1)
	v_cmp_ge_i32_e32 vcc_lo, s14, v4
	s_cbranch_vccnz .LBB31_32
; %bb.2:
	s_load_b32 s16, s[0:1], 0x0
	s_mul_i32 s7, s12, s7
	s_mul_hi_u32 s11, s12, s6
	s_mul_i32 s13, s13, s6
	s_add_i32 s7, s11, s7
	s_load_b32 s11, s[0:1], 0x3c
	s_mul_i32 s6, s12, s6
	s_add_i32 s7, s7, s13
	v_cvt_f32_i32_e32 v5, v4
	s_lshl_b64 s[0:1], s[6:7], 2
	v_mov_b32_e32 v6, 0
	s_add_u32 s15, s4, s0
	s_addc_u32 s18, s5, s1
	s_waitcnt lgkmcnt(0)
	s_mul_i32 s0, s12, s16
	s_delay_alu instid0(SALU_CYCLE_1) | instskip(NEXT) | instid1(SALU_CYCLE_1)
	s_lshl_b32 s0, s0, 1
	s_ashr_i32 s1, s0, 31
	s_delay_alu instid0(SALU_CYCLE_1) | instskip(NEXT) | instid1(SALU_CYCLE_1)
	s_lshl_b64 s[0:1], s[0:1], 2
	s_add_u32 s19, s8, s0
	s_addc_u32 s20, s9, s1
	s_add_u32 s21, s15, -4
	s_addc_u32 s22, s18, -1
	s_branch .LBB31_5
.LBB31_3:                               ;   in Loop: Header=BB31_5 Depth=1
	s_mov_b32 s6, s8
.LBB31_4:                               ;   in Loop: Header=BB31_5 Depth=1
	s_add_i32 s14, s11, s14
	v_dual_mov_b32 v0, s6 :: v_dual_mov_b32 v1, s9
	v_cmp_lt_i32_e32 vcc_lo, s14, v4
	global_store_b64 v6, v[0:1], s[4:5] offset:4
	s_cbranch_vccz .LBB31_32
.LBB31_5:                               ; =>This Loop Header: Depth=1
                                        ;     Child Loop BB31_10 Depth 2
                                        ;     Child Loop BB31_15 Depth 2
	;; [unrolled: 1-line block ×3, first 2 shown]
                                        ;       Child Loop BB31_27 Depth 3
	s_lshl_b32 s0, s14, 2
	s_delay_alu instid0(SALU_CYCLE_1) | instskip(NEXT) | instid1(SALU_CYCLE_1)
	s_ashr_i32 s1, s0, 31
	s_lshl_b64 s[0:1], s[0:1], 2
	s_delay_alu instid0(SALU_CYCLE_1)
	s_add_u32 s4, s19, s0
	s_addc_u32 s5, s20, s1
	global_load_b128 v[0:3], v6, s[4:5]
	s_waitcnt vmcnt(0)
	v_cmp_eq_u32_e64 s0, 0, v0
	v_readfirstlane_b32 s12, v1
	v_readfirstlane_b32 s8, v2
	s_delay_alu instid0(VALU_DEP_3)
	s_and_b32 vcc_lo, exec_lo, s0
	s_cbranch_vccnz .LBB31_7
; %bb.6:                                ;   in Loop: Header=BB31_5 Depth=1
	s_delay_alu instid0(VALU_DEP_1) | instskip(NEXT) | instid1(SALU_CYCLE_1)
	s_sub_i32 s1, s8, s12
	v_add_nc_u32_e32 v3, s1, v3
	global_store_b32 v6, v3, s[4:5] offset:12
.LBB31_7:                               ;   in Loop: Header=BB31_5 Depth=1
	s_delay_alu instid0(VALU_DEP_1)
	s_cmp_le_i32 s8, s12
	s_cbranch_scc1 .LBB31_17
; %bb.8:                                ;   in Loop: Header=BB31_5 Depth=1
	s_ashr_i32 s13, s12, 31
	s_delay_alu instid0(SALU_CYCLE_1) | instskip(NEXT) | instid1(SALU_CYCLE_1)
	s_lshl_b64 s[6:7], s[12:13], 2
	s_add_u32 s16, s15, s6
	s_addc_u32 s17, s18, s7
	s_branch .LBB31_10
	.p2align	6
.LBB31_9:                               ;   in Loop: Header=BB31_10 Depth=2
	s_add_i32 s12, s12, 1
	global_store_b32 v6, v6, s[16:17]
	s_add_u32 s16, s16, 4
	s_addc_u32 s17, s17, 0
	s_cmp_ge_i32 s12, s8
	s_mov_b32 s6, s8
	s_cselect_b32 s1, -1, 0
	s_delay_alu instid0(SALU_CYCLE_1)
	s_and_not1_b32 vcc_lo, exec_lo, s1
	s_cbranch_vccz .LBB31_12
.LBB31_10:                              ;   Parent Loop BB31_5 Depth=1
                                        ; =>  This Inner Loop Header: Depth=2
	global_load_b32 v0, v6, s[16:17]
	s_waitcnt vmcnt(0)
	v_cmp_nlt_f32_e64 s1, |v0|, s10
	s_delay_alu instid0(VALU_DEP_1)
	s_and_b32 vcc_lo, exec_lo, s1
	s_mov_b32 s1, -1
	s_cbranch_vccz .LBB31_9
; %bb.11:                               ;   in Loop: Header=BB31_10 Depth=2
	s_mov_b32 s6, s12
                                        ; implicit-def: $sgpr12
                                        ; implicit-def: $sgpr16_sgpr17
	s_and_not1_b32 vcc_lo, exec_lo, s1
	s_cbranch_vccnz .LBB31_10
.LBB31_12:                              ;   in Loop: Header=BB31_5 Depth=1
	s_cmp_le_i32 s8, s6
	s_cbranch_scc1 .LBB31_18
.LBB31_13:                              ;   in Loop: Header=BB31_5 Depth=1
	s_ashr_i32 s9, s8, 31
	s_delay_alu instid0(SALU_CYCLE_1) | instskip(NEXT) | instid1(SALU_CYCLE_1)
	s_lshl_b64 s[12:13], s[8:9], 2
	s_add_u32 s12, s21, s12
	s_addc_u32 s13, s22, s13
	s_branch .LBB31_15
	.p2align	6
.LBB31_14:                              ;   in Loop: Header=BB31_15 Depth=2
	s_add_i32 s8, s8, -1
	global_store_b32 v6, v6, s[12:13]
	s_add_u32 s12, s12, -4
	s_addc_u32 s13, s13, -1
	s_cmp_le_i32 s8, s6
	s_mov_b32 s9, s6
	s_cselect_b32 s1, -1, 0
	s_delay_alu instid0(SALU_CYCLE_1)
	s_and_not1_b32 vcc_lo, exec_lo, s1
	s_cbranch_vccz .LBB31_19
.LBB31_15:                              ;   Parent Loop BB31_5 Depth=1
                                        ; =>  This Inner Loop Header: Depth=2
	global_load_b32 v0, v6, s[12:13]
	s_waitcnt vmcnt(0)
	v_cmp_nlt_f32_e64 s1, |v0|, s10
	s_delay_alu instid0(VALU_DEP_1)
	s_and_b32 vcc_lo, exec_lo, s1
	s_mov_b32 s1, -1
	s_cbranch_vccz .LBB31_14
; %bb.16:                               ;   in Loop: Header=BB31_15 Depth=2
	s_mov_b32 s9, s8
                                        ; implicit-def: $sgpr8
                                        ; implicit-def: $sgpr12_sgpr13
	s_and_not1_b32 vcc_lo, exec_lo, s1
	s_cbranch_vccnz .LBB31_15
	s_branch .LBB31_19
.LBB31_17:                              ;   in Loop: Header=BB31_5 Depth=1
	s_mov_b32 s6, s12
	s_delay_alu instid0(SALU_CYCLE_1)
	s_cmp_le_i32 s8, s6
	s_cbranch_scc0 .LBB31_13
.LBB31_18:                              ;   in Loop: Header=BB31_5 Depth=1
	s_mov_b32 s9, s8
.LBB31_19:                              ;   in Loop: Header=BB31_5 Depth=1
	s_delay_alu instid0(SALU_CYCLE_1) | instskip(SKIP_2) | instid1(SALU_CYCLE_1)
	s_cmp_lt_i32 s6, s9
	s_mov_b32 s8, s6
	s_cselect_b32 s1, -1, 0
	s_and_b32 s0, s0, s1
	s_delay_alu instid0(SALU_CYCLE_1)
	s_and_not1_b32 vcc_lo, exec_lo, s0
	s_cbranch_vccnz .LBB31_4
.LBB31_20:                              ;   Parent Loop BB31_5 Depth=1
                                        ; =>  This Loop Header: Depth=2
                                        ;       Child Loop BB31_27 Depth 3
	s_ashr_i32 s7, s6, 31
	s_mov_b32 s12, -1
	s_lshl_b64 s[0:1], s[6:7], 2
	s_delay_alu instid0(SALU_CYCLE_1) | instskip(SKIP_4) | instid1(VALU_DEP_1)
	s_add_u32 s0, s15, s0
	s_addc_u32 s1, s18, s1
	global_load_b32 v0, v6, s[0:1]
	s_waitcnt vmcnt(0)
	v_cmp_lt_f32_e64 s7, |v0|, s10
	s_and_b32 vcc_lo, exec_lo, s7
                                        ; implicit-def: $sgpr7
	s_cbranch_vccz .LBB31_23
; %bb.21:                               ;   in Loop: Header=BB31_20 Depth=2
	s_and_not1_b32 vcc_lo, exec_lo, s12
	s_cbranch_vccz .LBB31_24
.LBB31_22:                              ;   in Loop: Header=BB31_20 Depth=2
	s_cmp_lt_i32 s7, s9
	s_cbranch_scc1 .LBB31_31
	s_branch .LBB31_3
.LBB31_23:                              ;   in Loop: Header=BB31_20 Depth=2
	s_add_i32 s7, s6, 1
	s_cbranch_execnz .LBB31_22
.LBB31_24:                              ;   in Loop: Header=BB31_20 Depth=2
	s_cmp_ge_i32 s8, s6
	global_store_b32 v6, v6, s[0:1]
	s_cbranch_scc1 .LBB31_30
; %bb.25:                               ;   in Loop: Header=BB31_20 Depth=2
	s_mov_b32 s0, exec_lo
                                        ; implicit-def: $vgpr1
	s_delay_alu instid0(SALU_CYCLE_1) | instskip(NEXT) | instid1(VALU_DEP_1)
	v_mbcnt_lo_u32_b32 v0, s0, 0
	v_cmp_eq_u32_e32 vcc_lo, 0, v0
	s_and_saveexec_b32 s1, vcc_lo
	s_cbranch_execz .LBB31_29
; %bb.26:                               ;   in Loop: Header=BB31_20 Depth=2
	global_load_b32 v1, v6, s[2:3] offset:12
	s_bcnt1_i32_b32 s0, s0
	s_mov_b32 s7, 0
	v_cvt_f32_ubyte0_e32 v2, s0
.LBB31_27:                              ;   Parent Loop BB31_5 Depth=1
                                        ;     Parent Loop BB31_20 Depth=2
                                        ; =>    This Inner Loop Header: Depth=3
	s_waitcnt vmcnt(0)
	v_mov_b32_e32 v8, v1
	s_delay_alu instid0(VALU_DEP_1) | instskip(SKIP_3) | instid1(VALU_DEP_1)
	v_add_f32_e32 v7, v8, v2
	global_atomic_cmpswap_b32 v1, v6, v[7:8], s[2:3] offset:12 glc
	s_waitcnt vmcnt(0)
	v_cmp_eq_u32_e64 s0, v1, v8
	s_or_b32 s7, s0, s7
	s_delay_alu instid0(SALU_CYCLE_1)
	s_and_not1_b32 exec_lo, exec_lo, s7
	s_cbranch_execnz .LBB31_27
; %bb.28:                               ;   in Loop: Header=BB31_20 Depth=2
	s_or_b32 exec_lo, exec_lo, s7
.LBB31_29:                              ;   in Loop: Header=BB31_20 Depth=2
	s_delay_alu instid0(SALU_CYCLE_1) | instskip(SKIP_3) | instid1(VALU_DEP_2)
	s_or_b32 exec_lo, exec_lo, s1
	v_readfirstlane_b32 s0, v1
	v_cvt_f32_ubyte0_e32 v0, v0
	v_mov_b32_e32 v2, s6
	v_add_f32_e32 v0, s0, v0
	s_delay_alu instid0(VALU_DEP_1) | instskip(NEXT) | instid1(VALU_DEP_1)
	v_cndmask_b32_e64 v0, v0, s0, vcc_lo
	v_add_f32_e32 v0, v0, v5
	s_delay_alu instid0(VALU_DEP_1) | instskip(NEXT) | instid1(VALU_DEP_1)
	v_cvt_i32_f32_e32 v0, v0
	v_lshlrev_b32_e32 v0, 2, v0
	s_delay_alu instid0(VALU_DEP_1) | instskip(NEXT) | instid1(VALU_DEP_1)
	v_ashrrev_i32_e32 v1, 31, v0
	v_lshlrev_b64 v[7:8], 2, v[0:1]
	v_mov_b32_e32 v1, s8
	s_delay_alu instid0(VALU_DEP_2) | instskip(NEXT) | instid1(VALU_DEP_3)
	v_add_co_u32 v7, vcc_lo, s19, v7
	v_add_co_ci_u32_e32 v8, vcc_lo, s20, v8, vcc_lo
	global_store_b96 v[7:8], v[1:3], off offset:4
.LBB31_30:                              ;   in Loop: Header=BB31_20 Depth=2
	s_add_i32 s8, s6, 1
	s_delay_alu instid0(SALU_CYCLE_1) | instskip(NEXT) | instid1(SALU_CYCLE_1)
	s_mov_b32 s7, s8
	s_cmp_lt_i32 s7, s9
	s_cbranch_scc0 .LBB31_3
.LBB31_31:                              ;   in Loop: Header=BB31_20 Depth=2
	s_mov_b32 s6, s7
	s_branch .LBB31_20
.LBB31_32:
	s_nop 0
	s_sendmsg sendmsg(MSG_DEALLOC_VGPRS)
	s_endpgm
	.section	.rodata,"a",@progbits
	.p2align	6, 0x0
	.amdhsa_kernel _ZN9rocsolver6v33100L22bdsqr_update_endpointsIffEEviPT0_lPiS3_lS4_
		.amdhsa_group_segment_fixed_size 0
		.amdhsa_private_segment_fixed_size 0
		.amdhsa_kernarg_size 312
		.amdhsa_user_sgpr_count 13
		.amdhsa_user_sgpr_dispatch_ptr 0
		.amdhsa_user_sgpr_queue_ptr 0
		.amdhsa_user_sgpr_kernarg_segment_ptr 1
		.amdhsa_user_sgpr_dispatch_id 0
		.amdhsa_user_sgpr_private_segment_size 0
		.amdhsa_wavefront_size32 1
		.amdhsa_uses_dynamic_stack 0
		.amdhsa_enable_private_segment 0
		.amdhsa_system_sgpr_workgroup_id_x 1
		.amdhsa_system_sgpr_workgroup_id_y 1
		.amdhsa_system_sgpr_workgroup_id_z 1
		.amdhsa_system_sgpr_workgroup_info 0
		.amdhsa_system_vgpr_workitem_id 0
		.amdhsa_next_free_vgpr 9
		.amdhsa_next_free_sgpr 23
		.amdhsa_reserve_vcc 1
		.amdhsa_float_round_mode_32 0
		.amdhsa_float_round_mode_16_64 0
		.amdhsa_float_denorm_mode_32 3
		.amdhsa_float_denorm_mode_16_64 3
		.amdhsa_dx10_clamp 1
		.amdhsa_ieee_mode 1
		.amdhsa_fp16_overflow 0
		.amdhsa_workgroup_processor_mode 1
		.amdhsa_memory_ordered 1
		.amdhsa_forward_progress 0
		.amdhsa_shared_vgpr_count 0
		.amdhsa_exception_fp_ieee_invalid_op 0
		.amdhsa_exception_fp_denorm_src 0
		.amdhsa_exception_fp_ieee_div_zero 0
		.amdhsa_exception_fp_ieee_overflow 0
		.amdhsa_exception_fp_ieee_underflow 0
		.amdhsa_exception_fp_ieee_inexact 0
		.amdhsa_exception_int_div_zero 0
	.end_amdhsa_kernel
	.section	.text._ZN9rocsolver6v33100L22bdsqr_update_endpointsIffEEviPT0_lPiS3_lS4_,"axG",@progbits,_ZN9rocsolver6v33100L22bdsqr_update_endpointsIffEEviPT0_lPiS3_lS4_,comdat
.Lfunc_end31:
	.size	_ZN9rocsolver6v33100L22bdsqr_update_endpointsIffEEviPT0_lPiS3_lS4_, .Lfunc_end31-_ZN9rocsolver6v33100L22bdsqr_update_endpointsIffEEviPT0_lPiS3_lS4_
                                        ; -- End function
	.section	.AMDGPU.csdata,"",@progbits
; Kernel info:
; codeLenInByte = 1012
; NumSgprs: 25
; NumVgprs: 9
; ScratchSize: 0
; MemoryBound: 0
; FloatMode: 240
; IeeeMode: 1
; LDSByteSize: 0 bytes/workgroup (compile time only)
; SGPRBlocks: 3
; VGPRBlocks: 1
; NumSGPRsForWavesPerEU: 25
; NumVGPRsForWavesPerEU: 9
; Occupancy: 16
; WaveLimiterHint : 1
; COMPUTE_PGM_RSRC2:SCRATCH_EN: 0
; COMPUTE_PGM_RSRC2:USER_SGPR: 13
; COMPUTE_PGM_RSRC2:TRAP_HANDLER: 0
; COMPUTE_PGM_RSRC2:TGID_X_EN: 1
; COMPUTE_PGM_RSRC2:TGID_Y_EN: 1
; COMPUTE_PGM_RSRC2:TGID_Z_EN: 1
; COMPUTE_PGM_RSRC2:TIDIG_COMP_CNT: 0
	.section	.text._ZN9rocsolver6v33100L19bdsqr_chk_completedIffEEviiPiPT0_lS2_,"axG",@progbits,_ZN9rocsolver6v33100L19bdsqr_chk_completedIffEEviiPiPT0_lS2_,comdat
	.globl	_ZN9rocsolver6v33100L19bdsqr_chk_completedIffEEviiPiPT0_lS2_ ; -- Begin function _ZN9rocsolver6v33100L19bdsqr_chk_completedIffEEviiPiPT0_lS2_
	.p2align	8
	.type	_ZN9rocsolver6v33100L19bdsqr_chk_completedIffEEviiPiPT0_lS2_,@function
_ZN9rocsolver6v33100L19bdsqr_chk_completedIffEEviiPiPT0_lS2_: ; @_ZN9rocsolver6v33100L19bdsqr_chk_completedIffEEviiPiPT0_lS2_
; %bb.0:
	s_load_b256 s[4:11], s[0:1], 0x8
	s_mov_b32 s12, s15
	s_ashr_i32 s13, s15, 31
	s_delay_alu instid0(SALU_CYCLE_1)
	s_lshl_b64 s[2:3], s[12:13], 2
	s_waitcnt lgkmcnt(0)
	s_add_u32 s2, s10, s2
	s_addc_u32 s3, s11, s3
	s_load_b32 s14, s[2:3], 0x8
	s_waitcnt lgkmcnt(0)
	s_cmp_lg_u32 s14, 0
	s_cbranch_scc0 .LBB32_2
.LBB32_1:
	s_nop 0
	s_sendmsg sendmsg(MSG_DEALLOC_VGPRS)
	s_endpgm
.LBB32_2:
	s_mul_i32 s9, s12, s9
	s_mul_hi_u32 s14, s12, s8
	s_mul_i32 s13, s13, s8
	s_add_i32 s9, s14, s9
	s_mul_i32 s8, s12, s8
	s_add_i32 s9, s9, s13
	v_mov_b32_e32 v2, 0
	s_lshl_b64 s[8:9], s[8:9], 2
	s_delay_alu instid0(SALU_CYCLE_1)
	s_add_u32 s8, s6, s8
	s_addc_u32 s9, s7, s9
	s_load_b64 s[14:15], s[8:9], 0x8
	s_load_b32 s6, s[10:11], 0x4
	s_waitcnt lgkmcnt(0)
	v_add_f32_e64 v0, s14, s15
	s_delay_alu instid0(VALU_DEP_1) | instskip(NEXT) | instid1(VALU_DEP_1)
	v_cvt_i32_f32_e32 v0, v0
	v_cmp_ge_i32_e32 vcc_lo, s6, v0
	v_cvt_f32_i32_e32 v1, v0
	global_store_b64 v2, v[1:2], s[8:9] offset:8
	s_cbranch_vccnz .LBB32_6
; %bb.3:
	v_mov_b32_e32 v1, s6
	s_mov_b32 s6, 0
.LBB32_4:                               ; =>This Inner Loop Header: Depth=1
	global_atomic_cmpswap_b32 v1, v2, v[0:1], s[10:11] offset:4 glc
	s_waitcnt vmcnt(0)
	v_cmp_ge_i32_e32 vcc_lo, v1, v0
	s_or_b32 s6, vcc_lo, s6
	s_delay_alu instid0(SALU_CYCLE_1)
	s_and_not1_b32 exec_lo, exec_lo, s6
	s_cbranch_execnz .LBB32_4
; %bb.5:
	s_or_b32 exec_lo, exec_lo, s6
.LBB32_6:
	v_cmp_gt_i32_e32 vcc_lo, 1, v0
	s_cbranch_vccnz .LBB32_14
; %bb.7:
	s_load_b64 s[0:1], s[0:1], 0x0
	v_mov_b32_e32 v1, 0
	s_waitcnt lgkmcnt(0)
	s_mul_i32 s0, s12, s0
	s_delay_alu instid0(SALU_CYCLE_1) | instskip(NEXT) | instid1(SALU_CYCLE_1)
	s_lshl_b32 s6, s0, 1
	s_ashr_i32 s7, s6, 31
	s_delay_alu instid0(SALU_CYCLE_1) | instskip(NEXT) | instid1(SALU_CYCLE_1)
	s_lshl_b64 s[6:7], s[6:7], 2
	s_add_u32 s0, s6, s4
	s_addc_u32 s5, s7, s5
	s_add_u32 s4, s0, 12
	s_addc_u32 s5, s5, 0
	s_branch .LBB32_9
	.p2align	6
.LBB32_8:                               ;   in Loop: Header=BB32_9 Depth=1
	v_add_nc_u32_e32 v0, -1, v0
	s_add_u32 s4, s4, 16
	s_addc_u32 s5, s5, 0
	s_mov_b32 s0, 0
	s_delay_alu instid0(VALU_DEP_1) | instskip(NEXT) | instid1(VALU_DEP_1)
	v_cmp_eq_u32_e64 s6, 0, v0
	s_and_not1_b32 vcc_lo, exec_lo, s6
	s_cbranch_vccz .LBB32_13
.LBB32_9:                               ; =>This Inner Loop Header: Depth=1
	global_load_b64 v[2:3], v1, s[4:5] offset:-8
	s_mov_b32 s6, -1
                                        ; implicit-def: $sgpr0
	s_waitcnt vmcnt(0)
	v_cmp_ge_i32_e32 vcc_lo, v2, v3
	s_cbranch_vccnz .LBB32_11
; %bb.10:                               ;   in Loop: Header=BB32_9 Depth=1
	global_load_b32 v2, v1, s[4:5]
	s_mov_b32 s0, -1
	s_waitcnt vmcnt(0)
	v_cmp_le_i32_e64 s6, s1, v2
.LBB32_11:                              ;   in Loop: Header=BB32_9 Depth=1
	s_delay_alu instid0(VALU_DEP_1)
	s_and_not1_b32 vcc_lo, exec_lo, s6
	s_cbranch_vccz .LBB32_8
; %bb.12:
                                        ; implicit-def: $vgpr0
                                        ; implicit-def: $sgpr4_sgpr5
.LBB32_13:
	s_xor_b32 s0, s0, -1
	s_delay_alu instid0(SALU_CYCLE_1)
	s_and_b32 vcc_lo, exec_lo, s0
	s_cbranch_vccz .LBB32_1
	s_branch .LBB32_15
.LBB32_14:
	s_cbranch_execz .LBB32_1
.LBB32_15:
	s_mov_b32 s0, exec_lo
	v_mov_b32_e32 v0, 0
	v_mbcnt_lo_u32_b32 v1, s0, 0
	v_mov_b32_e32 v2, 1
	s_mov_b32 s1, exec_lo
	global_store_b32 v0, v2, s[2:3] offset:8
	v_cmpx_eq_u32_e32 0, v1
	s_cbranch_execz .LBB32_1
; %bb.16:
	s_bcnt1_i32_b32 s0, s0
	s_delay_alu instid0(SALU_CYCLE_1)
	v_mov_b32_e32 v1, s0
	global_atomic_add_u32 v0, v1, s[10:11]
	s_nop 0
	s_sendmsg sendmsg(MSG_DEALLOC_VGPRS)
	s_endpgm
	.section	.rodata,"a",@progbits
	.p2align	6, 0x0
	.amdhsa_kernel _ZN9rocsolver6v33100L19bdsqr_chk_completedIffEEviiPiPT0_lS2_
		.amdhsa_group_segment_fixed_size 0
		.amdhsa_private_segment_fixed_size 0
		.amdhsa_kernarg_size 40
		.amdhsa_user_sgpr_count 14
		.amdhsa_user_sgpr_dispatch_ptr 0
		.amdhsa_user_sgpr_queue_ptr 0
		.amdhsa_user_sgpr_kernarg_segment_ptr 1
		.amdhsa_user_sgpr_dispatch_id 0
		.amdhsa_user_sgpr_private_segment_size 0
		.amdhsa_wavefront_size32 1
		.amdhsa_uses_dynamic_stack 0
		.amdhsa_enable_private_segment 0
		.amdhsa_system_sgpr_workgroup_id_x 1
		.amdhsa_system_sgpr_workgroup_id_y 1
		.amdhsa_system_sgpr_workgroup_id_z 0
		.amdhsa_system_sgpr_workgroup_info 0
		.amdhsa_system_vgpr_workitem_id 0
		.amdhsa_next_free_vgpr 4
		.amdhsa_next_free_sgpr 16
		.amdhsa_reserve_vcc 1
		.amdhsa_float_round_mode_32 0
		.amdhsa_float_round_mode_16_64 0
		.amdhsa_float_denorm_mode_32 3
		.amdhsa_float_denorm_mode_16_64 3
		.amdhsa_dx10_clamp 1
		.amdhsa_ieee_mode 1
		.amdhsa_fp16_overflow 0
		.amdhsa_workgroup_processor_mode 1
		.amdhsa_memory_ordered 1
		.amdhsa_forward_progress 0
		.amdhsa_shared_vgpr_count 0
		.amdhsa_exception_fp_ieee_invalid_op 0
		.amdhsa_exception_fp_denorm_src 0
		.amdhsa_exception_fp_ieee_div_zero 0
		.amdhsa_exception_fp_ieee_overflow 0
		.amdhsa_exception_fp_ieee_underflow 0
		.amdhsa_exception_fp_ieee_inexact 0
		.amdhsa_exception_int_div_zero 0
	.end_amdhsa_kernel
	.section	.text._ZN9rocsolver6v33100L19bdsqr_chk_completedIffEEviiPiPT0_lS2_,"axG",@progbits,_ZN9rocsolver6v33100L19bdsqr_chk_completedIffEEviiPiPT0_lS2_,comdat
.Lfunc_end32:
	.size	_ZN9rocsolver6v33100L19bdsqr_chk_completedIffEEviiPiPT0_lS2_, .Lfunc_end32-_ZN9rocsolver6v33100L19bdsqr_chk_completedIffEEviiPiPT0_lS2_
                                        ; -- End function
	.section	.AMDGPU.csdata,"",@progbits
; Kernel info:
; codeLenInByte = 472
; NumSgprs: 18
; NumVgprs: 4
; ScratchSize: 0
; MemoryBound: 0
; FloatMode: 240
; IeeeMode: 1
; LDSByteSize: 0 bytes/workgroup (compile time only)
; SGPRBlocks: 2
; VGPRBlocks: 0
; NumSGPRsForWavesPerEU: 18
; NumVGPRsForWavesPerEU: 4
; Occupancy: 16
; WaveLimiterHint : 0
; COMPUTE_PGM_RSRC2:SCRATCH_EN: 0
; COMPUTE_PGM_RSRC2:USER_SGPR: 14
; COMPUTE_PGM_RSRC2:TRAP_HANDLER: 0
; COMPUTE_PGM_RSRC2:TGID_X_EN: 1
; COMPUTE_PGM_RSRC2:TGID_Y_EN: 1
; COMPUTE_PGM_RSRC2:TGID_Z_EN: 0
; COMPUTE_PGM_RSRC2:TIDIG_COMP_CNT: 0
	.text
	.p2align	2                               ; -- Begin function __ockl_fprintf_append_string_n
	.type	__ockl_fprintf_append_string_n,@function
__ockl_fprintf_append_string_n:         ; @__ockl_fprintf_append_string_n
; %bb.0:
	s_waitcnt vmcnt(0) expcnt(0) lgkmcnt(0)
	v_dual_mov_b32 v8, v3 :: v_dual_mov_b32 v7, v2
	v_or_b32_e32 v2, 2, v0
	v_cmp_eq_u32_e32 vcc_lo, 0, v6
	v_mbcnt_lo_u32_b32 v33, -1, 0
	s_mov_b32 s11, 0
	s_mov_b32 s0, exec_lo
	v_cndmask_b32_e32 v0, v2, v0, vcc_lo
	v_cmpx_ne_u64_e32 0, v[7:8]
	s_xor_b32 s10, exec_lo, s0
	s_cbranch_execz .LBB33_86
; %bb.1:
	s_load_b64 s[2:3], s[8:9], 0x50
	v_dual_mov_b32 v11, 2 :: v_dual_and_b32 v6, 2, v0
	v_mov_b32_e32 v10, 0
	v_and_b32_e32 v0, -3, v0
	v_mov_b32_e32 v12, 1
	s_mov_b32 s12, 0
	s_branch .LBB33_3
.LBB33_2:                               ;   in Loop: Header=BB33_3 Depth=1
	s_or_b32 exec_lo, exec_lo, s1
	v_sub_co_u32 v4, vcc_lo, v4, v29
	v_sub_co_ci_u32_e32 v5, vcc_lo, v5, v30, vcc_lo
	v_add_co_u32 v7, s0, v7, v29
	s_delay_alu instid0(VALU_DEP_1) | instskip(NEXT) | instid1(VALU_DEP_3)
	v_add_co_ci_u32_e64 v8, s0, v8, v30, s0
	v_cmp_eq_u64_e32 vcc_lo, 0, v[4:5]
	s_or_b32 s12, vcc_lo, s12
	s_delay_alu instid0(SALU_CYCLE_1)
	s_and_not1_b32 exec_lo, exec_lo, s12
	s_cbranch_execz .LBB33_85
.LBB33_3:                               ; =>This Loop Header: Depth=1
                                        ;     Child Loop BB33_6 Depth 2
                                        ;     Child Loop BB33_14 Depth 2
                                        ;     Child Loop BB33_22 Depth 2
                                        ;     Child Loop BB33_30 Depth 2
                                        ;     Child Loop BB33_38 Depth 2
                                        ;     Child Loop BB33_46 Depth 2
                                        ;     Child Loop BB33_54 Depth 2
                                        ;     Child Loop BB33_62 Depth 2
                                        ;     Child Loop BB33_70 Depth 2
                                        ;     Child Loop BB33_79 Depth 2
                                        ;     Child Loop BB33_84 Depth 2
	v_cmp_gt_u64_e32 vcc_lo, 56, v[4:5]
	s_mov_b32 s1, exec_lo
                                        ; implicit-def: $vgpr2_vgpr3
                                        ; implicit-def: $sgpr4
	v_dual_cndmask_b32 v30, 0, v5 :: v_dual_cndmask_b32 v29, 56, v4
	v_cmpx_gt_u64_e32 8, v[4:5]
	s_xor_b32 s1, exec_lo, s1
	s_cbranch_execz .LBB33_9
; %bb.4:                                ;   in Loop: Header=BB33_3 Depth=1
	s_waitcnt vmcnt(0)
	v_mov_b32_e32 v2, 0
	v_mov_b32_e32 v3, 0
	s_mov_b64 s[4:5], 0
	s_mov_b32 s6, exec_lo
	v_cmpx_ne_u64_e32 0, v[4:5]
	s_cbranch_execz .LBB33_8
; %bb.5:                                ;   in Loop: Header=BB33_3 Depth=1
	v_lshlrev_b64 v[13:14], 3, v[29:30]
	v_dual_mov_b32 v2, 0 :: v_dual_mov_b32 v15, v8
	v_dual_mov_b32 v3, 0 :: v_dual_mov_b32 v14, v7
	s_mov_b32 s7, 0
	.p2align	6
.LBB33_6:                               ;   Parent Loop BB33_3 Depth=1
                                        ; =>  This Inner Loop Header: Depth=2
	flat_load_u8 v9, v[14:15]
	v_mov_b32_e32 v17, s11
	v_add_co_u32 v14, vcc_lo, v14, 1
	v_add_co_ci_u32_e32 v15, vcc_lo, 0, v15, vcc_lo
	s_waitcnt vmcnt(0) lgkmcnt(0)
	v_and_b32_e32 v16, 0xffff, v9
	s_delay_alu instid0(VALU_DEP_1) | instskip(SKIP_3) | instid1(VALU_DEP_2)
	v_lshlrev_b64 v[16:17], s4, v[16:17]
	s_add_u32 s4, s4, 8
	s_addc_u32 s5, s5, 0
	v_cmp_eq_u32_e64 s0, s4, v13
	v_or_b32_e32 v3, v17, v3
	s_delay_alu instid0(VALU_DEP_3) | instskip(NEXT) | instid1(VALU_DEP_3)
	v_or_b32_e32 v2, v16, v2
	s_or_b32 s7, s0, s7
	s_delay_alu instid0(SALU_CYCLE_1)
	s_and_not1_b32 exec_lo, exec_lo, s7
	s_cbranch_execnz .LBB33_6
; %bb.7:                                ;   in Loop: Header=BB33_3 Depth=1
	s_or_b32 exec_lo, exec_lo, s7
.LBB33_8:                               ;   in Loop: Header=BB33_3 Depth=1
	s_delay_alu instid0(SALU_CYCLE_1)
	s_or_b32 exec_lo, exec_lo, s6
	s_mov_b32 s4, 0
.LBB33_9:                               ;   in Loop: Header=BB33_3 Depth=1
	s_or_saveexec_b32 s0, s1
	v_dual_mov_b32 v9, s4 :: v_dual_mov_b32 v26, v8
	v_mov_b32_e32 v25, v7
	s_xor_b32 exec_lo, exec_lo, s0
	s_cbranch_execz .LBB33_11
; %bb.10:                               ;   in Loop: Header=BB33_3 Depth=1
	s_waitcnt vmcnt(0)
	flat_load_b64 v[2:3], v[7:8]
	v_add_co_u32 v25, vcc_lo, v7, 8
	v_add_co_ci_u32_e32 v26, vcc_lo, 0, v8, vcc_lo
	s_waitcnt vmcnt(0) lgkmcnt(0)
	v_and_b32_e32 v9, 0xff, v3
	v_and_b32_e32 v13, 0xff00, v3
	;; [unrolled: 1-line block ×4, first 2 shown]
	v_or3_b32 v2, v2, 0, 0
	s_delay_alu instid0(VALU_DEP_4) | instskip(SKIP_1) | instid1(VALU_DEP_2)
	v_or_b32_e32 v13, v9, v13
	v_add_nc_u32_e32 v9, -8, v29
	v_or3_b32 v3, v13, v14, v3
.LBB33_11:                              ;   in Loop: Header=BB33_3 Depth=1
	s_or_b32 exec_lo, exec_lo, s0
                                        ; implicit-def: $vgpr13_vgpr14
                                        ; implicit-def: $sgpr1
	s_delay_alu instid0(SALU_CYCLE_1) | instskip(NEXT) | instid1(VALU_DEP_2)
	s_mov_b32 s0, exec_lo
	v_cmpx_gt_u32_e32 8, v9
	s_xor_b32 s6, exec_lo, s0
	s_cbranch_execz .LBB33_17
; %bb.12:                               ;   in Loop: Header=BB33_3 Depth=1
	v_mov_b32_e32 v13, 0
	v_mov_b32_e32 v14, 0
	s_mov_b32 s7, exec_lo
	v_cmpx_ne_u32_e32 0, v9
	s_cbranch_execz .LBB33_16
; %bb.13:                               ;   in Loop: Header=BB33_3 Depth=1
	v_mov_b32_e32 v13, 0
	v_mov_b32_e32 v14, 0
	s_mov_b64 s[0:1], 0
	s_mov_b32 s13, 0
	s_mov_b64 s[4:5], 0
	.p2align	6
.LBB33_14:                              ;   Parent Loop BB33_3 Depth=1
                                        ; =>  This Inner Loop Header: Depth=2
	s_delay_alu instid0(SALU_CYCLE_1)
	v_add_co_u32 v15, vcc_lo, v25, s4
	v_add_co_ci_u32_e32 v16, vcc_lo, s5, v26, vcc_lo
	s_add_u32 s4, s4, 1
	s_addc_u32 s5, s5, 0
	v_cmp_eq_u32_e32 vcc_lo, s4, v9
	flat_load_u8 v15, v[15:16]
	s_waitcnt vmcnt(0) lgkmcnt(0)
	v_dual_mov_b32 v16, s11 :: v_dual_and_b32 v15, 0xffff, v15
	s_delay_alu instid0(VALU_DEP_1) | instskip(SKIP_3) | instid1(VALU_DEP_1)
	v_lshlrev_b64 v[15:16], s0, v[15:16]
	s_add_u32 s0, s0, 8
	s_addc_u32 s1, s1, 0
	s_or_b32 s13, vcc_lo, s13
	v_or_b32_e32 v14, v16, v14
	s_delay_alu instid0(VALU_DEP_2)
	v_or_b32_e32 v13, v15, v13
	s_and_not1_b32 exec_lo, exec_lo, s13
	s_cbranch_execnz .LBB33_14
; %bb.15:                               ;   in Loop: Header=BB33_3 Depth=1
	s_or_b32 exec_lo, exec_lo, s13
.LBB33_16:                              ;   in Loop: Header=BB33_3 Depth=1
	s_delay_alu instid0(SALU_CYCLE_1)
	s_or_b32 exec_lo, exec_lo, s7
	s_mov_b32 s1, 0
                                        ; implicit-def: $vgpr9
.LBB33_17:                              ;   in Loop: Header=BB33_3 Depth=1
	s_or_saveexec_b32 s0, s6
	v_mov_b32_e32 v17, s1
	s_xor_b32 exec_lo, exec_lo, s0
	s_cbranch_execz .LBB33_19
; %bb.18:                               ;   in Loop: Header=BB33_3 Depth=1
	flat_load_b64 v[13:14], v[25:26]
	v_add_co_u32 v25, vcc_lo, v25, 8
	v_add_nc_u32_e32 v17, -8, v9
	v_add_co_ci_u32_e32 v26, vcc_lo, 0, v26, vcc_lo
	s_waitcnt vmcnt(0) lgkmcnt(0)
	v_and_b32_e32 v15, 0xff, v14
	v_and_b32_e32 v16, 0xff00, v14
	;; [unrolled: 1-line block ×4, first 2 shown]
	v_or3_b32 v13, v13, 0, 0
	s_delay_alu instid0(VALU_DEP_4) | instskip(NEXT) | instid1(VALU_DEP_1)
	v_or_b32_e32 v15, v15, v16
	v_or3_b32 v14, v15, v18, v14
.LBB33_19:                              ;   in Loop: Header=BB33_3 Depth=1
	s_or_b32 exec_lo, exec_lo, s0
                                        ; implicit-def: $sgpr1
	s_delay_alu instid0(SALU_CYCLE_1)
	s_mov_b32 s0, exec_lo
	v_cmpx_gt_u32_e32 8, v17
	s_xor_b32 s6, exec_lo, s0
	s_cbranch_execz .LBB33_25
; %bb.20:                               ;   in Loop: Header=BB33_3 Depth=1
	v_mov_b32_e32 v15, 0
	v_mov_b32_e32 v16, 0
	s_mov_b32 s7, exec_lo
	v_cmpx_ne_u32_e32 0, v17
	s_cbranch_execz .LBB33_24
; %bb.21:                               ;   in Loop: Header=BB33_3 Depth=1
	v_mov_b32_e32 v15, 0
	v_mov_b32_e32 v16, 0
	s_mov_b64 s[0:1], 0
	s_mov_b32 s13, 0
	s_mov_b64 s[4:5], 0
	.p2align	6
.LBB33_22:                              ;   Parent Loop BB33_3 Depth=1
                                        ; =>  This Inner Loop Header: Depth=2
	s_delay_alu instid0(SALU_CYCLE_1)
	v_add_co_u32 v18, vcc_lo, v25, s4
	v_add_co_ci_u32_e32 v19, vcc_lo, s5, v26, vcc_lo
	s_add_u32 s4, s4, 1
	s_addc_u32 s5, s5, 0
	v_cmp_eq_u32_e32 vcc_lo, s4, v17
	flat_load_u8 v9, v[18:19]
	s_waitcnt vmcnt(0) lgkmcnt(0)
	v_dual_mov_b32 v19, s11 :: v_dual_and_b32 v18, 0xffff, v9
	s_delay_alu instid0(VALU_DEP_1) | instskip(SKIP_3) | instid1(VALU_DEP_1)
	v_lshlrev_b64 v[18:19], s0, v[18:19]
	s_add_u32 s0, s0, 8
	s_addc_u32 s1, s1, 0
	s_or_b32 s13, vcc_lo, s13
	v_or_b32_e32 v16, v19, v16
	s_delay_alu instid0(VALU_DEP_2)
	v_or_b32_e32 v15, v18, v15
	s_and_not1_b32 exec_lo, exec_lo, s13
	s_cbranch_execnz .LBB33_22
; %bb.23:                               ;   in Loop: Header=BB33_3 Depth=1
	s_or_b32 exec_lo, exec_lo, s13
.LBB33_24:                              ;   in Loop: Header=BB33_3 Depth=1
	s_delay_alu instid0(SALU_CYCLE_1)
	s_or_b32 exec_lo, exec_lo, s7
	s_mov_b32 s1, 0
                                        ; implicit-def: $vgpr17
.LBB33_25:                              ;   in Loop: Header=BB33_3 Depth=1
	s_or_saveexec_b32 s0, s6
	v_mov_b32_e32 v9, s1
	s_xor_b32 exec_lo, exec_lo, s0
	s_cbranch_execz .LBB33_27
; %bb.26:                               ;   in Loop: Header=BB33_3 Depth=1
	flat_load_b64 v[15:16], v[25:26]
	v_add_co_u32 v25, vcc_lo, v25, 8
	v_add_co_ci_u32_e32 v26, vcc_lo, 0, v26, vcc_lo
	s_waitcnt vmcnt(0) lgkmcnt(0)
	v_and_b32_e32 v9, 0xff, v16
	v_and_b32_e32 v18, 0xff00, v16
	;; [unrolled: 1-line block ×4, first 2 shown]
	v_or3_b32 v15, v15, 0, 0
	s_delay_alu instid0(VALU_DEP_4) | instskip(SKIP_1) | instid1(VALU_DEP_2)
	v_or_b32_e32 v18, v9, v18
	v_add_nc_u32_e32 v9, -8, v17
	v_or3_b32 v16, v18, v19, v16
.LBB33_27:                              ;   in Loop: Header=BB33_3 Depth=1
	s_or_b32 exec_lo, exec_lo, s0
                                        ; implicit-def: $vgpr17_vgpr18
                                        ; implicit-def: $sgpr1
	s_delay_alu instid0(SALU_CYCLE_1) | instskip(NEXT) | instid1(VALU_DEP_1)
	s_mov_b32 s0, exec_lo
	v_cmpx_gt_u32_e32 8, v9
	s_xor_b32 s6, exec_lo, s0
	s_cbranch_execz .LBB33_33
; %bb.28:                               ;   in Loop: Header=BB33_3 Depth=1
	v_mov_b32_e32 v17, 0
	v_mov_b32_e32 v18, 0
	s_mov_b32 s7, exec_lo
	v_cmpx_ne_u32_e32 0, v9
	s_cbranch_execz .LBB33_32
; %bb.29:                               ;   in Loop: Header=BB33_3 Depth=1
	v_mov_b32_e32 v17, 0
	v_mov_b32_e32 v18, 0
	s_mov_b64 s[0:1], 0
	s_mov_b32 s13, 0
	s_mov_b64 s[4:5], 0
	.p2align	6
.LBB33_30:                              ;   Parent Loop BB33_3 Depth=1
                                        ; =>  This Inner Loop Header: Depth=2
	s_delay_alu instid0(SALU_CYCLE_1)
	v_add_co_u32 v19, vcc_lo, v25, s4
	v_add_co_ci_u32_e32 v20, vcc_lo, s5, v26, vcc_lo
	s_add_u32 s4, s4, 1
	s_addc_u32 s5, s5, 0
	v_cmp_eq_u32_e32 vcc_lo, s4, v9
	flat_load_u8 v19, v[19:20]
	s_waitcnt vmcnt(0) lgkmcnt(0)
	v_dual_mov_b32 v20, s11 :: v_dual_and_b32 v19, 0xffff, v19
	s_delay_alu instid0(VALU_DEP_1) | instskip(SKIP_3) | instid1(VALU_DEP_1)
	v_lshlrev_b64 v[19:20], s0, v[19:20]
	s_add_u32 s0, s0, 8
	s_addc_u32 s1, s1, 0
	s_or_b32 s13, vcc_lo, s13
	v_or_b32_e32 v18, v20, v18
	s_delay_alu instid0(VALU_DEP_2)
	v_or_b32_e32 v17, v19, v17
	s_and_not1_b32 exec_lo, exec_lo, s13
	s_cbranch_execnz .LBB33_30
; %bb.31:                               ;   in Loop: Header=BB33_3 Depth=1
	s_or_b32 exec_lo, exec_lo, s13
.LBB33_32:                              ;   in Loop: Header=BB33_3 Depth=1
	s_delay_alu instid0(SALU_CYCLE_1)
	s_or_b32 exec_lo, exec_lo, s7
	s_mov_b32 s1, 0
                                        ; implicit-def: $vgpr9
.LBB33_33:                              ;   in Loop: Header=BB33_3 Depth=1
	s_or_saveexec_b32 s0, s6
	v_mov_b32_e32 v21, s1
	s_xor_b32 exec_lo, exec_lo, s0
	s_cbranch_execz .LBB33_35
; %bb.34:                               ;   in Loop: Header=BB33_3 Depth=1
	flat_load_b64 v[17:18], v[25:26]
	v_add_co_u32 v25, vcc_lo, v25, 8
	v_add_nc_u32_e32 v21, -8, v9
	v_add_co_ci_u32_e32 v26, vcc_lo, 0, v26, vcc_lo
	s_waitcnt vmcnt(0) lgkmcnt(0)
	v_and_b32_e32 v19, 0xff, v18
	v_and_b32_e32 v20, 0xff00, v18
	;; [unrolled: 1-line block ×4, first 2 shown]
	v_or3_b32 v17, v17, 0, 0
	s_delay_alu instid0(VALU_DEP_4) | instskip(NEXT) | instid1(VALU_DEP_1)
	v_or_b32_e32 v19, v19, v20
	v_or3_b32 v18, v19, v22, v18
.LBB33_35:                              ;   in Loop: Header=BB33_3 Depth=1
	s_or_b32 exec_lo, exec_lo, s0
                                        ; implicit-def: $sgpr1
	s_delay_alu instid0(SALU_CYCLE_1)
	s_mov_b32 s0, exec_lo
	v_cmpx_gt_u32_e32 8, v21
	s_xor_b32 s6, exec_lo, s0
	s_cbranch_execz .LBB33_41
; %bb.36:                               ;   in Loop: Header=BB33_3 Depth=1
	v_mov_b32_e32 v19, 0
	v_mov_b32_e32 v20, 0
	s_mov_b32 s7, exec_lo
	v_cmpx_ne_u32_e32 0, v21
	s_cbranch_execz .LBB33_40
; %bb.37:                               ;   in Loop: Header=BB33_3 Depth=1
	v_mov_b32_e32 v19, 0
	v_mov_b32_e32 v20, 0
	s_mov_b64 s[0:1], 0
	s_mov_b32 s13, 0
	s_mov_b64 s[4:5], 0
	.p2align	6
.LBB33_38:                              ;   Parent Loop BB33_3 Depth=1
                                        ; =>  This Inner Loop Header: Depth=2
	s_delay_alu instid0(SALU_CYCLE_1)
	v_add_co_u32 v22, vcc_lo, v25, s4
	v_add_co_ci_u32_e32 v23, vcc_lo, s5, v26, vcc_lo
	s_add_u32 s4, s4, 1
	s_addc_u32 s5, s5, 0
	v_cmp_eq_u32_e32 vcc_lo, s4, v21
	flat_load_u8 v9, v[22:23]
	s_waitcnt vmcnt(0) lgkmcnt(0)
	v_dual_mov_b32 v23, s11 :: v_dual_and_b32 v22, 0xffff, v9
	s_delay_alu instid0(VALU_DEP_1) | instskip(SKIP_3) | instid1(VALU_DEP_1)
	v_lshlrev_b64 v[22:23], s0, v[22:23]
	s_add_u32 s0, s0, 8
	s_addc_u32 s1, s1, 0
	s_or_b32 s13, vcc_lo, s13
	v_or_b32_e32 v20, v23, v20
	s_delay_alu instid0(VALU_DEP_2)
	v_or_b32_e32 v19, v22, v19
	s_and_not1_b32 exec_lo, exec_lo, s13
	s_cbranch_execnz .LBB33_38
; %bb.39:                               ;   in Loop: Header=BB33_3 Depth=1
	s_or_b32 exec_lo, exec_lo, s13
.LBB33_40:                              ;   in Loop: Header=BB33_3 Depth=1
	s_delay_alu instid0(SALU_CYCLE_1)
	s_or_b32 exec_lo, exec_lo, s7
	s_mov_b32 s1, 0
                                        ; implicit-def: $vgpr21
.LBB33_41:                              ;   in Loop: Header=BB33_3 Depth=1
	s_or_saveexec_b32 s0, s6
	v_mov_b32_e32 v9, s1
	s_xor_b32 exec_lo, exec_lo, s0
	s_cbranch_execz .LBB33_43
; %bb.42:                               ;   in Loop: Header=BB33_3 Depth=1
	flat_load_b64 v[19:20], v[25:26]
	v_add_co_u32 v25, vcc_lo, v25, 8
	v_add_co_ci_u32_e32 v26, vcc_lo, 0, v26, vcc_lo
	s_waitcnt vmcnt(0) lgkmcnt(0)
	v_and_b32_e32 v9, 0xff, v20
	v_and_b32_e32 v22, 0xff00, v20
	;; [unrolled: 1-line block ×4, first 2 shown]
	v_or3_b32 v19, v19, 0, 0
	s_delay_alu instid0(VALU_DEP_4) | instskip(SKIP_1) | instid1(VALU_DEP_2)
	v_or_b32_e32 v22, v9, v22
	v_add_nc_u32_e32 v9, -8, v21
	v_or3_b32 v20, v22, v23, v20
.LBB33_43:                              ;   in Loop: Header=BB33_3 Depth=1
	s_or_b32 exec_lo, exec_lo, s0
                                        ; implicit-def: $vgpr21_vgpr22
                                        ; implicit-def: $sgpr1
	s_delay_alu instid0(SALU_CYCLE_1) | instskip(NEXT) | instid1(VALU_DEP_1)
	s_mov_b32 s0, exec_lo
	v_cmpx_gt_u32_e32 8, v9
	s_xor_b32 s6, exec_lo, s0
	s_cbranch_execz .LBB33_49
; %bb.44:                               ;   in Loop: Header=BB33_3 Depth=1
	v_mov_b32_e32 v21, 0
	v_mov_b32_e32 v22, 0
	s_mov_b32 s7, exec_lo
	v_cmpx_ne_u32_e32 0, v9
	s_cbranch_execz .LBB33_48
; %bb.45:                               ;   in Loop: Header=BB33_3 Depth=1
	v_mov_b32_e32 v21, 0
	v_mov_b32_e32 v22, 0
	s_mov_b64 s[0:1], 0
	s_mov_b32 s13, 0
	s_mov_b64 s[4:5], 0
	.p2align	6
.LBB33_46:                              ;   Parent Loop BB33_3 Depth=1
                                        ; =>  This Inner Loop Header: Depth=2
	s_delay_alu instid0(SALU_CYCLE_1)
	v_add_co_u32 v23, vcc_lo, v25, s4
	v_add_co_ci_u32_e32 v24, vcc_lo, s5, v26, vcc_lo
	s_add_u32 s4, s4, 1
	s_addc_u32 s5, s5, 0
	v_cmp_eq_u32_e32 vcc_lo, s4, v9
	flat_load_u8 v23, v[23:24]
	s_waitcnt vmcnt(0) lgkmcnt(0)
	v_dual_mov_b32 v24, s11 :: v_dual_and_b32 v23, 0xffff, v23
	s_delay_alu instid0(VALU_DEP_1) | instskip(SKIP_3) | instid1(VALU_DEP_1)
	v_lshlrev_b64 v[23:24], s0, v[23:24]
	s_add_u32 s0, s0, 8
	s_addc_u32 s1, s1, 0
	s_or_b32 s13, vcc_lo, s13
	v_or_b32_e32 v22, v24, v22
	s_delay_alu instid0(VALU_DEP_2)
	v_or_b32_e32 v21, v23, v21
	s_and_not1_b32 exec_lo, exec_lo, s13
	s_cbranch_execnz .LBB33_46
; %bb.47:                               ;   in Loop: Header=BB33_3 Depth=1
	s_or_b32 exec_lo, exec_lo, s13
.LBB33_48:                              ;   in Loop: Header=BB33_3 Depth=1
	s_delay_alu instid0(SALU_CYCLE_1)
	s_or_b32 exec_lo, exec_lo, s7
	s_mov_b32 s1, 0
                                        ; implicit-def: $vgpr9
.LBB33_49:                              ;   in Loop: Header=BB33_3 Depth=1
	s_or_saveexec_b32 s0, s6
	v_mov_b32_e32 v27, s1
	s_xor_b32 exec_lo, exec_lo, s0
	s_cbranch_execz .LBB33_51
; %bb.50:                               ;   in Loop: Header=BB33_3 Depth=1
	flat_load_b64 v[21:22], v[25:26]
	v_add_co_u32 v25, vcc_lo, v25, 8
	v_add_nc_u32_e32 v27, -8, v9
	v_add_co_ci_u32_e32 v26, vcc_lo, 0, v26, vcc_lo
	s_waitcnt vmcnt(0) lgkmcnt(0)
	v_and_b32_e32 v23, 0xff, v22
	v_and_b32_e32 v24, 0xff00, v22
	;; [unrolled: 1-line block ×4, first 2 shown]
	v_or3_b32 v21, v21, 0, 0
	s_delay_alu instid0(VALU_DEP_4) | instskip(NEXT) | instid1(VALU_DEP_1)
	v_or_b32_e32 v23, v23, v24
	v_or3_b32 v22, v23, v28, v22
.LBB33_51:                              ;   in Loop: Header=BB33_3 Depth=1
	s_or_b32 exec_lo, exec_lo, s0
	s_delay_alu instid0(SALU_CYCLE_1)
	s_mov_b32 s0, exec_lo
	v_cmpx_gt_u32_e32 8, v27
	s_xor_b32 s4, exec_lo, s0
	s_cbranch_execz .LBB33_57
; %bb.52:                               ;   in Loop: Header=BB33_3 Depth=1
	v_mov_b32_e32 v23, 0
	v_mov_b32_e32 v24, 0
	s_mov_b32 s5, exec_lo
	v_cmpx_ne_u32_e32 0, v27
	s_cbranch_execz .LBB33_56
; %bb.53:                               ;   in Loop: Header=BB33_3 Depth=1
	v_mov_b32_e32 v23, 0
	v_mov_b32_e32 v24, 0
	s_mov_b64 s[0:1], 0
	s_mov_b32 s6, 0
	.p2align	6
.LBB33_54:                              ;   Parent Loop BB33_3 Depth=1
                                        ; =>  This Inner Loop Header: Depth=2
	flat_load_u8 v9, v[25:26]
	v_dual_mov_b32 v32, s11 :: v_dual_add_nc_u32 v27, -1, v27
	v_add_co_u32 v25, vcc_lo, v25, 1
	v_add_co_ci_u32_e32 v26, vcc_lo, 0, v26, vcc_lo
	s_delay_alu instid0(VALU_DEP_3) | instskip(SKIP_2) | instid1(VALU_DEP_1)
	v_cmp_eq_u32_e32 vcc_lo, 0, v27
	s_waitcnt vmcnt(0) lgkmcnt(0)
	v_and_b32_e32 v31, 0xffff, v9
	v_lshlrev_b64 v[31:32], s0, v[31:32]
	s_add_u32 s0, s0, 8
	s_addc_u32 s1, s1, 0
	s_or_b32 s6, vcc_lo, s6
	s_delay_alu instid0(VALU_DEP_1) | instskip(NEXT) | instid1(VALU_DEP_2)
	v_or_b32_e32 v24, v32, v24
	v_or_b32_e32 v23, v31, v23
	s_and_not1_b32 exec_lo, exec_lo, s6
	s_cbranch_execnz .LBB33_54
; %bb.55:                               ;   in Loop: Header=BB33_3 Depth=1
	s_or_b32 exec_lo, exec_lo, s6
.LBB33_56:                              ;   in Loop: Header=BB33_3 Depth=1
	s_delay_alu instid0(SALU_CYCLE_1)
	s_or_b32 exec_lo, exec_lo, s5
                                        ; implicit-def: $vgpr25_vgpr26
.LBB33_57:                              ;   in Loop: Header=BB33_3 Depth=1
	s_and_not1_saveexec_b32 s0, s4
	s_cbranch_execz .LBB33_59
; %bb.58:                               ;   in Loop: Header=BB33_3 Depth=1
	flat_load_b64 v[23:24], v[25:26]
	s_waitcnt vmcnt(0) lgkmcnt(0)
	v_and_b32_e32 v9, 0xff, v24
	v_and_b32_e32 v25, 0xff00, v24
	;; [unrolled: 1-line block ×4, first 2 shown]
	v_or3_b32 v23, v23, 0, 0
	s_delay_alu instid0(VALU_DEP_4) | instskip(NEXT) | instid1(VALU_DEP_1)
	v_or_b32_e32 v9, v9, v25
	v_or3_b32 v24, v9, v26, v24
.LBB33_59:                              ;   in Loop: Header=BB33_3 Depth=1
	s_or_b32 exec_lo, exec_lo, s0
	v_readfirstlane_b32 s0, v33
	v_mov_b32_e32 v31, 0
	v_mov_b32_e32 v32, 0
	s_delay_alu instid0(VALU_DEP_3) | instskip(NEXT) | instid1(VALU_DEP_1)
	v_cmp_eq_u32_e64 s0, s0, v33
	s_and_saveexec_b32 s1, s0
	s_cbranch_execz .LBB33_65
; %bb.60:                               ;   in Loop: Header=BB33_3 Depth=1
	s_waitcnt lgkmcnt(0)
	global_load_b64 v[27:28], v10, s[2:3] offset:24 glc
	s_waitcnt vmcnt(0)
	buffer_gl1_inv
	buffer_gl0_inv
	s_clause 0x1
	global_load_b64 v[25:26], v10, s[2:3] offset:40
	global_load_b64 v[31:32], v10, s[2:3]
	s_mov_b32 s4, exec_lo
	s_waitcnt vmcnt(1)
	v_and_b32_e32 v9, v26, v28
	v_and_b32_e32 v25, v25, v27
	s_delay_alu instid0(VALU_DEP_2) | instskip(NEXT) | instid1(VALU_DEP_2)
	v_mul_lo_u32 v9, v9, 24
	v_mul_hi_u32 v26, v25, 24
	v_mul_lo_u32 v25, v25, 24
	s_delay_alu instid0(VALU_DEP_2) | instskip(SKIP_1) | instid1(VALU_DEP_2)
	v_add_nc_u32_e32 v9, v26, v9
	s_waitcnt vmcnt(0)
	v_add_co_u32 v25, vcc_lo, v31, v25
	s_delay_alu instid0(VALU_DEP_2)
	v_add_co_ci_u32_e32 v26, vcc_lo, v32, v9, vcc_lo
	global_load_b64 v[25:26], v[25:26], off glc
	s_waitcnt vmcnt(0)
	global_atomic_cmpswap_b64 v[31:32], v10, v[25:28], s[2:3] offset:24 glc
	s_waitcnt vmcnt(0)
	buffer_gl1_inv
	buffer_gl0_inv
	v_cmpx_ne_u64_e64 v[31:32], v[27:28]
	s_cbranch_execz .LBB33_64
; %bb.61:                               ;   in Loop: Header=BB33_3 Depth=1
	s_mov_b32 s5, 0
	.p2align	6
.LBB33_62:                              ;   Parent Loop BB33_3 Depth=1
                                        ; =>  This Inner Loop Header: Depth=2
	s_sleep 1
	s_clause 0x1
	global_load_b64 v[25:26], v10, s[2:3] offset:40
	global_load_b64 v[34:35], v10, s[2:3]
	v_dual_mov_b32 v27, v31 :: v_dual_mov_b32 v28, v32
	s_waitcnt vmcnt(1)
	s_delay_alu instid0(VALU_DEP_1) | instskip(SKIP_1) | instid1(VALU_DEP_1)
	v_and_b32_e32 v9, v25, v27
	s_waitcnt vmcnt(0)
	v_mad_u64_u32 v[31:32], null, v9, 24, v[34:35]
	s_delay_alu instid0(VALU_DEP_1) | instskip(NEXT) | instid1(VALU_DEP_1)
	v_dual_mov_b32 v9, v32 :: v_dual_and_b32 v34, v26, v28
	v_mad_u64_u32 v[25:26], null, v34, 24, v[9:10]
	s_delay_alu instid0(VALU_DEP_1)
	v_mov_b32_e32 v32, v25
	global_load_b64 v[25:26], v[31:32], off glc
	s_waitcnt vmcnt(0)
	global_atomic_cmpswap_b64 v[31:32], v10, v[25:28], s[2:3] offset:24 glc
	s_waitcnt vmcnt(0)
	buffer_gl1_inv
	buffer_gl0_inv
	v_cmp_eq_u64_e32 vcc_lo, v[31:32], v[27:28]
	s_or_b32 s5, vcc_lo, s5
	s_delay_alu instid0(SALU_CYCLE_1)
	s_and_not1_b32 exec_lo, exec_lo, s5
	s_cbranch_execnz .LBB33_62
; %bb.63:                               ;   in Loop: Header=BB33_3 Depth=1
	s_or_b32 exec_lo, exec_lo, s5
.LBB33_64:                              ;   in Loop: Header=BB33_3 Depth=1
	s_delay_alu instid0(SALU_CYCLE_1)
	s_or_b32 exec_lo, exec_lo, s4
.LBB33_65:                              ;   in Loop: Header=BB33_3 Depth=1
	s_delay_alu instid0(SALU_CYCLE_1)
	s_or_b32 exec_lo, exec_lo, s1
	s_waitcnt lgkmcnt(0)
	s_clause 0x1
	global_load_b64 v[34:35], v10, s[2:3] offset:40
	global_load_b128 v[25:28], v10, s[2:3]
	v_readfirstlane_b32 s4, v31
	v_readfirstlane_b32 s5, v32
	s_mov_b32 s1, exec_lo
	s_waitcnt vmcnt(1)
	v_readfirstlane_b32 s6, v34
	v_readfirstlane_b32 s7, v35
	s_delay_alu instid0(VALU_DEP_1) | instskip(NEXT) | instid1(SALU_CYCLE_1)
	s_and_b64 s[6:7], s[4:5], s[6:7]
	s_mul_i32 s13, s7, 24
	s_mul_hi_u32 s14, s6, 24
	s_mul_i32 s15, s6, 24
	s_add_i32 s14, s14, s13
	s_waitcnt vmcnt(0)
	v_add_co_u32 v31, vcc_lo, v25, s15
	v_add_co_ci_u32_e32 v32, vcc_lo, s14, v26, vcc_lo
	s_and_saveexec_b32 s13, s0
	s_cbranch_execz .LBB33_67
; %bb.66:                               ;   in Loop: Header=BB33_3 Depth=1
	v_mov_b32_e32 v9, s1
	global_store_b128 v[31:32], v[9:12], off offset:8
.LBB33_67:                              ;   in Loop: Header=BB33_3 Depth=1
	s_or_b32 exec_lo, exec_lo, s13
	v_cmp_lt_u64_e32 vcc_lo, 56, v[4:5]
	v_or_b32_e32 v9, 0, v1
	v_or_b32_e32 v34, v0, v6
	v_lshl_add_u32 v35, v29, 2, 28
	s_lshl_b64 s[6:7], s[6:7], 12
	s_delay_alu instid0(SALU_CYCLE_1) | instskip(NEXT) | instid1(VALU_DEP_1)
	v_add_co_u32 v27, s1, v27, s6
	v_add_co_ci_u32_e64 v28, s1, s7, v28, s1
	v_dual_cndmask_b32 v1, v9, v1 :: v_dual_cndmask_b32 v0, v34, v0
	v_and_b32_e32 v9, 0x1e0, v35
	v_lshlrev_b32_e32 v34, 6, v33
	v_readfirstlane_b32 s6, v27
	v_readfirstlane_b32 s7, v28
	s_delay_alu instid0(VALU_DEP_4)
	v_and_or_b32 v0, 0xffffff1f, v0, v9
	s_clause 0x3
	global_store_b128 v34, v[0:3], s[6:7]
	global_store_b128 v34, v[13:16], s[6:7] offset:16
	global_store_b128 v34, v[17:20], s[6:7] offset:32
	;; [unrolled: 1-line block ×3, first 2 shown]
	s_and_saveexec_b32 s1, s0
	s_cbranch_execz .LBB33_75
; %bb.68:                               ;   in Loop: Header=BB33_3 Depth=1
	s_clause 0x1
	global_load_b64 v[17:18], v10, s[2:3] offset:32 glc
	global_load_b64 v[0:1], v10, s[2:3] offset:40
	v_dual_mov_b32 v15, s4 :: v_dual_mov_b32 v16, s5
	s_waitcnt vmcnt(0)
	v_readfirstlane_b32 s6, v0
	v_readfirstlane_b32 s7, v1
	s_delay_alu instid0(VALU_DEP_1) | instskip(NEXT) | instid1(SALU_CYCLE_1)
	s_and_b64 s[6:7], s[6:7], s[4:5]
	s_mul_i32 s7, s7, 24
	s_mul_hi_u32 s13, s6, 24
	s_mul_i32 s6, s6, 24
	s_add_i32 s13, s13, s7
	v_add_co_u32 v13, vcc_lo, v25, s6
	v_add_co_ci_u32_e32 v14, vcc_lo, s13, v26, vcc_lo
	s_mov_b32 s6, exec_lo
	global_store_b64 v[13:14], v[17:18], off
	s_waitcnt_vscnt null, 0x0
	global_atomic_cmpswap_b64 v[2:3], v10, v[15:18], s[2:3] offset:32 glc
	s_waitcnt vmcnt(0)
	v_cmpx_ne_u64_e64 v[2:3], v[17:18]
	s_cbranch_execz .LBB33_71
; %bb.69:                               ;   in Loop: Header=BB33_3 Depth=1
	s_mov_b32 s7, 0
.LBB33_70:                              ;   Parent Loop BB33_3 Depth=1
                                        ; =>  This Inner Loop Header: Depth=2
	v_dual_mov_b32 v0, s4 :: v_dual_mov_b32 v1, s5
	s_sleep 1
	global_store_b64 v[13:14], v[2:3], off
	s_waitcnt_vscnt null, 0x0
	global_atomic_cmpswap_b64 v[0:1], v10, v[0:3], s[2:3] offset:32 glc
	s_waitcnt vmcnt(0)
	v_cmp_eq_u64_e32 vcc_lo, v[0:1], v[2:3]
	v_dual_mov_b32 v3, v1 :: v_dual_mov_b32 v2, v0
	s_or_b32 s7, vcc_lo, s7
	s_delay_alu instid0(SALU_CYCLE_1)
	s_and_not1_b32 exec_lo, exec_lo, s7
	s_cbranch_execnz .LBB33_70
.LBB33_71:                              ;   in Loop: Header=BB33_3 Depth=1
	s_or_b32 exec_lo, exec_lo, s6
	global_load_b64 v[0:1], v10, s[2:3] offset:16
	s_mov_b32 s7, exec_lo
	s_mov_b32 s6, exec_lo
	v_mbcnt_lo_u32_b32 v2, s7, 0
	s_delay_alu instid0(VALU_DEP_1)
	v_cmpx_eq_u32_e32 0, v2
	s_cbranch_execz .LBB33_73
; %bb.72:                               ;   in Loop: Header=BB33_3 Depth=1
	s_bcnt1_i32_b32 s7, s7
	s_delay_alu instid0(SALU_CYCLE_1)
	v_mov_b32_e32 v9, s7
	s_waitcnt vmcnt(0)
	global_atomic_add_u64 v[0:1], v[9:10], off offset:8
.LBB33_73:                              ;   in Loop: Header=BB33_3 Depth=1
	s_or_b32 exec_lo, exec_lo, s6
	s_waitcnt vmcnt(0)
	global_load_b64 v[2:3], v[0:1], off offset:16
	s_waitcnt vmcnt(0)
	v_cmp_eq_u64_e32 vcc_lo, 0, v[2:3]
	s_cbranch_vccnz .LBB33_75
; %bb.74:                               ;   in Loop: Header=BB33_3 Depth=1
	global_load_b32 v9, v[0:1], off offset:24
	s_waitcnt vmcnt(0)
	v_and_b32_e32 v0, 0xffffff, v9
	s_waitcnt_vscnt null, 0x0
	global_store_b64 v[2:3], v[9:10], off
	v_readfirstlane_b32 m0, v0
	s_sendmsg sendmsg(MSG_INTERRUPT)
.LBB33_75:                              ;   in Loop: Header=BB33_3 Depth=1
	s_or_b32 exec_lo, exec_lo, s1
	v_add_co_u32 v0, vcc_lo, v27, v34
	v_add_co_ci_u32_e32 v1, vcc_lo, 0, v28, vcc_lo
	s_branch .LBB33_79
	.p2align	6
.LBB33_76:                              ;   in Loop: Header=BB33_79 Depth=2
	s_or_b32 exec_lo, exec_lo, s1
	s_delay_alu instid0(VALU_DEP_1) | instskip(NEXT) | instid1(VALU_DEP_1)
	v_readfirstlane_b32 s1, v2
	s_cmp_eq_u32 s1, 0
	s_cbranch_scc1 .LBB33_78
; %bb.77:                               ;   in Loop: Header=BB33_79 Depth=2
	s_sleep 1
	s_cbranch_execnz .LBB33_79
	s_branch .LBB33_81
	.p2align	6
.LBB33_78:                              ;   in Loop: Header=BB33_3 Depth=1
	s_branch .LBB33_81
.LBB33_79:                              ;   Parent Loop BB33_3 Depth=1
                                        ; =>  This Inner Loop Header: Depth=2
	v_mov_b32_e32 v2, 1
	s_and_saveexec_b32 s1, s0
	s_cbranch_execz .LBB33_76
; %bb.80:                               ;   in Loop: Header=BB33_79 Depth=2
	global_load_b32 v2, v[31:32], off offset:20 glc
	s_waitcnt vmcnt(0)
	buffer_gl1_inv
	buffer_gl0_inv
	v_and_b32_e32 v2, 1, v2
	s_branch .LBB33_76
.LBB33_81:                              ;   in Loop: Header=BB33_3 Depth=1
	global_load_b128 v[0:3], v[0:1], off
	s_and_saveexec_b32 s1, s0
	s_cbranch_execz .LBB33_2
; %bb.82:                               ;   in Loop: Header=BB33_3 Depth=1
	s_clause 0x2
	global_load_b64 v[2:3], v10, s[2:3] offset:40
	global_load_b64 v[17:18], v10, s[2:3] offset:24 glc
	global_load_b64 v[15:16], v10, s[2:3]
	s_waitcnt vmcnt(2)
	v_add_co_u32 v9, vcc_lo, v2, 1
	v_add_co_ci_u32_e32 v19, vcc_lo, 0, v3, vcc_lo
	s_delay_alu instid0(VALU_DEP_2) | instskip(NEXT) | instid1(VALU_DEP_2)
	v_add_co_u32 v13, vcc_lo, v9, s4
	v_add_co_ci_u32_e32 v14, vcc_lo, s5, v19, vcc_lo
	s_delay_alu instid0(VALU_DEP_1) | instskip(SKIP_1) | instid1(VALU_DEP_1)
	v_cmp_eq_u64_e32 vcc_lo, 0, v[13:14]
	v_dual_cndmask_b32 v14, v14, v19 :: v_dual_cndmask_b32 v13, v13, v9
	v_and_b32_e32 v3, v14, v3
	s_delay_alu instid0(VALU_DEP_2) | instskip(NEXT) | instid1(VALU_DEP_2)
	v_and_b32_e32 v2, v13, v2
	v_mul_lo_u32 v3, v3, 24
	s_delay_alu instid0(VALU_DEP_2) | instskip(SKIP_1) | instid1(VALU_DEP_2)
	v_mul_hi_u32 v9, v2, 24
	v_mul_lo_u32 v2, v2, 24
	v_add_nc_u32_e32 v3, v9, v3
	s_waitcnt vmcnt(0)
	s_delay_alu instid0(VALU_DEP_2) | instskip(SKIP_1) | instid1(VALU_DEP_3)
	v_add_co_u32 v2, vcc_lo, v15, v2
	v_mov_b32_e32 v15, v17
	v_add_co_ci_u32_e32 v3, vcc_lo, v16, v3, vcc_lo
	v_mov_b32_e32 v16, v18
	global_store_b64 v[2:3], v[17:18], off
	s_waitcnt_vscnt null, 0x0
	global_atomic_cmpswap_b64 v[15:16], v10, v[13:16], s[2:3] offset:24 glc
	s_waitcnt vmcnt(0)
	v_cmp_ne_u64_e32 vcc_lo, v[15:16], v[17:18]
	s_and_b32 exec_lo, exec_lo, vcc_lo
	s_cbranch_execz .LBB33_2
; %bb.83:                               ;   in Loop: Header=BB33_3 Depth=1
	s_mov_b32 s0, 0
.LBB33_84:                              ;   Parent Loop BB33_3 Depth=1
                                        ; =>  This Inner Loop Header: Depth=2
	s_sleep 1
	global_store_b64 v[2:3], v[15:16], off
	s_waitcnt_vscnt null, 0x0
	global_atomic_cmpswap_b64 v[17:18], v10, v[13:16], s[2:3] offset:24 glc
	s_waitcnt vmcnt(0)
	v_cmp_eq_u64_e32 vcc_lo, v[17:18], v[15:16]
	v_dual_mov_b32 v15, v17 :: v_dual_mov_b32 v16, v18
	s_or_b32 s0, vcc_lo, s0
	s_delay_alu instid0(SALU_CYCLE_1)
	s_and_not1_b32 exec_lo, exec_lo, s0
	s_cbranch_execnz .LBB33_84
	s_branch .LBB33_2
.LBB33_85:
	s_or_b32 exec_lo, exec_lo, s12
                                        ; implicit-def: $vgpr0
                                        ; implicit-def: $vgpr33
                                        ; implicit-def: $vgpr1
.LBB33_86:
	s_and_not1_saveexec_b32 s1, s10
	s_cbranch_execz .LBB33_108
; %bb.87:
	s_load_b64 s[2:3], s[8:9], 0x50
	v_readfirstlane_b32 s0, v33
	v_mov_b32_e32 v8, 0
	v_mov_b32_e32 v9, 0
	s_delay_alu instid0(VALU_DEP_3) | instskip(NEXT) | instid1(VALU_DEP_1)
	v_cmp_eq_u32_e64 s0, s0, v33
	s_and_saveexec_b32 s4, s0
	s_cbranch_execz .LBB33_93
; %bb.88:
	s_waitcnt vmcnt(0)
	v_mov_b32_e32 v2, 0
	s_mov_b32 s5, exec_lo
	s_waitcnt lgkmcnt(0)
	global_load_b64 v[5:6], v2, s[2:3] offset:24 glc
	s_waitcnt vmcnt(0)
	buffer_gl1_inv
	buffer_gl0_inv
	s_clause 0x1
	global_load_b64 v[3:4], v2, s[2:3] offset:40
	global_load_b64 v[7:8], v2, s[2:3]
	s_waitcnt vmcnt(1)
	v_and_b32_e32 v3, v3, v5
	v_and_b32_e32 v4, v4, v6
	s_delay_alu instid0(VALU_DEP_2) | instskip(NEXT) | instid1(VALU_DEP_2)
	v_mul_hi_u32 v9, v3, 24
	v_mul_lo_u32 v4, v4, 24
	v_mul_lo_u32 v3, v3, 24
	s_delay_alu instid0(VALU_DEP_2) | instskip(SKIP_1) | instid1(VALU_DEP_2)
	v_add_nc_u32_e32 v4, v9, v4
	s_waitcnt vmcnt(0)
	v_add_co_u32 v3, vcc_lo, v7, v3
	s_delay_alu instid0(VALU_DEP_2)
	v_add_co_ci_u32_e32 v4, vcc_lo, v8, v4, vcc_lo
	global_load_b64 v[3:4], v[3:4], off glc
	s_waitcnt vmcnt(0)
	global_atomic_cmpswap_b64 v[8:9], v2, v[3:6], s[2:3] offset:24 glc
	s_waitcnt vmcnt(0)
	buffer_gl1_inv
	buffer_gl0_inv
	v_cmpx_ne_u64_e64 v[8:9], v[5:6]
	s_cbranch_execz .LBB33_92
; %bb.89:
	s_mov_b32 s6, 0
	.p2align	6
.LBB33_90:                              ; =>This Inner Loop Header: Depth=1
	s_sleep 1
	s_clause 0x1
	global_load_b64 v[3:4], v2, s[2:3] offset:40
	global_load_b64 v[10:11], v2, s[2:3]
	v_dual_mov_b32 v5, v8 :: v_dual_mov_b32 v6, v9
	s_waitcnt vmcnt(1)
	s_delay_alu instid0(VALU_DEP_1) | instskip(NEXT) | instid1(VALU_DEP_2)
	v_and_b32_e32 v3, v3, v5
	v_and_b32_e32 v4, v4, v6
	s_waitcnt vmcnt(0)
	s_delay_alu instid0(VALU_DEP_2) | instskip(NEXT) | instid1(VALU_DEP_1)
	v_mad_u64_u32 v[7:8], null, v3, 24, v[10:11]
	v_mov_b32_e32 v3, v8
	s_delay_alu instid0(VALU_DEP_1)
	v_mad_u64_u32 v[8:9], null, v4, 24, v[3:4]
	global_load_b64 v[3:4], v[7:8], off glc
	s_waitcnt vmcnt(0)
	global_atomic_cmpswap_b64 v[8:9], v2, v[3:6], s[2:3] offset:24 glc
	s_waitcnt vmcnt(0)
	buffer_gl1_inv
	buffer_gl0_inv
	v_cmp_eq_u64_e32 vcc_lo, v[8:9], v[5:6]
	s_or_b32 s6, vcc_lo, s6
	s_delay_alu instid0(SALU_CYCLE_1)
	s_and_not1_b32 exec_lo, exec_lo, s6
	s_cbranch_execnz .LBB33_90
; %bb.91:
	s_or_b32 exec_lo, exec_lo, s6
.LBB33_92:
	s_delay_alu instid0(SALU_CYCLE_1)
	s_or_b32 exec_lo, exec_lo, s5
.LBB33_93:
	s_delay_alu instid0(SALU_CYCLE_1)
	s_or_b32 exec_lo, exec_lo, s4
	s_waitcnt vmcnt(0)
	v_mov_b32_e32 v2, 0
	v_readfirstlane_b32 s4, v8
	v_readfirstlane_b32 s5, v9
	s_mov_b32 s8, exec_lo
	s_waitcnt lgkmcnt(0)
	s_clause 0x1
	global_load_b64 v[10:11], v2, s[2:3] offset:40
	global_load_b128 v[4:7], v2, s[2:3]
	s_waitcnt vmcnt(1)
	v_readfirstlane_b32 s6, v10
	v_readfirstlane_b32 s7, v11
	s_delay_alu instid0(VALU_DEP_1) | instskip(NEXT) | instid1(SALU_CYCLE_1)
	s_and_b64 s[6:7], s[4:5], s[6:7]
	s_mul_i32 s9, s7, 24
	s_mul_hi_u32 s10, s6, 24
	s_mul_i32 s11, s6, 24
	s_add_i32 s10, s10, s9
	s_waitcnt vmcnt(0)
	v_add_co_u32 v8, vcc_lo, v4, s11
	v_add_co_ci_u32_e32 v9, vcc_lo, s10, v5, vcc_lo
	s_and_saveexec_b32 s9, s0
	s_cbranch_execz .LBB33_95
; %bb.94:
	v_dual_mov_b32 v10, s8 :: v_dual_mov_b32 v11, v2
	v_dual_mov_b32 v12, 2 :: v_dual_mov_b32 v13, 1
	global_store_b128 v[8:9], v[10:13], off offset:8
.LBB33_95:
	s_or_b32 exec_lo, exec_lo, s9
	s_lshl_b64 s[6:7], s[6:7], 12
	s_mov_b32 s8, 0
	v_add_co_u32 v6, vcc_lo, v6, s6
	v_add_co_ci_u32_e32 v7, vcc_lo, s7, v7, vcc_lo
	s_mov_b32 s11, s8
	s_mov_b32 s9, s8
	;; [unrolled: 1-line block ×3, first 2 shown]
	v_and_or_b32 v0, 0xffffff1f, v0, 32
	v_dual_mov_b32 v3, v2 :: v_dual_lshlrev_b32 v14, 6, v33
	v_readfirstlane_b32 s6, v6
	v_readfirstlane_b32 s7, v7
	v_dual_mov_b32 v13, s11 :: v_dual_mov_b32 v12, s10
	v_dual_mov_b32 v11, s9 :: v_dual_mov_b32 v10, s8
	s_clause 0x3
	global_store_b128 v14, v[0:3], s[6:7]
	global_store_b128 v14, v[10:13], s[6:7] offset:16
	global_store_b128 v14, v[10:13], s[6:7] offset:32
	;; [unrolled: 1-line block ×3, first 2 shown]
	s_and_saveexec_b32 s6, s0
	s_cbranch_execz .LBB33_102
; %bb.96:
	v_mov_b32_e32 v6, 0
	s_mov_b32 s7, exec_lo
	s_clause 0x1
	global_load_b64 v[12:13], v6, s[2:3] offset:32 glc
	global_load_b64 v[0:1], v6, s[2:3] offset:40
	v_dual_mov_b32 v11, s5 :: v_dual_mov_b32 v10, s4
	s_waitcnt vmcnt(0)
	v_and_b32_e32 v1, s5, v1
	v_and_b32_e32 v0, s4, v0
	s_delay_alu instid0(VALU_DEP_2) | instskip(NEXT) | instid1(VALU_DEP_2)
	v_mul_lo_u32 v1, v1, 24
	v_mul_hi_u32 v2, v0, 24
	v_mul_lo_u32 v0, v0, 24
	s_delay_alu instid0(VALU_DEP_2) | instskip(NEXT) | instid1(VALU_DEP_2)
	v_add_nc_u32_e32 v1, v2, v1
	v_add_co_u32 v4, vcc_lo, v4, v0
	s_delay_alu instid0(VALU_DEP_2)
	v_add_co_ci_u32_e32 v5, vcc_lo, v5, v1, vcc_lo
	global_store_b64 v[4:5], v[12:13], off
	s_waitcnt_vscnt null, 0x0
	global_atomic_cmpswap_b64 v[2:3], v6, v[10:13], s[2:3] offset:32 glc
	s_waitcnt vmcnt(0)
	v_cmpx_ne_u64_e64 v[2:3], v[12:13]
	s_cbranch_execz .LBB33_98
.LBB33_97:                              ; =>This Inner Loop Header: Depth=1
	v_dual_mov_b32 v0, s4 :: v_dual_mov_b32 v1, s5
	s_sleep 1
	global_store_b64 v[4:5], v[2:3], off
	s_waitcnt_vscnt null, 0x0
	global_atomic_cmpswap_b64 v[0:1], v6, v[0:3], s[2:3] offset:32 glc
	s_waitcnt vmcnt(0)
	v_cmp_eq_u64_e32 vcc_lo, v[0:1], v[2:3]
	v_dual_mov_b32 v3, v1 :: v_dual_mov_b32 v2, v0
	s_or_b32 s8, vcc_lo, s8
	s_delay_alu instid0(SALU_CYCLE_1)
	s_and_not1_b32 exec_lo, exec_lo, s8
	s_cbranch_execnz .LBB33_97
.LBB33_98:
	s_or_b32 exec_lo, exec_lo, s7
	v_mov_b32_e32 v3, 0
	s_mov_b32 s8, exec_lo
	s_mov_b32 s7, exec_lo
	v_mbcnt_lo_u32_b32 v2, s8, 0
	global_load_b64 v[0:1], v3, s[2:3] offset:16
	v_cmpx_eq_u32_e32 0, v2
	s_cbranch_execz .LBB33_100
; %bb.99:
	s_bcnt1_i32_b32 s8, s8
	s_delay_alu instid0(SALU_CYCLE_1)
	v_mov_b32_e32 v2, s8
	s_waitcnt vmcnt(0)
	global_atomic_add_u64 v[0:1], v[2:3], off offset:8
.LBB33_100:
	s_or_b32 exec_lo, exec_lo, s7
	s_waitcnt vmcnt(0)
	global_load_b64 v[2:3], v[0:1], off offset:16
	s_waitcnt vmcnt(0)
	v_cmp_eq_u64_e32 vcc_lo, 0, v[2:3]
	s_cbranch_vccnz .LBB33_102
; %bb.101:
	global_load_b32 v0, v[0:1], off offset:24
	s_waitcnt vmcnt(0)
	v_dual_mov_b32 v1, 0 :: v_dual_and_b32 v4, 0xffffff, v0
	s_waitcnt_vscnt null, 0x0
	global_store_b64 v[2:3], v[0:1], off
	v_readfirstlane_b32 m0, v4
	s_sendmsg sendmsg(MSG_INTERRUPT)
.LBB33_102:
	s_or_b32 exec_lo, exec_lo, s6
	s_branch .LBB33_106
	.p2align	6
.LBB33_103:                             ;   in Loop: Header=BB33_106 Depth=1
	s_or_b32 exec_lo, exec_lo, s6
	s_delay_alu instid0(VALU_DEP_1) | instskip(NEXT) | instid1(VALU_DEP_1)
	v_readfirstlane_b32 s6, v0
	s_cmp_eq_u32 s6, 0
	s_cbranch_scc1 .LBB33_105
; %bb.104:                              ;   in Loop: Header=BB33_106 Depth=1
	s_sleep 1
	s_cbranch_execnz .LBB33_106
	s_branch .LBB33_109
	.p2align	6
.LBB33_105:
	s_branch .LBB33_109
.LBB33_106:                             ; =>This Inner Loop Header: Depth=1
	v_mov_b32_e32 v0, 1
	s_and_saveexec_b32 s6, s0
	s_cbranch_execz .LBB33_103
; %bb.107:                              ;   in Loop: Header=BB33_106 Depth=1
	global_load_b32 v0, v[8:9], off offset:20 glc
	s_waitcnt vmcnt(0)
	buffer_gl1_inv
	buffer_gl0_inv
	v_and_b32_e32 v0, 1, v0
	s_branch .LBB33_103
.LBB33_108:
	s_or_b32 exec_lo, exec_lo, s1
	s_waitcnt vmcnt(0) lgkmcnt(0)
	s_setpc_b64 s[30:31]
.LBB33_109:
	s_and_saveexec_b32 s6, s0
	s_cbranch_execz .LBB33_113
; %bb.110:
	v_mov_b32_e32 v6, 0
	s_clause 0x2
	global_load_b64 v[2:3], v6, s[2:3] offset:40
	global_load_b64 v[7:8], v6, s[2:3] offset:24 glc
	global_load_b64 v[4:5], v6, s[2:3]
	s_waitcnt vmcnt(2)
	v_add_co_u32 v9, vcc_lo, v2, 1
	v_add_co_ci_u32_e32 v10, vcc_lo, 0, v3, vcc_lo
	s_delay_alu instid0(VALU_DEP_2) | instskip(NEXT) | instid1(VALU_DEP_2)
	v_add_co_u32 v0, vcc_lo, v9, s4
	v_add_co_ci_u32_e32 v1, vcc_lo, s5, v10, vcc_lo
	s_delay_alu instid0(VALU_DEP_1) | instskip(SKIP_1) | instid1(VALU_DEP_1)
	v_cmp_eq_u64_e32 vcc_lo, 0, v[0:1]
	v_dual_cndmask_b32 v1, v1, v10 :: v_dual_cndmask_b32 v0, v0, v9
	v_and_b32_e32 v3, v1, v3
	s_delay_alu instid0(VALU_DEP_2) | instskip(NEXT) | instid1(VALU_DEP_2)
	v_and_b32_e32 v2, v0, v2
	v_mul_lo_u32 v3, v3, 24
	s_delay_alu instid0(VALU_DEP_2) | instskip(SKIP_1) | instid1(VALU_DEP_2)
	v_mul_hi_u32 v9, v2, 24
	v_mul_lo_u32 v2, v2, 24
	v_add_nc_u32_e32 v3, v9, v3
	s_waitcnt vmcnt(0)
	s_delay_alu instid0(VALU_DEP_2) | instskip(SKIP_1) | instid1(VALU_DEP_3)
	v_add_co_u32 v4, vcc_lo, v4, v2
	v_mov_b32_e32 v2, v7
	v_add_co_ci_u32_e32 v5, vcc_lo, v5, v3, vcc_lo
	v_mov_b32_e32 v3, v8
	global_store_b64 v[4:5], v[7:8], off
	s_waitcnt_vscnt null, 0x0
	global_atomic_cmpswap_b64 v[2:3], v6, v[0:3], s[2:3] offset:24 glc
	s_waitcnt vmcnt(0)
	v_cmp_ne_u64_e32 vcc_lo, v[2:3], v[7:8]
	s_and_b32 exec_lo, exec_lo, vcc_lo
	s_cbranch_execz .LBB33_113
; %bb.111:
	s_mov_b32 s0, 0
.LBB33_112:                             ; =>This Inner Loop Header: Depth=1
	s_sleep 1
	global_store_b64 v[4:5], v[2:3], off
	s_waitcnt_vscnt null, 0x0
	global_atomic_cmpswap_b64 v[7:8], v6, v[0:3], s[2:3] offset:24 glc
	s_waitcnt vmcnt(0)
	v_cmp_eq_u64_e32 vcc_lo, v[7:8], v[2:3]
	v_dual_mov_b32 v2, v7 :: v_dual_mov_b32 v3, v8
	s_or_b32 s0, vcc_lo, s0
	s_delay_alu instid0(SALU_CYCLE_1)
	s_and_not1_b32 exec_lo, exec_lo, s0
	s_cbranch_execnz .LBB33_112
.LBB33_113:
	s_or_b32 exec_lo, exec_lo, s6
	s_delay_alu instid0(SALU_CYCLE_1)
	s_or_b32 exec_lo, exec_lo, s1
	s_waitcnt lgkmcnt(0)
	s_setpc_b64 s[30:31]
.Lfunc_end33:
	.size	__ockl_fprintf_append_string_n, .Lfunc_end33-__ockl_fprintf_append_string_n
                                        ; -- End function
	.section	.AMDGPU.csdata,"",@progbits
; Function info:
; codeLenInByte = 4740
; NumSgprs: 34
; NumVgprs: 36
; ScratchSize: 0
; MemoryBound: 0
	.text
	.p2align	2                               ; -- Begin function __assert_fail
	.type	__assert_fail,@function
__assert_fail:                          ; @__assert_fail
; %bb.0:
	s_waitcnt vmcnt(0) expcnt(0) lgkmcnt(0)
	s_mov_b32 s20, s33
	s_mov_b32 s33, s32
	s_or_saveexec_b32 s0, -1
	scratch_store_b32 off, v40, s33 offset:48 ; 4-byte Folded Spill
	s_mov_b32 exec_lo, s0
	v_writelane_b32 v40, s30, 0
	s_add_i32 s32, s32, 64
	v_writelane_b32 v40, s31, 1
	s_getpc_b64 s[0:1]
	s_add_u32 s0, s0, __const.__assert_fail.fmt@rel32@lo+4
	s_addc_u32 s1, s1, __const.__assert_fail.fmt@rel32@hi+12
	s_getpc_b64 s[2:3]
	s_add_u32 s2, s2, __const.__assert_fail.fmt@rel32@lo+20
	s_addc_u32 s3, s3, __const.__assert_fail.fmt@rel32@hi+28
	v_mbcnt_lo_u32_b32 v35, -1, 0
	s_clause 0x1
	s_load_b128 s[4:7], s[0:1], 0x0
	s_load_b128 s[12:15], s[2:3], 0x0
	s_load_b64 s[2:3], s[8:9], 0x50
	v_dual_mov_b32 v5, v1 :: v_dual_mov_b32 v4, v0
	v_mov_b32_e32 v14, 0x73256020
	v_readfirstlane_b32 s0, v35
	v_mov_b32_e32 v0, 0
	v_dual_mov_b32 v2, 0 :: v_dual_mov_b32 v3, 0xa2e
	v_mov_b32_e32 v15, 0x61662027
	v_dual_mov_b32 v16, 0x64656c69 :: v_dual_mov_b32 v1, 0
	v_cmp_eq_u32_e64 s0, s0, v35
	s_waitcnt lgkmcnt(0)
	v_dual_mov_b32 v9, s7 :: v_dual_mov_b32 v8, s6
	v_dual_mov_b32 v7, s5 :: v_dual_mov_b32 v6, s4
	;; [unrolled: 1-line block ×4, first 2 shown]
	s_clause 0x4
	scratch_store_b128 off, v[6:9], s33
	scratch_store_b128 off, v[10:13], s33 offset:16
	scratch_store_b8 off, v2, s33 offset:46
	scratch_store_b16 off, v3, s33 offset:44
	scratch_store_b96 off, v[14:16], s33 offset:32
	s_and_saveexec_b32 s1, s0
	s_cbranch_execz .LBB34_6
; %bb.1:
	global_load_b64 v[8:9], v2, s[2:3] offset:24 glc
	s_waitcnt vmcnt(0)
	buffer_gl1_inv
	buffer_gl0_inv
	s_clause 0x1
	global_load_b64 v[0:1], v2, s[2:3] offset:40
	global_load_b64 v[6:7], v2, s[2:3]
	s_mov_b32 s4, exec_lo
	s_waitcnt vmcnt(1)
	v_and_b32_e32 v1, v1, v9
	v_and_b32_e32 v0, v0, v8
	s_delay_alu instid0(VALU_DEP_2) | instskip(NEXT) | instid1(VALU_DEP_2)
	v_mul_lo_u32 v1, v1, 24
	v_mul_hi_u32 v3, v0, 24
	v_mul_lo_u32 v0, v0, 24
	s_delay_alu instid0(VALU_DEP_2) | instskip(SKIP_1) | instid1(VALU_DEP_2)
	v_add_nc_u32_e32 v1, v3, v1
	s_waitcnt vmcnt(0)
	v_add_co_u32 v0, vcc_lo, v6, v0
	s_delay_alu instid0(VALU_DEP_2)
	v_add_co_ci_u32_e32 v1, vcc_lo, v7, v1, vcc_lo
	global_load_b64 v[6:7], v[0:1], off glc
	s_waitcnt vmcnt(0)
	global_atomic_cmpswap_b64 v[0:1], v2, v[6:9], s[2:3] offset:24 glc
	s_waitcnt vmcnt(0)
	buffer_gl1_inv
	buffer_gl0_inv
	v_cmpx_ne_u64_e64 v[0:1], v[8:9]
	s_cbranch_execz .LBB34_5
; %bb.2:
	s_mov_b32 s5, 0
	.p2align	6
.LBB34_3:                               ; =>This Inner Loop Header: Depth=1
	s_sleep 1
	s_clause 0x1
	global_load_b64 v[6:7], v2, s[2:3] offset:40
	global_load_b64 v[10:11], v2, s[2:3]
	v_dual_mov_b32 v9, v1 :: v_dual_mov_b32 v8, v0
	s_waitcnt vmcnt(1)
	s_delay_alu instid0(VALU_DEP_1) | instskip(SKIP_1) | instid1(VALU_DEP_1)
	v_and_b32_e32 v3, v6, v8
	s_waitcnt vmcnt(0)
	v_mad_u64_u32 v[0:1], null, v3, 24, v[10:11]
	v_and_b32_e32 v3, v7, v9
	s_delay_alu instid0(VALU_DEP_1) | instskip(NEXT) | instid1(VALU_DEP_1)
	v_mad_u64_u32 v[6:7], null, v3, 24, v[1:2]
	v_mov_b32_e32 v1, v6
	global_load_b64 v[6:7], v[0:1], off glc
	s_waitcnt vmcnt(0)
	global_atomic_cmpswap_b64 v[0:1], v2, v[6:9], s[2:3] offset:24 glc
	s_waitcnt vmcnt(0)
	buffer_gl1_inv
	buffer_gl0_inv
	v_cmp_eq_u64_e32 vcc_lo, v[0:1], v[8:9]
	s_or_b32 s5, vcc_lo, s5
	s_delay_alu instid0(SALU_CYCLE_1)
	s_and_not1_b32 exec_lo, exec_lo, s5
	s_cbranch_execnz .LBB34_3
; %bb.4:
	s_or_b32 exec_lo, exec_lo, s5
.LBB34_5:
	s_delay_alu instid0(SALU_CYCLE_1)
	s_or_b32 exec_lo, exec_lo, s4
.LBB34_6:
	s_delay_alu instid0(SALU_CYCLE_1)
	s_or_b32 exec_lo, exec_lo, s1
	s_clause 0x1
	global_load_b64 v[10:11], v2, s[2:3] offset:40
	global_load_b128 v[6:9], v2, s[2:3]
	v_readfirstlane_b32 s4, v0
	v_readfirstlane_b32 s5, v1
	s_mov_b32 s1, exec_lo
	s_waitcnt vmcnt(1)
	v_readfirstlane_b32 s6, v10
	v_readfirstlane_b32 s7, v11
	s_delay_alu instid0(VALU_DEP_1) | instskip(NEXT) | instid1(SALU_CYCLE_1)
	s_and_b64 s[6:7], s[4:5], s[6:7]
	s_mul_i32 s10, s7, 24
	s_mul_hi_u32 s11, s6, 24
	s_mul_i32 s12, s6, 24
	s_add_i32 s11, s11, s10
	s_waitcnt vmcnt(0)
	v_add_co_u32 v10, vcc_lo, v6, s12
	v_add_co_ci_u32_e32 v11, vcc_lo, s11, v7, vcc_lo
	s_and_saveexec_b32 s10, s0
	s_cbranch_execz .LBB34_8
; %bb.7:
	v_dual_mov_b32 v0, s1 :: v_dual_mov_b32 v1, 0
	v_dual_mov_b32 v2, 2 :: v_dual_mov_b32 v3, 1
	global_store_b128 v[10:11], v[0:3], off offset:8
.LBB34_8:
	s_or_b32 exec_lo, exec_lo, s10
	s_lshl_b64 s[6:7], s[6:7], 12
	v_dual_mov_b32 v1, 0 :: v_dual_lshlrev_b32 v34, 6, v35
	v_add_co_u32 v8, vcc_lo, v8, s6
	v_add_co_ci_u32_e32 v9, vcc_lo, s7, v9, vcc_lo
	s_mov_b32 s12, 0
	s_delay_alu instid0(VALU_DEP_2)
	v_add_co_u32 v12, vcc_lo, v8, v34
	s_mov_b32 s15, s12
	s_mov_b32 s13, s12
	;; [unrolled: 1-line block ×3, first 2 shown]
	v_dual_mov_b32 v0, 33 :: v_dual_mov_b32 v3, v1
	v_dual_mov_b32 v2, 1 :: v_dual_mov_b32 v17, s15
	v_readfirstlane_b32 s6, v8
	v_readfirstlane_b32 s7, v9
	v_add_co_ci_u32_e32 v13, vcc_lo, 0, v9, vcc_lo
	v_dual_mov_b32 v16, s14 :: v_dual_mov_b32 v15, s13
	v_mov_b32_e32 v14, s12
	s_clause 0x3
	global_store_b128 v34, v[0:3], s[6:7]
	global_store_b128 v34, v[14:17], s[6:7] offset:16
	global_store_b128 v34, v[14:17], s[6:7] offset:32
	;; [unrolled: 1-line block ×3, first 2 shown]
	s_and_saveexec_b32 s1, s0
	s_cbranch_execz .LBB34_16
; %bb.9:
	s_clause 0x1
	global_load_b64 v[16:17], v1, s[2:3] offset:32 glc
	global_load_b64 v[2:3], v1, s[2:3] offset:40
	v_mov_b32_e32 v14, s4
	s_mov_b32 s6, exec_lo
	s_waitcnt vmcnt(0)
	v_dual_mov_b32 v15, s5 :: v_dual_and_b32 v0, s5, v3
	v_and_b32_e32 v2, s4, v2
	s_delay_alu instid0(VALU_DEP_2) | instskip(NEXT) | instid1(VALU_DEP_2)
	v_mul_lo_u32 v0, v0, 24
	v_mul_hi_u32 v3, v2, 24
	v_mul_lo_u32 v2, v2, 24
	s_delay_alu instid0(VALU_DEP_2) | instskip(NEXT) | instid1(VALU_DEP_2)
	v_add_nc_u32_e32 v0, v3, v0
	v_add_co_u32 v2, vcc_lo, v6, v2
	s_delay_alu instid0(VALU_DEP_2)
	v_add_co_ci_u32_e32 v3, vcc_lo, v7, v0, vcc_lo
	global_store_b64 v[2:3], v[16:17], off
	s_waitcnt_vscnt null, 0x0
	global_atomic_cmpswap_b64 v[8:9], v1, v[14:17], s[2:3] offset:32 glc
	s_waitcnt vmcnt(0)
	v_cmpx_ne_u64_e64 v[8:9], v[16:17]
	s_cbranch_execz .LBB34_12
; %bb.10:
	s_mov_b32 s7, 0
.LBB34_11:                              ; =>This Inner Loop Header: Depth=1
	v_dual_mov_b32 v6, s4 :: v_dual_mov_b32 v7, s5
	s_sleep 1
	global_store_b64 v[2:3], v[8:9], off
	s_waitcnt_vscnt null, 0x0
	global_atomic_cmpswap_b64 v[6:7], v1, v[6:9], s[2:3] offset:32 glc
	s_waitcnt vmcnt(0)
	v_cmp_eq_u64_e32 vcc_lo, v[6:7], v[8:9]
	v_dual_mov_b32 v9, v7 :: v_dual_mov_b32 v8, v6
	s_or_b32 s7, vcc_lo, s7
	s_delay_alu instid0(SALU_CYCLE_1)
	s_and_not1_b32 exec_lo, exec_lo, s7
	s_cbranch_execnz .LBB34_11
.LBB34_12:
	s_or_b32 exec_lo, exec_lo, s6
	v_mov_b32_e32 v3, 0
	s_mov_b32 s7, exec_lo
	s_mov_b32 s6, exec_lo
	v_mbcnt_lo_u32_b32 v2, s7, 0
	global_load_b64 v[0:1], v3, s[2:3] offset:16
	v_cmpx_eq_u32_e32 0, v2
	s_cbranch_execz .LBB34_14
; %bb.13:
	s_bcnt1_i32_b32 s7, s7
	s_delay_alu instid0(SALU_CYCLE_1)
	v_mov_b32_e32 v2, s7
	s_waitcnt vmcnt(0)
	global_atomic_add_u64 v[0:1], v[2:3], off offset:8
.LBB34_14:
	s_or_b32 exec_lo, exec_lo, s6
	s_waitcnt vmcnt(0)
	global_load_b64 v[2:3], v[0:1], off offset:16
	s_waitcnt vmcnt(0)
	v_cmp_eq_u64_e32 vcc_lo, 0, v[2:3]
	s_cbranch_vccnz .LBB34_16
; %bb.15:
	global_load_b32 v0, v[0:1], off offset:24
	s_waitcnt vmcnt(0)
	v_dual_mov_b32 v1, 0 :: v_dual_and_b32 v6, 0xffffff, v0
	s_waitcnt_vscnt null, 0x0
	global_store_b64 v[2:3], v[0:1], off
	v_readfirstlane_b32 m0, v6
	s_sendmsg sendmsg(MSG_INTERRUPT)
.LBB34_16:
	s_or_b32 exec_lo, exec_lo, s1
	s_branch .LBB34_20
	.p2align	6
.LBB34_17:                              ;   in Loop: Header=BB34_20 Depth=1
	s_or_b32 exec_lo, exec_lo, s1
	s_delay_alu instid0(VALU_DEP_1) | instskip(NEXT) | instid1(VALU_DEP_1)
	v_readfirstlane_b32 s1, v0
	s_cmp_eq_u32 s1, 0
	s_cbranch_scc1 .LBB34_19
; %bb.18:                               ;   in Loop: Header=BB34_20 Depth=1
	s_sleep 1
	s_cbranch_execnz .LBB34_20
	s_branch .LBB34_22
	.p2align	6
.LBB34_19:
	s_branch .LBB34_22
.LBB34_20:                              ; =>This Inner Loop Header: Depth=1
	v_mov_b32_e32 v0, 1
	s_and_saveexec_b32 s1, s0
	s_cbranch_execz .LBB34_17
; %bb.21:                               ;   in Loop: Header=BB34_20 Depth=1
	global_load_b32 v0, v[10:11], off offset:20 glc
	s_waitcnt vmcnt(0)
	buffer_gl1_inv
	buffer_gl0_inv
	v_and_b32_e32 v0, 1, v0
	s_branch .LBB34_17
.LBB34_22:
	global_load_b64 v[6:7], v[12:13], off
	s_and_saveexec_b32 s1, s0
	s_cbranch_execz .LBB34_26
; %bb.23:
	v_mov_b32_e32 v10, 0
	s_clause 0x2
	global_load_b64 v[2:3], v10, s[2:3] offset:40
	global_load_b64 v[11:12], v10, s[2:3] offset:24 glc
	global_load_b64 v[8:9], v10, s[2:3]
	s_waitcnt vmcnt(2)
	v_add_co_u32 v13, vcc_lo, v2, 1
	v_add_co_ci_u32_e32 v14, vcc_lo, 0, v3, vcc_lo
	s_delay_alu instid0(VALU_DEP_2) | instskip(NEXT) | instid1(VALU_DEP_2)
	v_add_co_u32 v0, vcc_lo, v13, s4
	v_add_co_ci_u32_e32 v1, vcc_lo, s5, v14, vcc_lo
	s_delay_alu instid0(VALU_DEP_1) | instskip(SKIP_1) | instid1(VALU_DEP_1)
	v_cmp_eq_u64_e32 vcc_lo, 0, v[0:1]
	v_dual_cndmask_b32 v1, v1, v14 :: v_dual_cndmask_b32 v0, v0, v13
	v_and_b32_e32 v3, v1, v3
	s_delay_alu instid0(VALU_DEP_2) | instskip(NEXT) | instid1(VALU_DEP_2)
	v_and_b32_e32 v2, v0, v2
	v_mul_lo_u32 v3, v3, 24
	s_delay_alu instid0(VALU_DEP_2) | instskip(SKIP_1) | instid1(VALU_DEP_2)
	v_mul_hi_u32 v13, v2, 24
	v_mul_lo_u32 v2, v2, 24
	v_add_nc_u32_e32 v3, v13, v3
	s_waitcnt vmcnt(0)
	s_delay_alu instid0(VALU_DEP_2) | instskip(SKIP_1) | instid1(VALU_DEP_3)
	v_add_co_u32 v8, vcc_lo, v8, v2
	v_mov_b32_e32 v2, v11
	v_add_co_ci_u32_e32 v9, vcc_lo, v9, v3, vcc_lo
	v_mov_b32_e32 v3, v12
	global_store_b64 v[8:9], v[11:12], off
	s_waitcnt_vscnt null, 0x0
	global_atomic_cmpswap_b64 v[2:3], v10, v[0:3], s[2:3] offset:24 glc
	s_waitcnt vmcnt(0)
	v_cmp_ne_u64_e32 vcc_lo, v[2:3], v[11:12]
	s_and_b32 exec_lo, exec_lo, vcc_lo
	s_cbranch_execz .LBB34_26
; %bb.24:
	s_mov_b32 s0, 0
.LBB34_25:                              ; =>This Inner Loop Header: Depth=1
	s_sleep 1
	global_store_b64 v[8:9], v[2:3], off
	s_waitcnt_vscnt null, 0x0
	global_atomic_cmpswap_b64 v[11:12], v10, v[0:3], s[2:3] offset:24 glc
	s_waitcnt vmcnt(0)
	v_cmp_eq_u64_e32 vcc_lo, v[11:12], v[2:3]
	v_dual_mov_b32 v2, v11 :: v_dual_mov_b32 v3, v12
	s_or_b32 s0, vcc_lo, s0
	s_delay_alu instid0(SALU_CYCLE_1)
	s_and_not1_b32 exec_lo, exec_lo, s0
	s_cbranch_execnz .LBB34_25
.LBB34_26:
	s_or_b32 exec_lo, exec_lo, s1
	v_mov_b32_e32 v1, s33
	s_mov_b32 s0, 0
.LBB34_27:                              ; =>This Inner Loop Header: Depth=1
	scratch_load_u8 v2, v1, off
	v_add_nc_u32_e32 v0, 1, v1
	s_delay_alu instid0(VALU_DEP_1) | instskip(SKIP_3) | instid1(SALU_CYCLE_1)
	v_mov_b32_e32 v1, v0
	s_waitcnt vmcnt(0)
	v_cmp_eq_u16_e32 vcc_lo, 0, v2
	s_or_b32 s0, vcc_lo, s0
	s_and_not1_b32 exec_lo, exec_lo, s0
	s_cbranch_execnz .LBB34_27
; %bb.28:
	s_or_b32 exec_lo, exec_lo, s0
	v_cmp_ne_u32_e64 s0, -1, s33
	s_delay_alu instid0(VALU_DEP_1)
	s_and_b32 vcc_lo, exec_lo, s0
	s_cbranch_vccz .LBB34_113
; %bb.29:
	v_subrev_nc_u32_e32 v28, s33, v0
	v_dual_mov_b32 v9, 0 :: v_dual_and_b32 v36, 2, v6
	v_dual_mov_b32 v1, v7 :: v_dual_and_b32 v0, -3, v6
	s_delay_alu instid0(VALU_DEP_3)
	v_ashrrev_i32_e32 v29, 31, v28
	v_dual_mov_b32 v37, s33 :: v_dual_mov_b32 v10, 2
	v_mov_b32_e32 v11, 1
	s_mov_b32 s11, 0
	s_mov_b32 s10, 0
	s_branch .LBB34_31
.LBB34_30:                              ;   in Loop: Header=BB34_31 Depth=1
	s_or_b32 exec_lo, exec_lo, s1
	v_sub_co_u32 v28, vcc_lo, v28, v30
	v_sub_co_ci_u32_e32 v29, vcc_lo, v29, v31, vcc_lo
	v_add_nc_u32_e32 v37, v37, v30
	s_delay_alu instid0(VALU_DEP_2) | instskip(SKIP_1) | instid1(SALU_CYCLE_1)
	v_cmp_eq_u64_e32 vcc_lo, 0, v[28:29]
	s_or_b32 s10, vcc_lo, s10
	s_and_not1_b32 exec_lo, exec_lo, s10
	s_cbranch_execz .LBB34_114
.LBB34_31:                              ; =>This Loop Header: Depth=1
                                        ;     Child Loop BB34_34 Depth 2
                                        ;     Child Loop BB34_42 Depth 2
                                        ;     Child Loop BB34_50 Depth 2
                                        ;     Child Loop BB34_58 Depth 2
                                        ;     Child Loop BB34_66 Depth 2
                                        ;     Child Loop BB34_74 Depth 2
                                        ;     Child Loop BB34_82 Depth 2
                                        ;     Child Loop BB34_90 Depth 2
                                        ;     Child Loop BB34_98 Depth 2
                                        ;     Child Loop BB34_107 Depth 2
                                        ;     Child Loop BB34_112 Depth 2
	v_cmp_gt_u64_e32 vcc_lo, 56, v[28:29]
	s_mov_b32 s4, exec_lo
                                        ; implicit-def: $vgpr2_vgpr3
                                        ; implicit-def: $sgpr1
	v_dual_cndmask_b32 v31, 0, v29 :: v_dual_cndmask_b32 v30, 56, v28
	v_cmpx_gt_u64_e32 8, v[28:29]
	s_xor_b32 s4, exec_lo, s4
	s_cbranch_execz .LBB34_37
; %bb.32:                               ;   in Loop: Header=BB34_31 Depth=1
	s_waitcnt vmcnt(0)
	v_mov_b32_e32 v2, 0
	v_mov_b32_e32 v3, 0
	s_mov_b64 s[0:1], 0
	s_mov_b32 s5, exec_lo
	v_cmpx_ne_u64_e32 0, v[28:29]
	s_cbranch_execz .LBB34_36
; %bb.33:                               ;   in Loop: Header=BB34_31 Depth=1
	v_lshlrev_b64 v[12:13], 3, v[30:31]
	v_mov_b32_e32 v2, 0
	v_dual_mov_b32 v3, 0 :: v_dual_mov_b32 v8, v37
	s_mov_b32 s6, 0
.LBB34_34:                              ;   Parent Loop BB34_31 Depth=1
                                        ; =>  This Inner Loop Header: Depth=2
	scratch_load_u8 v13, v8, off
	v_mov_b32_e32 v14, s11
	v_add_nc_u32_e32 v8, 1, v8
	s_waitcnt vmcnt(0)
	v_and_b32_e32 v13, 0xffff, v13
	s_delay_alu instid0(VALU_DEP_1) | instskip(SKIP_3) | instid1(VALU_DEP_2)
	v_lshlrev_b64 v[13:14], s0, v[13:14]
	s_add_u32 s0, s0, 8
	s_addc_u32 s1, s1, 0
	v_cmp_eq_u32_e32 vcc_lo, s0, v12
	v_or_b32_e32 v3, v14, v3
	s_delay_alu instid0(VALU_DEP_3) | instskip(SKIP_1) | instid1(SALU_CYCLE_1)
	v_or_b32_e32 v2, v13, v2
	s_or_b32 s6, vcc_lo, s6
	s_and_not1_b32 exec_lo, exec_lo, s6
	s_cbranch_execnz .LBB34_34
; %bb.35:                               ;   in Loop: Header=BB34_31 Depth=1
	s_or_b32 exec_lo, exec_lo, s6
.LBB34_36:                              ;   in Loop: Header=BB34_31 Depth=1
	s_delay_alu instid0(SALU_CYCLE_1)
	s_or_b32 exec_lo, exec_lo, s5
	s_mov_b32 s1, 0
.LBB34_37:                              ;   in Loop: Header=BB34_31 Depth=1
	s_or_saveexec_b32 s0, s4
	v_mov_b32_e32 v14, s1
	v_mov_b32_e32 v8, v37
	s_xor_b32 exec_lo, exec_lo, s0
	s_cbranch_execz .LBB34_39
; %bb.38:                               ;   in Loop: Header=BB34_31 Depth=1
	scratch_load_b64 v[2:3], v37, off
	v_add_nc_u32_e32 v14, -8, v30
	s_waitcnt vmcnt(0)
	v_and_b32_e32 v8, 0xff, v3
	v_and_b32_e32 v12, 0xff00, v3
	v_and_b32_e32 v13, 0xff0000, v3
	v_and_b32_e32 v3, 0xff000000, v3
	v_or3_b32 v2, v2, 0, 0
	s_delay_alu instid0(VALU_DEP_4) | instskip(NEXT) | instid1(VALU_DEP_1)
	v_or_b32_e32 v8, v8, v12
	v_or3_b32 v3, v8, v13, v3
	v_add_nc_u32_e32 v8, 8, v37
.LBB34_39:                              ;   in Loop: Header=BB34_31 Depth=1
	s_or_b32 exec_lo, exec_lo, s0
                                        ; implicit-def: $vgpr12_vgpr13
                                        ; implicit-def: $sgpr1
	s_delay_alu instid0(SALU_CYCLE_1)
	s_mov_b32 s0, exec_lo
	v_cmpx_gt_u32_e32 8, v14
	s_xor_b32 s4, exec_lo, s0
	s_cbranch_execz .LBB34_45
; %bb.40:                               ;   in Loop: Header=BB34_31 Depth=1
	v_mov_b32_e32 v12, 0
	v_mov_b32_e32 v13, 0
	s_mov_b32 s5, exec_lo
	v_cmpx_ne_u32_e32 0, v14
	s_cbranch_execz .LBB34_44
; %bb.41:                               ;   in Loop: Header=BB34_31 Depth=1
	v_mov_b32_e32 v12, 0
	v_mov_b32_e32 v13, 0
	s_mov_b64 s[0:1], 0
	s_mov_b32 s6, 0
	s_mov_b32 s7, 0
	.p2align	6
.LBB34_42:                              ;   Parent Loop BB34_31 Depth=1
                                        ; =>  This Inner Loop Header: Depth=2
	s_delay_alu instid0(SALU_CYCLE_1) | instskip(SKIP_1) | instid1(SALU_CYCLE_1)
	v_dual_mov_b32 v16, s11 :: v_dual_add_nc_u32 v15, s7, v8
	s_add_i32 s7, s7, 1
	v_cmp_eq_u32_e32 vcc_lo, s7, v14
	scratch_load_u8 v15, v15, off
	s_waitcnt vmcnt(0)
	v_and_b32_e32 v15, 0xffff, v15
	s_delay_alu instid0(VALU_DEP_1) | instskip(SKIP_3) | instid1(VALU_DEP_1)
	v_lshlrev_b64 v[15:16], s0, v[15:16]
	s_add_u32 s0, s0, 8
	s_addc_u32 s1, s1, 0
	s_or_b32 s6, vcc_lo, s6
	v_or_b32_e32 v13, v16, v13
	s_delay_alu instid0(VALU_DEP_2)
	v_or_b32_e32 v12, v15, v12
	s_and_not1_b32 exec_lo, exec_lo, s6
	s_cbranch_execnz .LBB34_42
; %bb.43:                               ;   in Loop: Header=BB34_31 Depth=1
	s_or_b32 exec_lo, exec_lo, s6
.LBB34_44:                              ;   in Loop: Header=BB34_31 Depth=1
	s_delay_alu instid0(SALU_CYCLE_1)
	s_or_b32 exec_lo, exec_lo, s5
	s_mov_b32 s1, 0
                                        ; implicit-def: $vgpr14
.LBB34_45:                              ;   in Loop: Header=BB34_31 Depth=1
	s_or_saveexec_b32 s0, s4
	v_mov_b32_e32 v16, s1
	s_xor_b32 exec_lo, exec_lo, s0
	s_cbranch_execz .LBB34_47
; %bb.46:                               ;   in Loop: Header=BB34_31 Depth=1
	scratch_load_b64 v[12:13], v8, off
	v_add_nc_u32_e32 v8, 8, v8
	s_waitcnt vmcnt(0)
	v_and_b32_e32 v15, 0xff, v13
	v_and_b32_e32 v16, 0xff00, v13
	v_and_b32_e32 v17, 0xff0000, v13
	v_and_b32_e32 v13, 0xff000000, v13
	v_or3_b32 v12, v12, 0, 0
	s_delay_alu instid0(VALU_DEP_4) | instskip(SKIP_1) | instid1(VALU_DEP_2)
	v_or_b32_e32 v15, v15, v16
	v_add_nc_u32_e32 v16, -8, v14
	v_or3_b32 v13, v15, v17, v13
.LBB34_47:                              ;   in Loop: Header=BB34_31 Depth=1
	s_or_b32 exec_lo, exec_lo, s0
                                        ; implicit-def: $sgpr1
	s_delay_alu instid0(SALU_CYCLE_1) | instskip(NEXT) | instid1(VALU_DEP_1)
	s_mov_b32 s0, exec_lo
	v_cmpx_gt_u32_e32 8, v16
	s_xor_b32 s4, exec_lo, s0
	s_cbranch_execz .LBB34_53
; %bb.48:                               ;   in Loop: Header=BB34_31 Depth=1
	v_mov_b32_e32 v14, 0
	v_mov_b32_e32 v15, 0
	s_mov_b32 s5, exec_lo
	v_cmpx_ne_u32_e32 0, v16
	s_cbranch_execz .LBB34_52
; %bb.49:                               ;   in Loop: Header=BB34_31 Depth=1
	v_mov_b32_e32 v14, 0
	v_mov_b32_e32 v15, 0
	s_mov_b64 s[0:1], 0
	s_mov_b32 s6, 0
	s_mov_b32 s7, 0
	.p2align	6
.LBB34_50:                              ;   Parent Loop BB34_31 Depth=1
                                        ; =>  This Inner Loop Header: Depth=2
	s_delay_alu instid0(SALU_CYCLE_1) | instskip(SKIP_1) | instid1(SALU_CYCLE_1)
	v_dual_mov_b32 v18, s11 :: v_dual_add_nc_u32 v17, s7, v8
	s_add_i32 s7, s7, 1
	v_cmp_eq_u32_e32 vcc_lo, s7, v16
	scratch_load_u8 v17, v17, off
	s_waitcnt vmcnt(0)
	v_and_b32_e32 v17, 0xffff, v17
	s_delay_alu instid0(VALU_DEP_1) | instskip(SKIP_3) | instid1(VALU_DEP_1)
	v_lshlrev_b64 v[17:18], s0, v[17:18]
	s_add_u32 s0, s0, 8
	s_addc_u32 s1, s1, 0
	s_or_b32 s6, vcc_lo, s6
	v_or_b32_e32 v15, v18, v15
	s_delay_alu instid0(VALU_DEP_2)
	v_or_b32_e32 v14, v17, v14
	s_and_not1_b32 exec_lo, exec_lo, s6
	s_cbranch_execnz .LBB34_50
; %bb.51:                               ;   in Loop: Header=BB34_31 Depth=1
	s_or_b32 exec_lo, exec_lo, s6
.LBB34_52:                              ;   in Loop: Header=BB34_31 Depth=1
	s_delay_alu instid0(SALU_CYCLE_1)
	s_or_b32 exec_lo, exec_lo, s5
	s_mov_b32 s1, 0
                                        ; implicit-def: $vgpr16
.LBB34_53:                              ;   in Loop: Header=BB34_31 Depth=1
	s_or_saveexec_b32 s0, s4
	v_mov_b32_e32 v18, s1
	s_xor_b32 exec_lo, exec_lo, s0
	s_cbranch_execz .LBB34_55
; %bb.54:                               ;   in Loop: Header=BB34_31 Depth=1
	scratch_load_b64 v[14:15], v8, off
	v_add_nc_u32_e32 v8, 8, v8
	s_waitcnt vmcnt(0)
	v_and_b32_e32 v17, 0xff, v15
	v_and_b32_e32 v18, 0xff00, v15
	v_and_b32_e32 v19, 0xff0000, v15
	v_and_b32_e32 v15, 0xff000000, v15
	v_or3_b32 v14, v14, 0, 0
	s_delay_alu instid0(VALU_DEP_4) | instskip(SKIP_1) | instid1(VALU_DEP_2)
	v_or_b32_e32 v17, v17, v18
	v_add_nc_u32_e32 v18, -8, v16
	v_or3_b32 v15, v17, v19, v15
.LBB34_55:                              ;   in Loop: Header=BB34_31 Depth=1
	s_or_b32 exec_lo, exec_lo, s0
                                        ; implicit-def: $vgpr16_vgpr17
                                        ; implicit-def: $sgpr1
	s_delay_alu instid0(SALU_CYCLE_1) | instskip(NEXT) | instid1(VALU_DEP_1)
	s_mov_b32 s0, exec_lo
	v_cmpx_gt_u32_e32 8, v18
	s_xor_b32 s4, exec_lo, s0
	s_cbranch_execz .LBB34_61
; %bb.56:                               ;   in Loop: Header=BB34_31 Depth=1
	v_mov_b32_e32 v16, 0
	v_mov_b32_e32 v17, 0
	s_mov_b32 s5, exec_lo
	v_cmpx_ne_u32_e32 0, v18
	s_cbranch_execz .LBB34_60
; %bb.57:                               ;   in Loop: Header=BB34_31 Depth=1
	v_mov_b32_e32 v16, 0
	v_mov_b32_e32 v17, 0
	s_mov_b64 s[0:1], 0
	s_mov_b32 s6, 0
	s_mov_b32 s7, 0
	.p2align	6
.LBB34_58:                              ;   Parent Loop BB34_31 Depth=1
                                        ; =>  This Inner Loop Header: Depth=2
	s_delay_alu instid0(SALU_CYCLE_1) | instskip(SKIP_1) | instid1(SALU_CYCLE_1)
	v_dual_mov_b32 v20, s11 :: v_dual_add_nc_u32 v19, s7, v8
	s_add_i32 s7, s7, 1
	v_cmp_eq_u32_e32 vcc_lo, s7, v18
	scratch_load_u8 v19, v19, off
	s_waitcnt vmcnt(0)
	v_and_b32_e32 v19, 0xffff, v19
	s_delay_alu instid0(VALU_DEP_1) | instskip(SKIP_3) | instid1(VALU_DEP_1)
	v_lshlrev_b64 v[19:20], s0, v[19:20]
	s_add_u32 s0, s0, 8
	s_addc_u32 s1, s1, 0
	s_or_b32 s6, vcc_lo, s6
	v_or_b32_e32 v17, v20, v17
	s_delay_alu instid0(VALU_DEP_2)
	v_or_b32_e32 v16, v19, v16
	s_and_not1_b32 exec_lo, exec_lo, s6
	s_cbranch_execnz .LBB34_58
; %bb.59:                               ;   in Loop: Header=BB34_31 Depth=1
	s_or_b32 exec_lo, exec_lo, s6
.LBB34_60:                              ;   in Loop: Header=BB34_31 Depth=1
	s_delay_alu instid0(SALU_CYCLE_1)
	s_or_b32 exec_lo, exec_lo, s5
	s_mov_b32 s1, 0
                                        ; implicit-def: $vgpr18
.LBB34_61:                              ;   in Loop: Header=BB34_31 Depth=1
	s_or_saveexec_b32 s0, s4
	v_mov_b32_e32 v20, s1
	s_xor_b32 exec_lo, exec_lo, s0
	s_cbranch_execz .LBB34_63
; %bb.62:                               ;   in Loop: Header=BB34_31 Depth=1
	scratch_load_b64 v[16:17], v8, off
	v_add_nc_u32_e32 v8, 8, v8
	s_waitcnt vmcnt(0)
	v_and_b32_e32 v19, 0xff, v17
	v_and_b32_e32 v20, 0xff00, v17
	;; [unrolled: 1-line block ×4, first 2 shown]
	v_or3_b32 v16, v16, 0, 0
	s_delay_alu instid0(VALU_DEP_4) | instskip(SKIP_1) | instid1(VALU_DEP_2)
	v_or_b32_e32 v19, v19, v20
	v_add_nc_u32_e32 v20, -8, v18
	v_or3_b32 v17, v19, v21, v17
.LBB34_63:                              ;   in Loop: Header=BB34_31 Depth=1
	s_or_b32 exec_lo, exec_lo, s0
                                        ; implicit-def: $sgpr1
	s_delay_alu instid0(SALU_CYCLE_1) | instskip(NEXT) | instid1(VALU_DEP_1)
	s_mov_b32 s0, exec_lo
	v_cmpx_gt_u32_e32 8, v20
	s_xor_b32 s4, exec_lo, s0
	s_cbranch_execz .LBB34_69
; %bb.64:                               ;   in Loop: Header=BB34_31 Depth=1
	v_mov_b32_e32 v18, 0
	v_mov_b32_e32 v19, 0
	s_mov_b32 s5, exec_lo
	v_cmpx_ne_u32_e32 0, v20
	s_cbranch_execz .LBB34_68
; %bb.65:                               ;   in Loop: Header=BB34_31 Depth=1
	v_mov_b32_e32 v18, 0
	v_mov_b32_e32 v19, 0
	s_mov_b64 s[0:1], 0
	s_mov_b32 s6, 0
	s_mov_b32 s7, 0
	.p2align	6
.LBB34_66:                              ;   Parent Loop BB34_31 Depth=1
                                        ; =>  This Inner Loop Header: Depth=2
	s_delay_alu instid0(SALU_CYCLE_1) | instskip(SKIP_1) | instid1(SALU_CYCLE_1)
	v_dual_mov_b32 v22, s11 :: v_dual_add_nc_u32 v21, s7, v8
	s_add_i32 s7, s7, 1
	v_cmp_eq_u32_e32 vcc_lo, s7, v20
	scratch_load_u8 v21, v21, off
	s_waitcnt vmcnt(0)
	v_and_b32_e32 v21, 0xffff, v21
	s_delay_alu instid0(VALU_DEP_1) | instskip(SKIP_3) | instid1(VALU_DEP_1)
	v_lshlrev_b64 v[21:22], s0, v[21:22]
	s_add_u32 s0, s0, 8
	s_addc_u32 s1, s1, 0
	s_or_b32 s6, vcc_lo, s6
	v_or_b32_e32 v19, v22, v19
	s_delay_alu instid0(VALU_DEP_2)
	v_or_b32_e32 v18, v21, v18
	s_and_not1_b32 exec_lo, exec_lo, s6
	s_cbranch_execnz .LBB34_66
; %bb.67:                               ;   in Loop: Header=BB34_31 Depth=1
	s_or_b32 exec_lo, exec_lo, s6
.LBB34_68:                              ;   in Loop: Header=BB34_31 Depth=1
	s_delay_alu instid0(SALU_CYCLE_1)
	s_or_b32 exec_lo, exec_lo, s5
	s_mov_b32 s1, 0
                                        ; implicit-def: $vgpr20
.LBB34_69:                              ;   in Loop: Header=BB34_31 Depth=1
	s_or_saveexec_b32 s0, s4
	v_mov_b32_e32 v22, s1
	s_xor_b32 exec_lo, exec_lo, s0
	s_cbranch_execz .LBB34_71
; %bb.70:                               ;   in Loop: Header=BB34_31 Depth=1
	scratch_load_b64 v[18:19], v8, off
	v_add_nc_u32_e32 v8, 8, v8
	s_waitcnt vmcnt(0)
	v_and_b32_e32 v21, 0xff, v19
	v_and_b32_e32 v22, 0xff00, v19
	;; [unrolled: 1-line block ×4, first 2 shown]
	v_or3_b32 v18, v18, 0, 0
	s_delay_alu instid0(VALU_DEP_4) | instskip(SKIP_1) | instid1(VALU_DEP_2)
	v_or_b32_e32 v21, v21, v22
	v_add_nc_u32_e32 v22, -8, v20
	v_or3_b32 v19, v21, v23, v19
.LBB34_71:                              ;   in Loop: Header=BB34_31 Depth=1
	s_or_b32 exec_lo, exec_lo, s0
                                        ; implicit-def: $vgpr20_vgpr21
                                        ; implicit-def: $sgpr1
	s_delay_alu instid0(SALU_CYCLE_1) | instskip(NEXT) | instid1(VALU_DEP_1)
	s_mov_b32 s0, exec_lo
	v_cmpx_gt_u32_e32 8, v22
	s_xor_b32 s4, exec_lo, s0
	s_cbranch_execz .LBB34_77
; %bb.72:                               ;   in Loop: Header=BB34_31 Depth=1
	v_mov_b32_e32 v20, 0
	v_mov_b32_e32 v21, 0
	s_mov_b32 s5, exec_lo
	v_cmpx_ne_u32_e32 0, v22
	s_cbranch_execz .LBB34_76
; %bb.73:                               ;   in Loop: Header=BB34_31 Depth=1
	v_mov_b32_e32 v20, 0
	v_mov_b32_e32 v21, 0
	s_mov_b64 s[0:1], 0
	s_mov_b32 s6, 0
	s_mov_b32 s7, 0
	.p2align	6
.LBB34_74:                              ;   Parent Loop BB34_31 Depth=1
                                        ; =>  This Inner Loop Header: Depth=2
	s_delay_alu instid0(SALU_CYCLE_1) | instskip(SKIP_1) | instid1(SALU_CYCLE_1)
	v_dual_mov_b32 v24, s11 :: v_dual_add_nc_u32 v23, s7, v8
	s_add_i32 s7, s7, 1
	v_cmp_eq_u32_e32 vcc_lo, s7, v22
	scratch_load_u8 v23, v23, off
	s_waitcnt vmcnt(0)
	v_and_b32_e32 v23, 0xffff, v23
	s_delay_alu instid0(VALU_DEP_1) | instskip(SKIP_3) | instid1(VALU_DEP_1)
	v_lshlrev_b64 v[23:24], s0, v[23:24]
	s_add_u32 s0, s0, 8
	s_addc_u32 s1, s1, 0
	s_or_b32 s6, vcc_lo, s6
	v_or_b32_e32 v21, v24, v21
	s_delay_alu instid0(VALU_DEP_2)
	v_or_b32_e32 v20, v23, v20
	s_and_not1_b32 exec_lo, exec_lo, s6
	s_cbranch_execnz .LBB34_74
; %bb.75:                               ;   in Loop: Header=BB34_31 Depth=1
	s_or_b32 exec_lo, exec_lo, s6
.LBB34_76:                              ;   in Loop: Header=BB34_31 Depth=1
	s_delay_alu instid0(SALU_CYCLE_1)
	s_or_b32 exec_lo, exec_lo, s5
	s_mov_b32 s1, 0
                                        ; implicit-def: $vgpr22
.LBB34_77:                              ;   in Loop: Header=BB34_31 Depth=1
	s_or_saveexec_b32 s0, s4
	v_mov_b32_e32 v24, s1
	s_xor_b32 exec_lo, exec_lo, s0
	s_cbranch_execz .LBB34_79
; %bb.78:                               ;   in Loop: Header=BB34_31 Depth=1
	scratch_load_b64 v[20:21], v8, off
	v_add_nc_u32_e32 v8, 8, v8
	s_waitcnt vmcnt(0)
	v_and_b32_e32 v23, 0xff, v21
	v_and_b32_e32 v24, 0xff00, v21
	v_and_b32_e32 v25, 0xff0000, v21
	v_and_b32_e32 v21, 0xff000000, v21
	v_or3_b32 v20, v20, 0, 0
	s_delay_alu instid0(VALU_DEP_4) | instskip(SKIP_1) | instid1(VALU_DEP_2)
	v_or_b32_e32 v23, v23, v24
	v_add_nc_u32_e32 v24, -8, v22
	v_or3_b32 v21, v23, v25, v21
.LBB34_79:                              ;   in Loop: Header=BB34_31 Depth=1
	s_or_b32 exec_lo, exec_lo, s0
	s_delay_alu instid0(SALU_CYCLE_1) | instskip(NEXT) | instid1(VALU_DEP_1)
	s_mov_b32 s0, exec_lo
	v_cmpx_gt_u32_e32 8, v24
	s_xor_b32 s4, exec_lo, s0
	s_cbranch_execz .LBB34_85
; %bb.80:                               ;   in Loop: Header=BB34_31 Depth=1
	v_mov_b32_e32 v22, 0
	v_mov_b32_e32 v23, 0
	s_mov_b32 s5, exec_lo
	v_cmpx_ne_u32_e32 0, v24
	s_cbranch_execz .LBB34_84
; %bb.81:                               ;   in Loop: Header=BB34_31 Depth=1
	v_mov_b32_e32 v22, 0
	v_mov_b32_e32 v23, 0
	s_mov_b64 s[0:1], 0
	s_mov_b32 s6, 0
	.p2align	6
.LBB34_82:                              ;   Parent Loop BB34_31 Depth=1
                                        ; =>  This Inner Loop Header: Depth=2
	scratch_load_u8 v25, v8, off
	v_mov_b32_e32 v26, s11
	v_add_nc_u32_e32 v24, -1, v24
	v_add_nc_u32_e32 v8, 1, v8
	s_delay_alu instid0(VALU_DEP_2) | instskip(SKIP_2) | instid1(VALU_DEP_1)
	v_cmp_eq_u32_e32 vcc_lo, 0, v24
	s_waitcnt vmcnt(0)
	v_and_b32_e32 v25, 0xffff, v25
	v_lshlrev_b64 v[25:26], s0, v[25:26]
	s_add_u32 s0, s0, 8
	s_addc_u32 s1, s1, 0
	s_or_b32 s6, vcc_lo, s6
	s_delay_alu instid0(VALU_DEP_1) | instskip(NEXT) | instid1(VALU_DEP_2)
	v_or_b32_e32 v23, v26, v23
	v_or_b32_e32 v22, v25, v22
	s_and_not1_b32 exec_lo, exec_lo, s6
	s_cbranch_execnz .LBB34_82
; %bb.83:                               ;   in Loop: Header=BB34_31 Depth=1
	s_or_b32 exec_lo, exec_lo, s6
.LBB34_84:                              ;   in Loop: Header=BB34_31 Depth=1
	s_delay_alu instid0(SALU_CYCLE_1)
	s_or_b32 exec_lo, exec_lo, s5
                                        ; implicit-def: $vgpr8
.LBB34_85:                              ;   in Loop: Header=BB34_31 Depth=1
	s_and_not1_saveexec_b32 s0, s4
	s_cbranch_execz .LBB34_87
; %bb.86:                               ;   in Loop: Header=BB34_31 Depth=1
	scratch_load_b64 v[22:23], v8, off
	s_waitcnt vmcnt(0)
	v_and_b32_e32 v8, 0xff, v23
	v_and_b32_e32 v24, 0xff00, v23
	;; [unrolled: 1-line block ×4, first 2 shown]
	v_or3_b32 v22, v22, 0, 0
	s_delay_alu instid0(VALU_DEP_4) | instskip(NEXT) | instid1(VALU_DEP_1)
	v_or_b32_e32 v8, v8, v24
	v_or3_b32 v23, v8, v25, v23
.LBB34_87:                              ;   in Loop: Header=BB34_31 Depth=1
	s_or_b32 exec_lo, exec_lo, s0
	v_readfirstlane_b32 s0, v35
	v_mov_b32_e32 v32, 0
	v_mov_b32_e32 v33, 0
	s_delay_alu instid0(VALU_DEP_3) | instskip(NEXT) | instid1(VALU_DEP_1)
	v_cmp_eq_u32_e64 s0, s0, v35
	s_and_saveexec_b32 s1, s0
	s_cbranch_execz .LBB34_93
; %bb.88:                               ;   in Loop: Header=BB34_31 Depth=1
	global_load_b64 v[26:27], v9, s[2:3] offset:24 glc
	s_waitcnt vmcnt(0)
	buffer_gl1_inv
	buffer_gl0_inv
	s_clause 0x1
	global_load_b64 v[24:25], v9, s[2:3] offset:40
	global_load_b64 v[32:33], v9, s[2:3]
	s_mov_b32 s4, exec_lo
	s_waitcnt vmcnt(1)
	v_and_b32_e32 v8, v25, v27
	v_and_b32_e32 v24, v24, v26
	s_delay_alu instid0(VALU_DEP_2) | instskip(NEXT) | instid1(VALU_DEP_2)
	v_mul_lo_u32 v8, v8, 24
	v_mul_hi_u32 v25, v24, 24
	v_mul_lo_u32 v24, v24, 24
	s_delay_alu instid0(VALU_DEP_2) | instskip(SKIP_1) | instid1(VALU_DEP_2)
	v_add_nc_u32_e32 v8, v25, v8
	s_waitcnt vmcnt(0)
	v_add_co_u32 v24, vcc_lo, v32, v24
	s_delay_alu instid0(VALU_DEP_2)
	v_add_co_ci_u32_e32 v25, vcc_lo, v33, v8, vcc_lo
	global_load_b64 v[24:25], v[24:25], off glc
	s_waitcnt vmcnt(0)
	global_atomic_cmpswap_b64 v[32:33], v9, v[24:27], s[2:3] offset:24 glc
	s_waitcnt vmcnt(0)
	buffer_gl1_inv
	buffer_gl0_inv
	v_cmpx_ne_u64_e64 v[32:33], v[26:27]
	s_cbranch_execz .LBB34_92
; %bb.89:                               ;   in Loop: Header=BB34_31 Depth=1
	s_mov_b32 s5, 0
	.p2align	6
.LBB34_90:                              ;   Parent Loop BB34_31 Depth=1
                                        ; =>  This Inner Loop Header: Depth=2
	s_sleep 1
	s_clause 0x1
	global_load_b64 v[24:25], v9, s[2:3] offset:40
	global_load_b64 v[38:39], v9, s[2:3]
	v_dual_mov_b32 v26, v32 :: v_dual_mov_b32 v27, v33
	s_waitcnt vmcnt(1)
	s_delay_alu instid0(VALU_DEP_1) | instskip(SKIP_1) | instid1(VALU_DEP_1)
	v_and_b32_e32 v8, v24, v26
	s_waitcnt vmcnt(0)
	v_mad_u64_u32 v[32:33], null, v8, 24, v[38:39]
	v_and_b32_e32 v38, v25, v27
	s_delay_alu instid0(VALU_DEP_2) | instskip(NEXT) | instid1(VALU_DEP_1)
	v_mov_b32_e32 v8, v33
	v_mad_u64_u32 v[24:25], null, v38, 24, v[8:9]
	s_delay_alu instid0(VALU_DEP_1)
	v_mov_b32_e32 v33, v24
	global_load_b64 v[24:25], v[32:33], off glc
	s_waitcnt vmcnt(0)
	global_atomic_cmpswap_b64 v[32:33], v9, v[24:27], s[2:3] offset:24 glc
	s_waitcnt vmcnt(0)
	buffer_gl1_inv
	buffer_gl0_inv
	v_cmp_eq_u64_e32 vcc_lo, v[32:33], v[26:27]
	s_or_b32 s5, vcc_lo, s5
	s_delay_alu instid0(SALU_CYCLE_1)
	s_and_not1_b32 exec_lo, exec_lo, s5
	s_cbranch_execnz .LBB34_90
; %bb.91:                               ;   in Loop: Header=BB34_31 Depth=1
	s_or_b32 exec_lo, exec_lo, s5
.LBB34_92:                              ;   in Loop: Header=BB34_31 Depth=1
	s_delay_alu instid0(SALU_CYCLE_1)
	s_or_b32 exec_lo, exec_lo, s4
.LBB34_93:                              ;   in Loop: Header=BB34_31 Depth=1
	s_delay_alu instid0(SALU_CYCLE_1)
	s_or_b32 exec_lo, exec_lo, s1
	s_clause 0x1
	global_load_b64 v[38:39], v9, s[2:3] offset:40
	global_load_b128 v[24:27], v9, s[2:3]
	v_readfirstlane_b32 s4, v32
	v_readfirstlane_b32 s5, v33
	s_mov_b32 s1, exec_lo
	s_waitcnt vmcnt(1)
	v_readfirstlane_b32 s6, v38
	v_readfirstlane_b32 s7, v39
	s_delay_alu instid0(VALU_DEP_1) | instskip(NEXT) | instid1(SALU_CYCLE_1)
	s_and_b64 s[6:7], s[4:5], s[6:7]
	s_mul_i32 s12, s7, 24
	s_mul_hi_u32 s13, s6, 24
	s_mul_i32 s14, s6, 24
	s_add_i32 s13, s13, s12
	s_waitcnt vmcnt(0)
	v_add_co_u32 v32, vcc_lo, v24, s14
	v_add_co_ci_u32_e32 v33, vcc_lo, s13, v25, vcc_lo
	s_and_saveexec_b32 s12, s0
	s_cbranch_execz .LBB34_95
; %bb.94:                               ;   in Loop: Header=BB34_31 Depth=1
	v_mov_b32_e32 v8, s1
	global_store_b128 v[32:33], v[8:11], off offset:8
.LBB34_95:                              ;   in Loop: Header=BB34_31 Depth=1
	s_or_b32 exec_lo, exec_lo, s12
	v_cmp_lt_u64_e32 vcc_lo, 56, v[28:29]
	v_or_b32_e32 v8, 0, v1
	v_or_b32_e32 v38, v0, v36
	v_lshl_add_u32 v39, v30, 2, 28
	s_lshl_b64 s[6:7], s[6:7], 12
	s_delay_alu instid0(SALU_CYCLE_1) | instskip(NEXT) | instid1(VALU_DEP_1)
	v_add_co_u32 v26, s1, v26, s6
	v_add_co_ci_u32_e64 v27, s1, s7, v27, s1
	v_dual_cndmask_b32 v1, v8, v1 :: v_dual_cndmask_b32 v0, v38, v0
	v_and_b32_e32 v8, 0x1e0, v39
	s_delay_alu instid0(VALU_DEP_4) | instskip(NEXT) | instid1(VALU_DEP_4)
	v_readfirstlane_b32 s6, v26
	v_readfirstlane_b32 s7, v27
	s_delay_alu instid0(VALU_DEP_3)
	v_and_or_b32 v0, 0xffffff1f, v0, v8
	s_clause 0x3
	global_store_b128 v34, v[0:3], s[6:7]
	global_store_b128 v34, v[12:15], s[6:7] offset:16
	global_store_b128 v34, v[16:19], s[6:7] offset:32
	global_store_b128 v34, v[20:23], s[6:7] offset:48
	s_and_saveexec_b32 s1, s0
	s_cbranch_execz .LBB34_103
; %bb.96:                               ;   in Loop: Header=BB34_31 Depth=1
	s_clause 0x1
	global_load_b64 v[16:17], v9, s[2:3] offset:32 glc
	global_load_b64 v[0:1], v9, s[2:3] offset:40
	v_dual_mov_b32 v14, s4 :: v_dual_mov_b32 v15, s5
	s_waitcnt vmcnt(0)
	v_readfirstlane_b32 s6, v0
	v_readfirstlane_b32 s7, v1
	s_delay_alu instid0(VALU_DEP_1) | instskip(NEXT) | instid1(SALU_CYCLE_1)
	s_and_b64 s[6:7], s[6:7], s[4:5]
	s_mul_i32 s7, s7, 24
	s_mul_hi_u32 s12, s6, 24
	s_mul_i32 s6, s6, 24
	s_add_i32 s12, s12, s7
	v_add_co_u32 v12, vcc_lo, v24, s6
	v_add_co_ci_u32_e32 v13, vcc_lo, s12, v25, vcc_lo
	s_mov_b32 s6, exec_lo
	global_store_b64 v[12:13], v[16:17], off
	s_waitcnt_vscnt null, 0x0
	global_atomic_cmpswap_b64 v[2:3], v9, v[14:17], s[2:3] offset:32 glc
	s_waitcnt vmcnt(0)
	v_cmpx_ne_u64_e64 v[2:3], v[16:17]
	s_cbranch_execz .LBB34_99
; %bb.97:                               ;   in Loop: Header=BB34_31 Depth=1
	s_mov_b32 s7, 0
.LBB34_98:                              ;   Parent Loop BB34_31 Depth=1
                                        ; =>  This Inner Loop Header: Depth=2
	v_dual_mov_b32 v0, s4 :: v_dual_mov_b32 v1, s5
	s_sleep 1
	global_store_b64 v[12:13], v[2:3], off
	s_waitcnt_vscnt null, 0x0
	global_atomic_cmpswap_b64 v[0:1], v9, v[0:3], s[2:3] offset:32 glc
	s_waitcnt vmcnt(0)
	v_cmp_eq_u64_e32 vcc_lo, v[0:1], v[2:3]
	v_dual_mov_b32 v3, v1 :: v_dual_mov_b32 v2, v0
	s_or_b32 s7, vcc_lo, s7
	s_delay_alu instid0(SALU_CYCLE_1)
	s_and_not1_b32 exec_lo, exec_lo, s7
	s_cbranch_execnz .LBB34_98
.LBB34_99:                              ;   in Loop: Header=BB34_31 Depth=1
	s_or_b32 exec_lo, exec_lo, s6
	global_load_b64 v[0:1], v9, s[2:3] offset:16
	s_mov_b32 s7, exec_lo
	s_mov_b32 s6, exec_lo
	v_mbcnt_lo_u32_b32 v2, s7, 0
	s_delay_alu instid0(VALU_DEP_1)
	v_cmpx_eq_u32_e32 0, v2
	s_cbranch_execz .LBB34_101
; %bb.100:                              ;   in Loop: Header=BB34_31 Depth=1
	s_bcnt1_i32_b32 s7, s7
	s_delay_alu instid0(SALU_CYCLE_1)
	v_mov_b32_e32 v8, s7
	s_waitcnt vmcnt(0)
	global_atomic_add_u64 v[0:1], v[8:9], off offset:8
.LBB34_101:                             ;   in Loop: Header=BB34_31 Depth=1
	s_or_b32 exec_lo, exec_lo, s6
	s_waitcnt vmcnt(0)
	global_load_b64 v[2:3], v[0:1], off offset:16
	s_waitcnt vmcnt(0)
	v_cmp_eq_u64_e32 vcc_lo, 0, v[2:3]
	s_cbranch_vccnz .LBB34_103
; %bb.102:                              ;   in Loop: Header=BB34_31 Depth=1
	global_load_b32 v8, v[0:1], off offset:24
	s_waitcnt vmcnt(0)
	v_and_b32_e32 v0, 0xffffff, v8
	s_waitcnt_vscnt null, 0x0
	global_store_b64 v[2:3], v[8:9], off
	v_readfirstlane_b32 m0, v0
	s_sendmsg sendmsg(MSG_INTERRUPT)
.LBB34_103:                             ;   in Loop: Header=BB34_31 Depth=1
	s_or_b32 exec_lo, exec_lo, s1
	v_add_co_u32 v0, vcc_lo, v26, v34
	v_add_co_ci_u32_e32 v1, vcc_lo, 0, v27, vcc_lo
	s_branch .LBB34_107
	.p2align	6
.LBB34_104:                             ;   in Loop: Header=BB34_107 Depth=2
	s_or_b32 exec_lo, exec_lo, s1
	s_delay_alu instid0(VALU_DEP_1) | instskip(NEXT) | instid1(VALU_DEP_1)
	v_readfirstlane_b32 s1, v2
	s_cmp_eq_u32 s1, 0
	s_cbranch_scc1 .LBB34_106
; %bb.105:                              ;   in Loop: Header=BB34_107 Depth=2
	s_sleep 1
	s_cbranch_execnz .LBB34_107
	s_branch .LBB34_109
	.p2align	6
.LBB34_106:                             ;   in Loop: Header=BB34_31 Depth=1
	s_branch .LBB34_109
.LBB34_107:                             ;   Parent Loop BB34_31 Depth=1
                                        ; =>  This Inner Loop Header: Depth=2
	v_mov_b32_e32 v2, 1
	s_and_saveexec_b32 s1, s0
	s_cbranch_execz .LBB34_104
; %bb.108:                              ;   in Loop: Header=BB34_107 Depth=2
	global_load_b32 v2, v[32:33], off offset:20 glc
	s_waitcnt vmcnt(0)
	buffer_gl1_inv
	buffer_gl0_inv
	v_and_b32_e32 v2, 1, v2
	s_branch .LBB34_104
.LBB34_109:                             ;   in Loop: Header=BB34_31 Depth=1
	global_load_b128 v[0:3], v[0:1], off
	s_and_saveexec_b32 s1, s0
	s_cbranch_execz .LBB34_30
; %bb.110:                              ;   in Loop: Header=BB34_31 Depth=1
	s_clause 0x2
	global_load_b64 v[2:3], v9, s[2:3] offset:40
	global_load_b64 v[16:17], v9, s[2:3] offset:24 glc
	global_load_b64 v[14:15], v9, s[2:3]
	s_waitcnt vmcnt(2)
	v_add_co_u32 v8, vcc_lo, v2, 1
	v_add_co_ci_u32_e32 v18, vcc_lo, 0, v3, vcc_lo
	s_delay_alu instid0(VALU_DEP_2) | instskip(NEXT) | instid1(VALU_DEP_2)
	v_add_co_u32 v12, vcc_lo, v8, s4
	v_add_co_ci_u32_e32 v13, vcc_lo, s5, v18, vcc_lo
	s_delay_alu instid0(VALU_DEP_1) | instskip(SKIP_1) | instid1(VALU_DEP_1)
	v_cmp_eq_u64_e32 vcc_lo, 0, v[12:13]
	v_dual_cndmask_b32 v13, v13, v18 :: v_dual_cndmask_b32 v12, v12, v8
	v_and_b32_e32 v3, v13, v3
	s_delay_alu instid0(VALU_DEP_2) | instskip(NEXT) | instid1(VALU_DEP_1)
	v_and_b32_e32 v2, v12, v2
	v_mul_hi_u32 v8, v2, 24
	v_mul_lo_u32 v2, v2, 24
	s_waitcnt vmcnt(0)
	s_delay_alu instid0(VALU_DEP_1) | instskip(SKIP_2) | instid1(VALU_DEP_1)
	v_add_co_u32 v2, vcc_lo, v14, v2
	v_mov_b32_e32 v14, v16
	v_mul_lo_u32 v3, v3, 24
	v_add_nc_u32_e32 v3, v8, v3
	s_delay_alu instid0(VALU_DEP_1)
	v_add_co_ci_u32_e32 v3, vcc_lo, v15, v3, vcc_lo
	v_mov_b32_e32 v15, v17
	global_store_b64 v[2:3], v[16:17], off
	s_waitcnt_vscnt null, 0x0
	global_atomic_cmpswap_b64 v[14:15], v9, v[12:15], s[2:3] offset:24 glc
	s_waitcnt vmcnt(0)
	v_cmp_ne_u64_e32 vcc_lo, v[14:15], v[16:17]
	s_and_b32 exec_lo, exec_lo, vcc_lo
	s_cbranch_execz .LBB34_30
; %bb.111:                              ;   in Loop: Header=BB34_31 Depth=1
	s_mov_b32 s0, 0
.LBB34_112:                             ;   Parent Loop BB34_31 Depth=1
                                        ; =>  This Inner Loop Header: Depth=2
	s_sleep 1
	global_store_b64 v[2:3], v[14:15], off
	s_waitcnt_vscnt null, 0x0
	global_atomic_cmpswap_b64 v[16:17], v9, v[12:15], s[2:3] offset:24 glc
	s_waitcnt vmcnt(0)
	v_cmp_eq_u64_e32 vcc_lo, v[16:17], v[14:15]
	v_dual_mov_b32 v14, v16 :: v_dual_mov_b32 v15, v17
	s_or_b32 s0, vcc_lo, s0
	s_delay_alu instid0(SALU_CYCLE_1)
	s_and_not1_b32 exec_lo, exec_lo, s0
	s_cbranch_execnz .LBB34_112
	s_branch .LBB34_30
.LBB34_113:
                                        ; implicit-def: $vgpr0_vgpr1
	s_cbranch_execnz .LBB34_115
	s_branch .LBB34_142
.LBB34_114:
	s_or_b32 exec_lo, exec_lo, s10
	s_branch .LBB34_142
.LBB34_115:
	v_readfirstlane_b32 s0, v35
	v_mov_b32_e32 v9, 0
	v_mov_b32_e32 v10, 0
	s_delay_alu instid0(VALU_DEP_3) | instskip(NEXT) | instid1(VALU_DEP_1)
	v_cmp_eq_u32_e64 s0, s0, v35
	s_and_saveexec_b32 s1, s0
	s_cbranch_execz .LBB34_121
; %bb.116:
	s_waitcnt vmcnt(0)
	v_mov_b32_e32 v0, 0
	s_mov_b32 s4, exec_lo
	global_load_b64 v[11:12], v0, s[2:3] offset:24 glc
	s_waitcnt vmcnt(0)
	buffer_gl1_inv
	buffer_gl0_inv
	s_clause 0x1
	global_load_b64 v[1:2], v0, s[2:3] offset:40
	global_load_b64 v[8:9], v0, s[2:3]
	s_waitcnt vmcnt(1)
	v_and_b32_e32 v1, v1, v11
	v_and_b32_e32 v2, v2, v12
	s_delay_alu instid0(VALU_DEP_2) | instskip(NEXT) | instid1(VALU_DEP_2)
	v_mul_hi_u32 v3, v1, 24
	v_mul_lo_u32 v2, v2, 24
	v_mul_lo_u32 v1, v1, 24
	s_delay_alu instid0(VALU_DEP_2) | instskip(SKIP_1) | instid1(VALU_DEP_2)
	v_add_nc_u32_e32 v2, v3, v2
	s_waitcnt vmcnt(0)
	v_add_co_u32 v1, vcc_lo, v8, v1
	s_delay_alu instid0(VALU_DEP_2)
	v_add_co_ci_u32_e32 v2, vcc_lo, v9, v2, vcc_lo
	global_load_b64 v[9:10], v[1:2], off glc
	s_waitcnt vmcnt(0)
	global_atomic_cmpswap_b64 v[9:10], v0, v[9:12], s[2:3] offset:24 glc
	s_waitcnt vmcnt(0)
	buffer_gl1_inv
	buffer_gl0_inv
	v_cmpx_ne_u64_e64 v[9:10], v[11:12]
	s_cbranch_execz .LBB34_120
; %bb.117:
	s_mov_b32 s5, 0
	.p2align	6
.LBB34_118:                             ; =>This Inner Loop Header: Depth=1
	s_sleep 1
	s_clause 0x1
	global_load_b64 v[1:2], v0, s[2:3] offset:40
	global_load_b64 v[13:14], v0, s[2:3]
	v_dual_mov_b32 v12, v10 :: v_dual_mov_b32 v11, v9
	s_waitcnt vmcnt(1)
	s_delay_alu instid0(VALU_DEP_1) | instskip(SKIP_1) | instid1(VALU_DEP_1)
	v_and_b32_e32 v1, v1, v11
	s_waitcnt vmcnt(0)
	v_mad_u64_u32 v[8:9], null, v1, 24, v[13:14]
	s_delay_alu instid0(VALU_DEP_1) | instskip(NEXT) | instid1(VALU_DEP_1)
	v_dual_mov_b32 v1, v9 :: v_dual_and_b32 v10, v2, v12
	v_mad_u64_u32 v[2:3], null, v10, 24, v[1:2]
	s_delay_alu instid0(VALU_DEP_1)
	v_mov_b32_e32 v9, v2
	global_load_b64 v[9:10], v[8:9], off glc
	s_waitcnt vmcnt(0)
	global_atomic_cmpswap_b64 v[9:10], v0, v[9:12], s[2:3] offset:24 glc
	s_waitcnt vmcnt(0)
	buffer_gl1_inv
	buffer_gl0_inv
	v_cmp_eq_u64_e32 vcc_lo, v[9:10], v[11:12]
	s_or_b32 s5, vcc_lo, s5
	s_delay_alu instid0(SALU_CYCLE_1)
	s_and_not1_b32 exec_lo, exec_lo, s5
	s_cbranch_execnz .LBB34_118
; %bb.119:
	s_or_b32 exec_lo, exec_lo, s5
.LBB34_120:
	s_delay_alu instid0(SALU_CYCLE_1)
	s_or_b32 exec_lo, exec_lo, s4
.LBB34_121:
	s_delay_alu instid0(SALU_CYCLE_1)
	s_or_b32 exec_lo, exec_lo, s1
	v_mov_b32_e32 v8, 0
	v_readfirstlane_b32 s4, v9
	v_readfirstlane_b32 s5, v10
	s_mov_b32 s1, exec_lo
	s_clause 0x1
	global_load_b64 v[11:12], v8, s[2:3] offset:40
	global_load_b128 v[0:3], v8, s[2:3]
	s_waitcnt vmcnt(1)
	v_readfirstlane_b32 s6, v11
	v_readfirstlane_b32 s7, v12
	s_delay_alu instid0(VALU_DEP_1) | instskip(NEXT) | instid1(SALU_CYCLE_1)
	s_and_b64 s[6:7], s[4:5], s[6:7]
	s_mul_i32 s10, s7, 24
	s_mul_hi_u32 s11, s6, 24
	s_mul_i32 s12, s6, 24
	s_add_i32 s11, s11, s10
	s_waitcnt vmcnt(0)
	v_add_co_u32 v10, vcc_lo, v0, s12
	v_add_co_ci_u32_e32 v11, vcc_lo, s11, v1, vcc_lo
	s_and_saveexec_b32 s10, s0
	s_cbranch_execz .LBB34_123
; %bb.122:
	v_dual_mov_b32 v12, s1 :: v_dual_mov_b32 v13, v8
	v_dual_mov_b32 v14, 2 :: v_dual_mov_b32 v15, 1
	global_store_b128 v[10:11], v[12:15], off offset:8
.LBB34_123:
	s_or_b32 exec_lo, exec_lo, s10
	s_lshl_b64 s[6:7], s[6:7], 12
	s_mov_b32 s12, 0
	v_add_co_u32 v2, vcc_lo, v2, s6
	v_add_co_ci_u32_e32 v3, vcc_lo, s7, v3, vcc_lo
	s_mov_b32 s15, s12
	s_delay_alu instid0(VALU_DEP_2)
	v_add_co_u32 v12, vcc_lo, v2, v34
	s_mov_b32 s13, s12
	s_mov_b32 s14, s12
	v_and_or_b32 v6, 0xffffff1f, v6, 32
	v_mov_b32_e32 v9, v8
	v_readfirstlane_b32 s6, v2
	v_readfirstlane_b32 s7, v3
	v_dual_mov_b32 v17, s15 :: v_dual_mov_b32 v14, s12
	v_add_co_ci_u32_e32 v13, vcc_lo, 0, v3, vcc_lo
	v_dual_mov_b32 v16, s14 :: v_dual_mov_b32 v15, s13
	s_clause 0x3
	global_store_b128 v34, v[6:9], s[6:7]
	global_store_b128 v34, v[14:17], s[6:7] offset:16
	global_store_b128 v34, v[14:17], s[6:7] offset:32
	;; [unrolled: 1-line block ×3, first 2 shown]
	s_and_saveexec_b32 s1, s0
	s_cbranch_execz .LBB34_131
; %bb.124:
	v_dual_mov_b32 v8, 0 :: v_dual_mov_b32 v15, s5
	v_mov_b32_e32 v14, s4
	s_clause 0x1
	global_load_b64 v[16:17], v8, s[2:3] offset:32 glc
	global_load_b64 v[2:3], v8, s[2:3] offset:40
	s_waitcnt vmcnt(0)
	v_readfirstlane_b32 s6, v2
	v_readfirstlane_b32 s7, v3
	s_delay_alu instid0(VALU_DEP_1) | instskip(NEXT) | instid1(SALU_CYCLE_1)
	s_and_b64 s[6:7], s[6:7], s[4:5]
	s_mul_i32 s7, s7, 24
	s_mul_hi_u32 s10, s6, 24
	s_mul_i32 s6, s6, 24
	s_add_i32 s10, s10, s7
	v_add_co_u32 v6, vcc_lo, v0, s6
	v_add_co_ci_u32_e32 v7, vcc_lo, s10, v1, vcc_lo
	s_mov_b32 s6, exec_lo
	global_store_b64 v[6:7], v[16:17], off
	s_waitcnt_vscnt null, 0x0
	global_atomic_cmpswap_b64 v[2:3], v8, v[14:17], s[2:3] offset:32 glc
	s_waitcnt vmcnt(0)
	v_cmpx_ne_u64_e64 v[2:3], v[16:17]
	s_cbranch_execz .LBB34_127
; %bb.125:
	s_mov_b32 s7, 0
.LBB34_126:                             ; =>This Inner Loop Header: Depth=1
	v_dual_mov_b32 v0, s4 :: v_dual_mov_b32 v1, s5
	s_sleep 1
	global_store_b64 v[6:7], v[2:3], off
	s_waitcnt_vscnt null, 0x0
	global_atomic_cmpswap_b64 v[0:1], v8, v[0:3], s[2:3] offset:32 glc
	s_waitcnt vmcnt(0)
	v_cmp_eq_u64_e32 vcc_lo, v[0:1], v[2:3]
	v_dual_mov_b32 v3, v1 :: v_dual_mov_b32 v2, v0
	s_or_b32 s7, vcc_lo, s7
	s_delay_alu instid0(SALU_CYCLE_1)
	s_and_not1_b32 exec_lo, exec_lo, s7
	s_cbranch_execnz .LBB34_126
.LBB34_127:
	s_or_b32 exec_lo, exec_lo, s6
	v_mov_b32_e32 v3, 0
	s_mov_b32 s7, exec_lo
	s_mov_b32 s6, exec_lo
	v_mbcnt_lo_u32_b32 v2, s7, 0
	global_load_b64 v[0:1], v3, s[2:3] offset:16
	v_cmpx_eq_u32_e32 0, v2
	s_cbranch_execz .LBB34_129
; %bb.128:
	s_bcnt1_i32_b32 s7, s7
	s_delay_alu instid0(SALU_CYCLE_1)
	v_mov_b32_e32 v2, s7
	s_waitcnt vmcnt(0)
	global_atomic_add_u64 v[0:1], v[2:3], off offset:8
.LBB34_129:
	s_or_b32 exec_lo, exec_lo, s6
	s_waitcnt vmcnt(0)
	global_load_b64 v[2:3], v[0:1], off offset:16
	s_waitcnt vmcnt(0)
	v_cmp_eq_u64_e32 vcc_lo, 0, v[2:3]
	s_cbranch_vccnz .LBB34_131
; %bb.130:
	global_load_b32 v0, v[0:1], off offset:24
	s_waitcnt vmcnt(0)
	v_dual_mov_b32 v1, 0 :: v_dual_and_b32 v6, 0xffffff, v0
	s_waitcnt_vscnt null, 0x0
	global_store_b64 v[2:3], v[0:1], off
	v_readfirstlane_b32 m0, v6
	s_sendmsg sendmsg(MSG_INTERRUPT)
.LBB34_131:
	s_or_b32 exec_lo, exec_lo, s1
	s_branch .LBB34_135
	.p2align	6
.LBB34_132:                             ;   in Loop: Header=BB34_135 Depth=1
	s_or_b32 exec_lo, exec_lo, s1
	s_delay_alu instid0(VALU_DEP_1) | instskip(NEXT) | instid1(VALU_DEP_1)
	v_readfirstlane_b32 s1, v0
	s_cmp_eq_u32 s1, 0
	s_cbranch_scc1 .LBB34_134
; %bb.133:                              ;   in Loop: Header=BB34_135 Depth=1
	s_sleep 1
	s_cbranch_execnz .LBB34_135
	s_branch .LBB34_137
	.p2align	6
.LBB34_134:
	s_branch .LBB34_137
.LBB34_135:                             ; =>This Inner Loop Header: Depth=1
	v_mov_b32_e32 v0, 1
	s_and_saveexec_b32 s1, s0
	s_cbranch_execz .LBB34_132
; %bb.136:                              ;   in Loop: Header=BB34_135 Depth=1
	global_load_b32 v0, v[10:11], off offset:20 glc
	s_waitcnt vmcnt(0)
	buffer_gl1_inv
	buffer_gl0_inv
	v_and_b32_e32 v0, 1, v0
	s_branch .LBB34_132
.LBB34_137:
	global_load_b64 v[0:1], v[12:13], off
	s_and_saveexec_b32 s1, s0
	s_cbranch_execz .LBB34_141
; %bb.138:
	v_mov_b32_e32 v10, 0
	s_clause 0x2
	global_load_b64 v[2:3], v10, s[2:3] offset:40
	global_load_b64 v[11:12], v10, s[2:3] offset:24 glc
	global_load_b64 v[8:9], v10, s[2:3]
	s_waitcnt vmcnt(2)
	v_add_co_u32 v13, vcc_lo, v2, 1
	v_add_co_ci_u32_e32 v14, vcc_lo, 0, v3, vcc_lo
	s_delay_alu instid0(VALU_DEP_2) | instskip(NEXT) | instid1(VALU_DEP_2)
	v_add_co_u32 v6, vcc_lo, v13, s4
	v_add_co_ci_u32_e32 v7, vcc_lo, s5, v14, vcc_lo
	s_delay_alu instid0(VALU_DEP_1) | instskip(SKIP_1) | instid1(VALU_DEP_1)
	v_cmp_eq_u64_e32 vcc_lo, 0, v[6:7]
	v_dual_cndmask_b32 v7, v7, v14 :: v_dual_cndmask_b32 v6, v6, v13
	v_and_b32_e32 v3, v7, v3
	s_delay_alu instid0(VALU_DEP_2) | instskip(NEXT) | instid1(VALU_DEP_2)
	v_and_b32_e32 v2, v6, v2
	v_mul_lo_u32 v3, v3, 24
	s_delay_alu instid0(VALU_DEP_2) | instskip(SKIP_1) | instid1(VALU_DEP_2)
	v_mul_hi_u32 v13, v2, 24
	v_mul_lo_u32 v2, v2, 24
	v_add_nc_u32_e32 v3, v13, v3
	s_waitcnt vmcnt(0)
	s_delay_alu instid0(VALU_DEP_2) | instskip(SKIP_1) | instid1(VALU_DEP_3)
	v_add_co_u32 v2, vcc_lo, v8, v2
	v_mov_b32_e32 v8, v11
	v_add_co_ci_u32_e32 v3, vcc_lo, v9, v3, vcc_lo
	v_mov_b32_e32 v9, v12
	global_store_b64 v[2:3], v[11:12], off
	s_waitcnt_vscnt null, 0x0
	global_atomic_cmpswap_b64 v[8:9], v10, v[6:9], s[2:3] offset:24 glc
	s_waitcnt vmcnt(0)
	v_cmp_ne_u64_e32 vcc_lo, v[8:9], v[11:12]
	s_and_b32 exec_lo, exec_lo, vcc_lo
	s_cbranch_execz .LBB34_141
; %bb.139:
	s_mov_b32 s0, 0
.LBB34_140:                             ; =>This Inner Loop Header: Depth=1
	s_sleep 1
	global_store_b64 v[2:3], v[8:9], off
	s_waitcnt_vscnt null, 0x0
	global_atomic_cmpswap_b64 v[11:12], v10, v[6:9], s[2:3] offset:24 glc
	s_waitcnt vmcnt(0)
	v_cmp_eq_u64_e32 vcc_lo, v[11:12], v[8:9]
	v_dual_mov_b32 v8, v11 :: v_dual_mov_b32 v9, v12
	s_or_b32 s0, vcc_lo, s0
	s_delay_alu instid0(SALU_CYCLE_1)
	s_and_not1_b32 exec_lo, exec_lo, s0
	s_cbranch_execnz .LBB34_140
.LBB34_141:
	s_or_b32 exec_lo, exec_lo, s1
.LBB34_142:
	s_getpc_b64 s[4:5]
	s_add_u32 s4, s4, .str.4@rel32@lo+4
	s_addc_u32 s5, s5, .str.4@rel32@hi+12
	s_delay_alu instid0(SALU_CYCLE_1)
	s_cmp_lg_u64 s[4:5], 0
	s_cbranch_scc0 .LBB34_220
; %bb.143:
	s_getpc_b64 s[0:1]
	s_add_u32 s0, s0, .str.4@rel32@lo+95
	s_addc_u32 s1, s1, .str.4@rel32@hi+103
	s_waitcnt vmcnt(0)
	v_dual_mov_b32 v10, 0 :: v_dual_and_b32 v33, 2, v0
	v_dual_mov_b32 v7, v1 :: v_dual_and_b32 v6, -3, v0
	v_dual_mov_b32 v11, 2 :: v_dual_mov_b32 v12, 1
	s_sub_i32 s6, s0, s4
	s_delay_alu instid0(SALU_CYCLE_1)
	s_ashr_i32 s7, s6, 31
	s_branch .LBB34_145
.LBB34_144:                             ;   in Loop: Header=BB34_145 Depth=1
	s_or_b32 exec_lo, exec_lo, s1
	s_sub_u32 s6, s6, s10
	s_subb_u32 s7, s7, s11
	s_add_u32 s4, s4, s10
	s_addc_u32 s5, s5, s11
	s_cmp_lg_u64 s[6:7], 0
	s_cbranch_scc0 .LBB34_221
.LBB34_145:                             ; =>This Loop Header: Depth=1
                                        ;     Child Loop BB34_154 Depth 2
                                        ;     Child Loop BB34_150 Depth 2
	;; [unrolled: 1-line block ×11, first 2 shown]
	v_cmp_lt_u64_e64 s0, s[6:7], 56
	v_cmp_gt_u64_e64 s1, s[6:7], 7
                                        ; implicit-def: $vgpr15_vgpr16
                                        ; implicit-def: $sgpr16
	s_delay_alu instid0(VALU_DEP_2) | instskip(SKIP_2) | instid1(VALU_DEP_1)
	s_and_b32 s0, s0, exec_lo
	s_cselect_b32 s11, s7, 0
	s_cselect_b32 s10, s6, 56
	s_and_b32 vcc_lo, exec_lo, s1
	s_mov_b32 s0, -1
	s_cbranch_vccz .LBB34_152
; %bb.146:                              ;   in Loop: Header=BB34_145 Depth=1
	s_and_not1_b32 vcc_lo, exec_lo, s0
	s_mov_b64 s[0:1], s[4:5]
	s_cbranch_vccz .LBB34_156
.LBB34_147:                             ;   in Loop: Header=BB34_145 Depth=1
	s_cmp_gt_u32 s16, 7
	s_cbranch_scc1 .LBB34_157
.LBB34_148:                             ;   in Loop: Header=BB34_145 Depth=1
	v_mov_b32_e32 v17, 0
	v_mov_b32_e32 v18, 0
	s_cmp_eq_u32 s16, 0
	s_cbranch_scc1 .LBB34_151
; %bb.149:                              ;   in Loop: Header=BB34_145 Depth=1
	s_mov_b64 s[12:13], 0
	s_mov_b64 s[14:15], 0
.LBB34_150:                             ;   Parent Loop BB34_145 Depth=1
                                        ; =>  This Inner Loop Header: Depth=2
	s_delay_alu instid0(SALU_CYCLE_1)
	s_add_u32 s18, s0, s14
	s_addc_u32 s19, s1, s15
	s_add_u32 s14, s14, 1
	global_load_u8 v2, v10, s[18:19]
	s_addc_u32 s15, s15, 0
	s_waitcnt vmcnt(0)
	v_and_b32_e32 v9, 0xffff, v2
	s_delay_alu instid0(VALU_DEP_1) | instskip(SKIP_3) | instid1(VALU_DEP_1)
	v_lshlrev_b64 v[2:3], s12, v[9:10]
	s_add_u32 s12, s12, 8
	s_addc_u32 s13, s13, 0
	s_cmp_lg_u32 s16, s14
	v_or_b32_e32 v17, v2, v17
	s_delay_alu instid0(VALU_DEP_2)
	v_or_b32_e32 v18, v3, v18
	s_cbranch_scc1 .LBB34_150
.LBB34_151:                             ;   in Loop: Header=BB34_145 Depth=1
	s_mov_b32 s17, 0
	s_cbranch_execz .LBB34_158
	s_branch .LBB34_159
.LBB34_152:                             ;   in Loop: Header=BB34_145 Depth=1
	v_mov_b32_e32 v15, 0
	v_mov_b32_e32 v16, 0
	s_cmp_eq_u64 s[6:7], 0
	s_mov_b64 s[0:1], 0
	s_cbranch_scc1 .LBB34_155
; %bb.153:                              ;   in Loop: Header=BB34_145 Depth=1
	v_mov_b32_e32 v15, 0
	v_mov_b32_e32 v16, 0
	s_lshl_b64 s[12:13], s[10:11], 3
	s_mov_b64 s[14:15], s[4:5]
.LBB34_154:                             ;   Parent Loop BB34_145 Depth=1
                                        ; =>  This Inner Loop Header: Depth=2
	global_load_u8 v2, v10, s[14:15]
	s_waitcnt vmcnt(0)
	v_and_b32_e32 v9, 0xffff, v2
	s_delay_alu instid0(VALU_DEP_1)
	v_lshlrev_b64 v[2:3], s0, v[9:10]
	s_add_u32 s0, s0, 8
	s_addc_u32 s1, s1, 0
	s_add_u32 s14, s14, 1
	s_addc_u32 s15, s15, 0
	s_cmp_lg_u32 s12, s0
	v_or_b32_e32 v15, v2, v15
	v_or_b32_e32 v16, v3, v16
	s_cbranch_scc1 .LBB34_154
.LBB34_155:                             ;   in Loop: Header=BB34_145 Depth=1
	s_mov_b32 s16, 0
	s_mov_b64 s[0:1], s[4:5]
	s_cbranch_execnz .LBB34_147
.LBB34_156:                             ;   in Loop: Header=BB34_145 Depth=1
	global_load_b64 v[15:16], v10, s[4:5]
	s_add_i32 s16, s10, -8
	s_add_u32 s0, s4, 8
	s_addc_u32 s1, s5, 0
	s_cmp_gt_u32 s16, 7
	s_cbranch_scc0 .LBB34_148
.LBB34_157:                             ;   in Loop: Header=BB34_145 Depth=1
                                        ; implicit-def: $vgpr17_vgpr18
                                        ; implicit-def: $sgpr17
.LBB34_158:                             ;   in Loop: Header=BB34_145 Depth=1
	global_load_b64 v[17:18], v10, s[0:1]
	s_add_i32 s17, s16, -8
	s_add_u32 s0, s0, 8
	s_addc_u32 s1, s1, 0
.LBB34_159:                             ;   in Loop: Header=BB34_145 Depth=1
	s_cmp_gt_u32 s17, 7
	s_cbranch_scc1 .LBB34_164
; %bb.160:                              ;   in Loop: Header=BB34_145 Depth=1
	v_mov_b32_e32 v19, 0
	v_mov_b32_e32 v20, 0
	s_cmp_eq_u32 s17, 0
	s_cbranch_scc1 .LBB34_163
; %bb.161:                              ;   in Loop: Header=BB34_145 Depth=1
	s_mov_b64 s[12:13], 0
	s_mov_b64 s[14:15], 0
.LBB34_162:                             ;   Parent Loop BB34_145 Depth=1
                                        ; =>  This Inner Loop Header: Depth=2
	s_delay_alu instid0(SALU_CYCLE_1)
	s_add_u32 s18, s0, s14
	s_addc_u32 s19, s1, s15
	s_add_u32 s14, s14, 1
	global_load_u8 v2, v10, s[18:19]
	s_addc_u32 s15, s15, 0
	s_waitcnt vmcnt(0)
	v_and_b32_e32 v9, 0xffff, v2
	s_delay_alu instid0(VALU_DEP_1) | instskip(SKIP_3) | instid1(VALU_DEP_1)
	v_lshlrev_b64 v[2:3], s12, v[9:10]
	s_add_u32 s12, s12, 8
	s_addc_u32 s13, s13, 0
	s_cmp_lg_u32 s17, s14
	v_or_b32_e32 v19, v2, v19
	s_delay_alu instid0(VALU_DEP_2)
	v_or_b32_e32 v20, v3, v20
	s_cbranch_scc1 .LBB34_162
.LBB34_163:                             ;   in Loop: Header=BB34_145 Depth=1
	s_mov_b32 s16, 0
	s_cbranch_execz .LBB34_165
	s_branch .LBB34_166
.LBB34_164:                             ;   in Loop: Header=BB34_145 Depth=1
                                        ; implicit-def: $sgpr16
.LBB34_165:                             ;   in Loop: Header=BB34_145 Depth=1
	global_load_b64 v[19:20], v10, s[0:1]
	s_add_i32 s16, s17, -8
	s_add_u32 s0, s0, 8
	s_addc_u32 s1, s1, 0
.LBB34_166:                             ;   in Loop: Header=BB34_145 Depth=1
	s_cmp_gt_u32 s16, 7
	s_cbranch_scc1 .LBB34_171
; %bb.167:                              ;   in Loop: Header=BB34_145 Depth=1
	v_mov_b32_e32 v21, 0
	v_mov_b32_e32 v22, 0
	s_cmp_eq_u32 s16, 0
	s_cbranch_scc1 .LBB34_170
; %bb.168:                              ;   in Loop: Header=BB34_145 Depth=1
	s_mov_b64 s[12:13], 0
	s_mov_b64 s[14:15], 0
.LBB34_169:                             ;   Parent Loop BB34_145 Depth=1
                                        ; =>  This Inner Loop Header: Depth=2
	s_delay_alu instid0(SALU_CYCLE_1)
	s_add_u32 s18, s0, s14
	s_addc_u32 s19, s1, s15
	s_add_u32 s14, s14, 1
	global_load_u8 v2, v10, s[18:19]
	s_addc_u32 s15, s15, 0
	s_waitcnt vmcnt(0)
	v_and_b32_e32 v9, 0xffff, v2
	s_delay_alu instid0(VALU_DEP_1) | instskip(SKIP_3) | instid1(VALU_DEP_1)
	v_lshlrev_b64 v[2:3], s12, v[9:10]
	s_add_u32 s12, s12, 8
	s_addc_u32 s13, s13, 0
	s_cmp_lg_u32 s16, s14
	v_or_b32_e32 v21, v2, v21
	s_delay_alu instid0(VALU_DEP_2)
	v_or_b32_e32 v22, v3, v22
	s_cbranch_scc1 .LBB34_169
.LBB34_170:                             ;   in Loop: Header=BB34_145 Depth=1
	s_mov_b32 s17, 0
	s_cbranch_execz .LBB34_172
	s_branch .LBB34_173
.LBB34_171:                             ;   in Loop: Header=BB34_145 Depth=1
                                        ; implicit-def: $vgpr21_vgpr22
                                        ; implicit-def: $sgpr17
.LBB34_172:                             ;   in Loop: Header=BB34_145 Depth=1
	global_load_b64 v[21:22], v10, s[0:1]
	s_add_i32 s17, s16, -8
	s_add_u32 s0, s0, 8
	s_addc_u32 s1, s1, 0
.LBB34_173:                             ;   in Loop: Header=BB34_145 Depth=1
	s_cmp_gt_u32 s17, 7
	s_cbranch_scc1 .LBB34_178
; %bb.174:                              ;   in Loop: Header=BB34_145 Depth=1
	v_mov_b32_e32 v23, 0
	v_mov_b32_e32 v24, 0
	s_cmp_eq_u32 s17, 0
	s_cbranch_scc1 .LBB34_177
; %bb.175:                              ;   in Loop: Header=BB34_145 Depth=1
	s_mov_b64 s[12:13], 0
	s_mov_b64 s[14:15], 0
.LBB34_176:                             ;   Parent Loop BB34_145 Depth=1
                                        ; =>  This Inner Loop Header: Depth=2
	s_delay_alu instid0(SALU_CYCLE_1)
	s_add_u32 s18, s0, s14
	s_addc_u32 s19, s1, s15
	s_add_u32 s14, s14, 1
	global_load_u8 v2, v10, s[18:19]
	s_addc_u32 s15, s15, 0
	s_waitcnt vmcnt(0)
	v_and_b32_e32 v9, 0xffff, v2
	s_delay_alu instid0(VALU_DEP_1) | instskip(SKIP_3) | instid1(VALU_DEP_1)
	v_lshlrev_b64 v[2:3], s12, v[9:10]
	s_add_u32 s12, s12, 8
	s_addc_u32 s13, s13, 0
	s_cmp_lg_u32 s17, s14
	v_or_b32_e32 v23, v2, v23
	s_delay_alu instid0(VALU_DEP_2)
	v_or_b32_e32 v24, v3, v24
	s_cbranch_scc1 .LBB34_176
.LBB34_177:                             ;   in Loop: Header=BB34_145 Depth=1
	s_mov_b32 s16, 0
	s_cbranch_execz .LBB34_179
	s_branch .LBB34_180
.LBB34_178:                             ;   in Loop: Header=BB34_145 Depth=1
                                        ; implicit-def: $sgpr16
.LBB34_179:                             ;   in Loop: Header=BB34_145 Depth=1
	global_load_b64 v[23:24], v10, s[0:1]
	s_add_i32 s16, s17, -8
	s_add_u32 s0, s0, 8
	s_addc_u32 s1, s1, 0
.LBB34_180:                             ;   in Loop: Header=BB34_145 Depth=1
	s_cmp_gt_u32 s16, 7
	s_cbranch_scc1 .LBB34_185
; %bb.181:                              ;   in Loop: Header=BB34_145 Depth=1
	v_mov_b32_e32 v25, 0
	v_mov_b32_e32 v26, 0
	s_cmp_eq_u32 s16, 0
	s_cbranch_scc1 .LBB34_184
; %bb.182:                              ;   in Loop: Header=BB34_145 Depth=1
	s_mov_b64 s[12:13], 0
	s_mov_b64 s[14:15], 0
.LBB34_183:                             ;   Parent Loop BB34_145 Depth=1
                                        ; =>  This Inner Loop Header: Depth=2
	s_delay_alu instid0(SALU_CYCLE_1)
	s_add_u32 s18, s0, s14
	s_addc_u32 s19, s1, s15
	s_add_u32 s14, s14, 1
	global_load_u8 v2, v10, s[18:19]
	s_addc_u32 s15, s15, 0
	s_waitcnt vmcnt(0)
	v_and_b32_e32 v9, 0xffff, v2
	s_delay_alu instid0(VALU_DEP_1) | instskip(SKIP_3) | instid1(VALU_DEP_1)
	v_lshlrev_b64 v[2:3], s12, v[9:10]
	s_add_u32 s12, s12, 8
	s_addc_u32 s13, s13, 0
	s_cmp_lg_u32 s16, s14
	v_or_b32_e32 v25, v2, v25
	s_delay_alu instid0(VALU_DEP_2)
	v_or_b32_e32 v26, v3, v26
	s_cbranch_scc1 .LBB34_183
.LBB34_184:                             ;   in Loop: Header=BB34_145 Depth=1
	s_mov_b32 s17, 0
	s_cbranch_execz .LBB34_186
	s_branch .LBB34_187
.LBB34_185:                             ;   in Loop: Header=BB34_145 Depth=1
                                        ; implicit-def: $vgpr25_vgpr26
                                        ; implicit-def: $sgpr17
.LBB34_186:                             ;   in Loop: Header=BB34_145 Depth=1
	global_load_b64 v[25:26], v10, s[0:1]
	s_add_i32 s17, s16, -8
	s_add_u32 s0, s0, 8
	s_addc_u32 s1, s1, 0
.LBB34_187:                             ;   in Loop: Header=BB34_145 Depth=1
	s_cmp_gt_u32 s17, 7
	s_cbranch_scc1 .LBB34_192
; %bb.188:                              ;   in Loop: Header=BB34_145 Depth=1
	v_mov_b32_e32 v27, 0
	v_mov_b32_e32 v28, 0
	s_cmp_eq_u32 s17, 0
	s_cbranch_scc1 .LBB34_191
; %bb.189:                              ;   in Loop: Header=BB34_145 Depth=1
	s_mov_b64 s[12:13], 0
	s_mov_b64 s[14:15], s[0:1]
.LBB34_190:                             ;   Parent Loop BB34_145 Depth=1
                                        ; =>  This Inner Loop Header: Depth=2
	global_load_u8 v2, v10, s[14:15]
	s_add_i32 s17, s17, -1
	s_waitcnt vmcnt(0)
	v_and_b32_e32 v9, 0xffff, v2
	s_delay_alu instid0(VALU_DEP_1)
	v_lshlrev_b64 v[2:3], s12, v[9:10]
	s_add_u32 s12, s12, 8
	s_addc_u32 s13, s13, 0
	s_add_u32 s14, s14, 1
	s_addc_u32 s15, s15, 0
	s_cmp_lg_u32 s17, 0
	v_or_b32_e32 v27, v2, v27
	v_or_b32_e32 v28, v3, v28
	s_cbranch_scc1 .LBB34_190
.LBB34_191:                             ;   in Loop: Header=BB34_145 Depth=1
	s_cbranch_execz .LBB34_193
	s_branch .LBB34_194
.LBB34_192:                             ;   in Loop: Header=BB34_145 Depth=1
.LBB34_193:                             ;   in Loop: Header=BB34_145 Depth=1
	global_load_b64 v[27:28], v10, s[0:1]
.LBB34_194:                             ;   in Loop: Header=BB34_145 Depth=1
	v_readfirstlane_b32 s0, v35
	v_mov_b32_e32 v2, 0
	v_mov_b32_e32 v3, 0
	s_delay_alu instid0(VALU_DEP_3) | instskip(NEXT) | instid1(VALU_DEP_1)
	v_cmp_eq_u32_e64 s0, s0, v35
	s_and_saveexec_b32 s1, s0
	s_cbranch_execz .LBB34_200
; %bb.195:                              ;   in Loop: Header=BB34_145 Depth=1
	global_load_b64 v[31:32], v10, s[2:3] offset:24 glc
	s_waitcnt vmcnt(0)
	buffer_gl1_inv
	buffer_gl0_inv
	s_clause 0x1
	global_load_b64 v[2:3], v10, s[2:3] offset:40
	global_load_b64 v[8:9], v10, s[2:3]
	s_mov_b32 s12, exec_lo
	s_waitcnt vmcnt(1)
	v_and_b32_e32 v3, v3, v32
	v_and_b32_e32 v2, v2, v31
	s_delay_alu instid0(VALU_DEP_2) | instskip(NEXT) | instid1(VALU_DEP_2)
	v_mul_lo_u32 v3, v3, 24
	v_mul_hi_u32 v13, v2, 24
	v_mul_lo_u32 v2, v2, 24
	s_delay_alu instid0(VALU_DEP_2) | instskip(SKIP_1) | instid1(VALU_DEP_2)
	v_add_nc_u32_e32 v3, v13, v3
	s_waitcnt vmcnt(0)
	v_add_co_u32 v2, vcc_lo, v8, v2
	s_delay_alu instid0(VALU_DEP_2)
	v_add_co_ci_u32_e32 v3, vcc_lo, v9, v3, vcc_lo
	global_load_b64 v[29:30], v[2:3], off glc
	s_waitcnt vmcnt(0)
	global_atomic_cmpswap_b64 v[2:3], v10, v[29:32], s[2:3] offset:24 glc
	s_waitcnt vmcnt(0)
	buffer_gl1_inv
	buffer_gl0_inv
	v_cmpx_ne_u64_e64 v[2:3], v[31:32]
	s_cbranch_execz .LBB34_199
; %bb.196:                              ;   in Loop: Header=BB34_145 Depth=1
	s_mov_b32 s13, 0
	.p2align	6
.LBB34_197:                             ;   Parent Loop BB34_145 Depth=1
                                        ; =>  This Inner Loop Header: Depth=2
	s_sleep 1
	s_clause 0x1
	global_load_b64 v[8:9], v10, s[2:3] offset:40
	global_load_b64 v[13:14], v10, s[2:3]
	v_dual_mov_b32 v32, v3 :: v_dual_mov_b32 v31, v2
	s_waitcnt vmcnt(1)
	s_delay_alu instid0(VALU_DEP_1) | instskip(SKIP_1) | instid1(VALU_DEP_1)
	v_and_b32_e32 v8, v8, v31
	s_waitcnt vmcnt(0)
	v_mad_u64_u32 v[2:3], null, v8, 24, v[13:14]
	v_and_b32_e32 v13, v9, v32
	s_delay_alu instid0(VALU_DEP_1) | instskip(NEXT) | instid1(VALU_DEP_1)
	v_mad_u64_u32 v[8:9], null, v13, 24, v[3:4]
	v_mov_b32_e32 v3, v8
	global_load_b64 v[29:30], v[2:3], off glc
	s_waitcnt vmcnt(0)
	global_atomic_cmpswap_b64 v[2:3], v10, v[29:32], s[2:3] offset:24 glc
	s_waitcnt vmcnt(0)
	buffer_gl1_inv
	buffer_gl0_inv
	v_cmp_eq_u64_e32 vcc_lo, v[2:3], v[31:32]
	s_or_b32 s13, vcc_lo, s13
	s_delay_alu instid0(SALU_CYCLE_1)
	s_and_not1_b32 exec_lo, exec_lo, s13
	s_cbranch_execnz .LBB34_197
; %bb.198:                              ;   in Loop: Header=BB34_145 Depth=1
	s_or_b32 exec_lo, exec_lo, s13
.LBB34_199:                             ;   in Loop: Header=BB34_145 Depth=1
	s_delay_alu instid0(SALU_CYCLE_1)
	s_or_b32 exec_lo, exec_lo, s12
.LBB34_200:                             ;   in Loop: Header=BB34_145 Depth=1
	s_delay_alu instid0(SALU_CYCLE_1)
	s_or_b32 exec_lo, exec_lo, s1
	s_clause 0x1
	global_load_b64 v[8:9], v10, s[2:3] offset:40
	global_load_b128 v[29:32], v10, s[2:3]
	v_readfirstlane_b32 s12, v2
	v_readfirstlane_b32 s13, v3
	s_mov_b32 s1, exec_lo
	s_waitcnt vmcnt(1)
	v_readfirstlane_b32 s14, v8
	v_readfirstlane_b32 s15, v9
	s_delay_alu instid0(VALU_DEP_1) | instskip(NEXT) | instid1(SALU_CYCLE_1)
	s_and_b64 s[14:15], s[12:13], s[14:15]
	s_mul_i32 s16, s15, 24
	s_mul_hi_u32 s17, s14, 24
	s_mul_i32 s18, s14, 24
	s_add_i32 s17, s17, s16
	s_waitcnt vmcnt(0)
	v_add_co_u32 v2, vcc_lo, v29, s18
	v_add_co_ci_u32_e32 v3, vcc_lo, s17, v30, vcc_lo
	s_and_saveexec_b32 s16, s0
	s_cbranch_execz .LBB34_202
; %bb.201:                              ;   in Loop: Header=BB34_145 Depth=1
	v_mov_b32_e32 v9, s1
	global_store_b128 v[2:3], v[9:12], off offset:8
.LBB34_202:                             ;   in Loop: Header=BB34_145 Depth=1
	s_or_b32 exec_lo, exec_lo, s16
	s_lshl_b64 s[14:15], s[14:15], 12
	v_cmp_gt_u64_e64 vcc_lo, s[6:7], 56
	v_or_b32_e32 v9, v6, v33
	v_add_co_u32 v31, s1, v31, s14
	s_delay_alu instid0(VALU_DEP_1)
	v_add_co_ci_u32_e64 v32, s1, s15, v32, s1
	s_lshl_b32 s1, s10, 2
	v_or_b32_e32 v8, 0, v7
	v_cndmask_b32_e32 v6, v9, v6, vcc_lo
	s_add_i32 s1, s1, 28
	v_readfirstlane_b32 s14, v31
	s_and_b32 s1, s1, 0x1e0
	v_cndmask_b32_e32 v14, v8, v7, vcc_lo
	v_readfirstlane_b32 s15, v32
	v_and_or_b32 v13, 0xffffff1f, v6, s1
	s_clause 0x3
	global_store_b128 v34, v[13:16], s[14:15]
	global_store_b128 v34, v[17:20], s[14:15] offset:16
	global_store_b128 v34, v[21:24], s[14:15] offset:32
	;; [unrolled: 1-line block ×3, first 2 shown]
	s_and_saveexec_b32 s1, s0
	s_cbranch_execz .LBB34_210
; %bb.203:                              ;   in Loop: Header=BB34_145 Depth=1
	s_clause 0x1
	global_load_b64 v[17:18], v10, s[2:3] offset:32 glc
	global_load_b64 v[6:7], v10, s[2:3] offset:40
	v_dual_mov_b32 v15, s12 :: v_dual_mov_b32 v16, s13
	s_waitcnt vmcnt(0)
	v_readfirstlane_b32 s14, v6
	v_readfirstlane_b32 s15, v7
	s_delay_alu instid0(VALU_DEP_1) | instskip(NEXT) | instid1(SALU_CYCLE_1)
	s_and_b64 s[14:15], s[14:15], s[12:13]
	s_mul_i32 s15, s15, 24
	s_mul_hi_u32 s16, s14, 24
	s_mul_i32 s14, s14, 24
	s_add_i32 s16, s16, s15
	v_add_co_u32 v13, vcc_lo, v29, s14
	v_add_co_ci_u32_e32 v14, vcc_lo, s16, v30, vcc_lo
	s_mov_b32 s14, exec_lo
	global_store_b64 v[13:14], v[17:18], off
	s_waitcnt_vscnt null, 0x0
	global_atomic_cmpswap_b64 v[8:9], v10, v[15:18], s[2:3] offset:32 glc
	s_waitcnt vmcnt(0)
	v_cmpx_ne_u64_e64 v[8:9], v[17:18]
	s_cbranch_execz .LBB34_206
; %bb.204:                              ;   in Loop: Header=BB34_145 Depth=1
	s_mov_b32 s15, 0
.LBB34_205:                             ;   Parent Loop BB34_145 Depth=1
                                        ; =>  This Inner Loop Header: Depth=2
	v_dual_mov_b32 v6, s12 :: v_dual_mov_b32 v7, s13
	s_sleep 1
	global_store_b64 v[13:14], v[8:9], off
	s_waitcnt_vscnt null, 0x0
	global_atomic_cmpswap_b64 v[6:7], v10, v[6:9], s[2:3] offset:32 glc
	s_waitcnt vmcnt(0)
	v_cmp_eq_u64_e32 vcc_lo, v[6:7], v[8:9]
	v_dual_mov_b32 v9, v7 :: v_dual_mov_b32 v8, v6
	s_or_b32 s15, vcc_lo, s15
	s_delay_alu instid0(SALU_CYCLE_1)
	s_and_not1_b32 exec_lo, exec_lo, s15
	s_cbranch_execnz .LBB34_205
.LBB34_206:                             ;   in Loop: Header=BB34_145 Depth=1
	s_or_b32 exec_lo, exec_lo, s14
	global_load_b64 v[6:7], v10, s[2:3] offset:16
	s_mov_b32 s15, exec_lo
	s_mov_b32 s14, exec_lo
	v_mbcnt_lo_u32_b32 v8, s15, 0
	s_delay_alu instid0(VALU_DEP_1)
	v_cmpx_eq_u32_e32 0, v8
	s_cbranch_execz .LBB34_208
; %bb.207:                              ;   in Loop: Header=BB34_145 Depth=1
	s_bcnt1_i32_b32 s15, s15
	s_delay_alu instid0(SALU_CYCLE_1)
	v_mov_b32_e32 v9, s15
	s_waitcnt vmcnt(0)
	global_atomic_add_u64 v[6:7], v[9:10], off offset:8
.LBB34_208:                             ;   in Loop: Header=BB34_145 Depth=1
	s_or_b32 exec_lo, exec_lo, s14
	s_waitcnt vmcnt(0)
	global_load_b64 v[13:14], v[6:7], off offset:16
	s_waitcnt vmcnt(0)
	v_cmp_eq_u64_e32 vcc_lo, 0, v[13:14]
	s_cbranch_vccnz .LBB34_210
; %bb.209:                              ;   in Loop: Header=BB34_145 Depth=1
	global_load_b32 v9, v[6:7], off offset:24
	s_waitcnt vmcnt(0)
	v_and_b32_e32 v6, 0xffffff, v9
	s_waitcnt_vscnt null, 0x0
	global_store_b64 v[13:14], v[9:10], off
	v_readfirstlane_b32 m0, v6
	s_sendmsg sendmsg(MSG_INTERRUPT)
.LBB34_210:                             ;   in Loop: Header=BB34_145 Depth=1
	s_or_b32 exec_lo, exec_lo, s1
	v_add_co_u32 v6, vcc_lo, v31, v34
	v_add_co_ci_u32_e32 v7, vcc_lo, 0, v32, vcc_lo
	s_branch .LBB34_214
	.p2align	6
.LBB34_211:                             ;   in Loop: Header=BB34_214 Depth=2
	s_or_b32 exec_lo, exec_lo, s1
	s_delay_alu instid0(VALU_DEP_1) | instskip(NEXT) | instid1(VALU_DEP_1)
	v_readfirstlane_b32 s1, v8
	s_cmp_eq_u32 s1, 0
	s_cbranch_scc1 .LBB34_213
; %bb.212:                              ;   in Loop: Header=BB34_214 Depth=2
	s_sleep 1
	s_cbranch_execnz .LBB34_214
	s_branch .LBB34_216
	.p2align	6
.LBB34_213:                             ;   in Loop: Header=BB34_145 Depth=1
	s_branch .LBB34_216
.LBB34_214:                             ;   Parent Loop BB34_145 Depth=1
                                        ; =>  This Inner Loop Header: Depth=2
	v_mov_b32_e32 v8, 1
	s_and_saveexec_b32 s1, s0
	s_cbranch_execz .LBB34_211
; %bb.215:                              ;   in Loop: Header=BB34_214 Depth=2
	global_load_b32 v8, v[2:3], off offset:20 glc
	s_waitcnt vmcnt(0)
	buffer_gl1_inv
	buffer_gl0_inv
	v_and_b32_e32 v8, 1, v8
	s_branch .LBB34_211
.LBB34_216:                             ;   in Loop: Header=BB34_145 Depth=1
	global_load_b128 v[6:9], v[6:7], off
	s_and_saveexec_b32 s1, s0
	s_cbranch_execz .LBB34_144
; %bb.217:                              ;   in Loop: Header=BB34_145 Depth=1
	s_clause 0x2
	global_load_b64 v[2:3], v10, s[2:3] offset:40
	global_load_b64 v[8:9], v10, s[2:3] offset:24 glc
	global_load_b64 v[15:16], v10, s[2:3]
	s_waitcnt vmcnt(2)
	v_add_co_u32 v17, vcc_lo, v2, 1
	v_add_co_ci_u32_e32 v18, vcc_lo, 0, v3, vcc_lo
	s_delay_alu instid0(VALU_DEP_2) | instskip(NEXT) | instid1(VALU_DEP_2)
	v_add_co_u32 v13, vcc_lo, v17, s12
	v_add_co_ci_u32_e32 v14, vcc_lo, s13, v18, vcc_lo
	s_delay_alu instid0(VALU_DEP_1) | instskip(SKIP_1) | instid1(VALU_DEP_1)
	v_cmp_eq_u64_e32 vcc_lo, 0, v[13:14]
	v_dual_cndmask_b32 v14, v14, v18 :: v_dual_cndmask_b32 v13, v13, v17
	v_and_b32_e32 v3, v14, v3
	s_delay_alu instid0(VALU_DEP_2) | instskip(NEXT) | instid1(VALU_DEP_2)
	v_and_b32_e32 v2, v13, v2
	v_mul_lo_u32 v3, v3, 24
	s_delay_alu instid0(VALU_DEP_2) | instskip(SKIP_1) | instid1(VALU_DEP_2)
	v_mul_hi_u32 v17, v2, 24
	v_mul_lo_u32 v2, v2, 24
	v_add_nc_u32_e32 v3, v17, v3
	s_waitcnt vmcnt(0)
	s_delay_alu instid0(VALU_DEP_2) | instskip(SKIP_1) | instid1(VALU_DEP_3)
	v_add_co_u32 v2, vcc_lo, v15, v2
	v_mov_b32_e32 v15, v8
	v_add_co_ci_u32_e32 v3, vcc_lo, v16, v3, vcc_lo
	v_mov_b32_e32 v16, v9
	global_store_b64 v[2:3], v[8:9], off
	s_waitcnt_vscnt null, 0x0
	global_atomic_cmpswap_b64 v[15:16], v10, v[13:16], s[2:3] offset:24 glc
	s_waitcnt vmcnt(0)
	v_cmp_ne_u64_e32 vcc_lo, v[15:16], v[8:9]
	s_and_b32 exec_lo, exec_lo, vcc_lo
	s_cbranch_execz .LBB34_144
; %bb.218:                              ;   in Loop: Header=BB34_145 Depth=1
	s_mov_b32 s0, 0
.LBB34_219:                             ;   Parent Loop BB34_145 Depth=1
                                        ; =>  This Inner Loop Header: Depth=2
	s_sleep 1
	global_store_b64 v[2:3], v[15:16], off
	s_waitcnt_vscnt null, 0x0
	global_atomic_cmpswap_b64 v[8:9], v10, v[13:16], s[2:3] offset:24 glc
	s_waitcnt vmcnt(0)
	v_cmp_eq_u64_e32 vcc_lo, v[8:9], v[15:16]
	v_dual_mov_b32 v16, v9 :: v_dual_mov_b32 v15, v8
	s_or_b32 s0, vcc_lo, s0
	s_delay_alu instid0(SALU_CYCLE_1)
	s_and_not1_b32 exec_lo, exec_lo, s0
	s_cbranch_execnz .LBB34_219
	s_branch .LBB34_144
.LBB34_220:
                                        ; implicit-def: $vgpr6_vgpr7
	s_cbranch_execnz .LBB34_222
	s_branch .LBB34_249
.LBB34_221:
	s_branch .LBB34_249
.LBB34_222:
	v_readfirstlane_b32 s0, v35
	v_mov_b32_e32 v10, 0
	v_mov_b32_e32 v11, 0
	s_delay_alu instid0(VALU_DEP_3) | instskip(NEXT) | instid1(VALU_DEP_1)
	v_cmp_eq_u32_e64 s0, s0, v35
	s_and_saveexec_b32 s1, s0
	s_cbranch_execz .LBB34_228
; %bb.223:
	s_waitcnt vmcnt(0)
	v_mov_b32_e32 v2, 0
	s_mov_b32 s4, exec_lo
	global_load_b64 v[8:9], v2, s[2:3] offset:24 glc
	s_waitcnt vmcnt(0)
	buffer_gl1_inv
	buffer_gl0_inv
	s_clause 0x1
	global_load_b64 v[6:7], v2, s[2:3] offset:40
	global_load_b64 v[10:11], v2, s[2:3]
	s_waitcnt vmcnt(1)
	v_and_b32_e32 v3, v7, v9
	v_and_b32_e32 v6, v6, v8
	s_delay_alu instid0(VALU_DEP_2) | instskip(NEXT) | instid1(VALU_DEP_2)
	v_mul_lo_u32 v3, v3, 24
	v_mul_hi_u32 v7, v6, 24
	v_mul_lo_u32 v6, v6, 24
	s_delay_alu instid0(VALU_DEP_2) | instskip(SKIP_1) | instid1(VALU_DEP_2)
	v_add_nc_u32_e32 v3, v7, v3
	s_waitcnt vmcnt(0)
	v_add_co_u32 v6, vcc_lo, v10, v6
	s_delay_alu instid0(VALU_DEP_2)
	v_add_co_ci_u32_e32 v7, vcc_lo, v11, v3, vcc_lo
	global_load_b64 v[6:7], v[6:7], off glc
	s_waitcnt vmcnt(0)
	global_atomic_cmpswap_b64 v[10:11], v2, v[6:9], s[2:3] offset:24 glc
	s_waitcnt vmcnt(0)
	buffer_gl1_inv
	buffer_gl0_inv
	v_cmpx_ne_u64_e64 v[10:11], v[8:9]
	s_cbranch_execz .LBB34_227
; %bb.224:
	s_mov_b32 s5, 0
	.p2align	6
.LBB34_225:                             ; =>This Inner Loop Header: Depth=1
	s_sleep 1
	s_clause 0x1
	global_load_b64 v[6:7], v2, s[2:3] offset:40
	global_load_b64 v[12:13], v2, s[2:3]
	v_dual_mov_b32 v8, v10 :: v_dual_mov_b32 v9, v11
	s_waitcnt vmcnt(1)
	s_delay_alu instid0(VALU_DEP_1) | instskip(SKIP_1) | instid1(VALU_DEP_1)
	v_and_b32_e32 v3, v6, v8
	s_waitcnt vmcnt(0)
	v_mad_u64_u32 v[10:11], null, v3, 24, v[12:13]
	v_and_b32_e32 v12, v7, v9
	s_delay_alu instid0(VALU_DEP_2) | instskip(NEXT) | instid1(VALU_DEP_1)
	v_mov_b32_e32 v3, v11
	v_mad_u64_u32 v[6:7], null, v12, 24, v[3:4]
	s_delay_alu instid0(VALU_DEP_1)
	v_mov_b32_e32 v11, v6
	global_load_b64 v[6:7], v[10:11], off glc
	s_waitcnt vmcnt(0)
	global_atomic_cmpswap_b64 v[10:11], v2, v[6:9], s[2:3] offset:24 glc
	s_waitcnt vmcnt(0)
	buffer_gl1_inv
	buffer_gl0_inv
	v_cmp_eq_u64_e32 vcc_lo, v[10:11], v[8:9]
	s_or_b32 s5, vcc_lo, s5
	s_delay_alu instid0(SALU_CYCLE_1)
	s_and_not1_b32 exec_lo, exec_lo, s5
	s_cbranch_execnz .LBB34_225
; %bb.226:
	s_or_b32 exec_lo, exec_lo, s5
.LBB34_227:
	s_delay_alu instid0(SALU_CYCLE_1)
	s_or_b32 exec_lo, exec_lo, s4
.LBB34_228:
	s_delay_alu instid0(SALU_CYCLE_1)
	s_or_b32 exec_lo, exec_lo, s1
	s_waitcnt vmcnt(0)
	v_mov_b32_e32 v2, 0
	v_readfirstlane_b32 s4, v10
	v_readfirstlane_b32 s5, v11
	s_mov_b32 s1, exec_lo
	s_clause 0x1
	global_load_b64 v[12:13], v2, s[2:3] offset:40
	global_load_b128 v[6:9], v2, s[2:3]
	s_waitcnt vmcnt(1)
	v_readfirstlane_b32 s6, v12
	v_readfirstlane_b32 s7, v13
	s_delay_alu instid0(VALU_DEP_1) | instskip(NEXT) | instid1(SALU_CYCLE_1)
	s_and_b64 s[6:7], s[4:5], s[6:7]
	s_mul_i32 s10, s7, 24
	s_mul_hi_u32 s11, s6, 24
	s_mul_i32 s12, s6, 24
	s_add_i32 s11, s11, s10
	s_waitcnt vmcnt(0)
	v_add_co_u32 v10, vcc_lo, v6, s12
	v_add_co_ci_u32_e32 v11, vcc_lo, s11, v7, vcc_lo
	s_and_saveexec_b32 s10, s0
	s_cbranch_execz .LBB34_230
; %bb.229:
	v_dual_mov_b32 v12, s1 :: v_dual_mov_b32 v13, v2
	v_dual_mov_b32 v14, 2 :: v_dual_mov_b32 v15, 1
	global_store_b128 v[10:11], v[12:15], off offset:8
.LBB34_230:
	s_or_b32 exec_lo, exec_lo, s10
	s_lshl_b64 s[6:7], s[6:7], 12
	s_mov_b32 s12, 0
	v_add_co_u32 v8, vcc_lo, v8, s6
	v_add_co_ci_u32_e32 v9, vcc_lo, s7, v9, vcc_lo
	s_mov_b32 s13, s12
	s_delay_alu instid0(VALU_DEP_2)
	v_readfirstlane_b32 s6, v8
	v_add_co_u32 v8, vcc_lo, v8, v34
	s_mov_b32 s14, s12
	s_mov_b32 s15, s12
	v_and_or_b32 v0, 0xffffff1f, v0, 32
	v_dual_mov_b32 v3, v2 :: v_dual_mov_b32 v12, s12
	v_readfirstlane_b32 s7, v9
	v_add_co_ci_u32_e32 v9, vcc_lo, 0, v9, vcc_lo
	v_dual_mov_b32 v13, s13 :: v_dual_mov_b32 v14, s14
	v_mov_b32_e32 v15, s15
	s_clause 0x3
	global_store_b128 v34, v[0:3], s[6:7]
	global_store_b128 v34, v[12:15], s[6:7] offset:16
	global_store_b128 v34, v[12:15], s[6:7] offset:32
	;; [unrolled: 1-line block ×3, first 2 shown]
	s_and_saveexec_b32 s1, s0
	s_cbranch_execz .LBB34_238
; %bb.231:
	v_dual_mov_b32 v12, 0 :: v_dual_mov_b32 v13, s4
	v_mov_b32_e32 v14, s5
	s_clause 0x1
	global_load_b64 v[15:16], v12, s[2:3] offset:32 glc
	global_load_b64 v[0:1], v12, s[2:3] offset:40
	s_waitcnt vmcnt(0)
	v_readfirstlane_b32 s6, v0
	v_readfirstlane_b32 s7, v1
	s_delay_alu instid0(VALU_DEP_1) | instskip(NEXT) | instid1(SALU_CYCLE_1)
	s_and_b64 s[6:7], s[6:7], s[4:5]
	s_mul_i32 s7, s7, 24
	s_mul_hi_u32 s10, s6, 24
	s_mul_i32 s6, s6, 24
	s_add_i32 s10, s10, s7
	v_add_co_u32 v6, vcc_lo, v6, s6
	v_add_co_ci_u32_e32 v7, vcc_lo, s10, v7, vcc_lo
	s_mov_b32 s6, exec_lo
	global_store_b64 v[6:7], v[15:16], off
	s_waitcnt_vscnt null, 0x0
	global_atomic_cmpswap_b64 v[2:3], v12, v[13:16], s[2:3] offset:32 glc
	s_waitcnt vmcnt(0)
	v_cmpx_ne_u64_e64 v[2:3], v[15:16]
	s_cbranch_execz .LBB34_234
; %bb.232:
	s_mov_b32 s7, 0
.LBB34_233:                             ; =>This Inner Loop Header: Depth=1
	v_dual_mov_b32 v0, s4 :: v_dual_mov_b32 v1, s5
	s_sleep 1
	global_store_b64 v[6:7], v[2:3], off
	s_waitcnt_vscnt null, 0x0
	global_atomic_cmpswap_b64 v[0:1], v12, v[0:3], s[2:3] offset:32 glc
	s_waitcnt vmcnt(0)
	v_cmp_eq_u64_e32 vcc_lo, v[0:1], v[2:3]
	v_dual_mov_b32 v3, v1 :: v_dual_mov_b32 v2, v0
	s_or_b32 s7, vcc_lo, s7
	s_delay_alu instid0(SALU_CYCLE_1)
	s_and_not1_b32 exec_lo, exec_lo, s7
	s_cbranch_execnz .LBB34_233
.LBB34_234:
	s_or_b32 exec_lo, exec_lo, s6
	v_mov_b32_e32 v3, 0
	s_mov_b32 s7, exec_lo
	s_mov_b32 s6, exec_lo
	v_mbcnt_lo_u32_b32 v2, s7, 0
	global_load_b64 v[0:1], v3, s[2:3] offset:16
	v_cmpx_eq_u32_e32 0, v2
	s_cbranch_execz .LBB34_236
; %bb.235:
	s_bcnt1_i32_b32 s7, s7
	s_delay_alu instid0(SALU_CYCLE_1)
	v_mov_b32_e32 v2, s7
	s_waitcnt vmcnt(0)
	global_atomic_add_u64 v[0:1], v[2:3], off offset:8
.LBB34_236:
	s_or_b32 exec_lo, exec_lo, s6
	s_waitcnt vmcnt(0)
	global_load_b64 v[2:3], v[0:1], off offset:16
	s_waitcnt vmcnt(0)
	v_cmp_eq_u64_e32 vcc_lo, 0, v[2:3]
	s_cbranch_vccnz .LBB34_238
; %bb.237:
	global_load_b32 v0, v[0:1], off offset:24
	s_waitcnt vmcnt(0)
	v_dual_mov_b32 v1, 0 :: v_dual_and_b32 v6, 0xffffff, v0
	s_waitcnt_vscnt null, 0x0
	global_store_b64 v[2:3], v[0:1], off
	v_readfirstlane_b32 m0, v6
	s_sendmsg sendmsg(MSG_INTERRUPT)
.LBB34_238:
	s_or_b32 exec_lo, exec_lo, s1
	s_branch .LBB34_242
	.p2align	6
.LBB34_239:                             ;   in Loop: Header=BB34_242 Depth=1
	s_or_b32 exec_lo, exec_lo, s1
	s_delay_alu instid0(VALU_DEP_1) | instskip(NEXT) | instid1(VALU_DEP_1)
	v_readfirstlane_b32 s1, v0
	s_cmp_eq_u32 s1, 0
	s_cbranch_scc1 .LBB34_241
; %bb.240:                              ;   in Loop: Header=BB34_242 Depth=1
	s_sleep 1
	s_cbranch_execnz .LBB34_242
	s_branch .LBB34_244
	.p2align	6
.LBB34_241:
	s_branch .LBB34_244
.LBB34_242:                             ; =>This Inner Loop Header: Depth=1
	v_mov_b32_e32 v0, 1
	s_and_saveexec_b32 s1, s0
	s_cbranch_execz .LBB34_239
; %bb.243:                              ;   in Loop: Header=BB34_242 Depth=1
	global_load_b32 v0, v[10:11], off offset:20 glc
	s_waitcnt vmcnt(0)
	buffer_gl1_inv
	buffer_gl0_inv
	v_and_b32_e32 v0, 1, v0
	s_branch .LBB34_239
.LBB34_244:
	global_load_b64 v[6:7], v[8:9], off
	s_and_saveexec_b32 s1, s0
	s_cbranch_execz .LBB34_248
; %bb.245:
	v_mov_b32_e32 v10, 0
	s_clause 0x2
	global_load_b64 v[2:3], v10, s[2:3] offset:40
	global_load_b64 v[11:12], v10, s[2:3] offset:24 glc
	global_load_b64 v[8:9], v10, s[2:3]
	s_waitcnt vmcnt(2)
	v_add_co_u32 v13, vcc_lo, v2, 1
	v_add_co_ci_u32_e32 v14, vcc_lo, 0, v3, vcc_lo
	s_delay_alu instid0(VALU_DEP_2) | instskip(NEXT) | instid1(VALU_DEP_2)
	v_add_co_u32 v0, vcc_lo, v13, s4
	v_add_co_ci_u32_e32 v1, vcc_lo, s5, v14, vcc_lo
	s_delay_alu instid0(VALU_DEP_1) | instskip(SKIP_1) | instid1(VALU_DEP_1)
	v_cmp_eq_u64_e32 vcc_lo, 0, v[0:1]
	v_dual_cndmask_b32 v1, v1, v14 :: v_dual_cndmask_b32 v0, v0, v13
	v_and_b32_e32 v3, v1, v3
	s_delay_alu instid0(VALU_DEP_2) | instskip(NEXT) | instid1(VALU_DEP_2)
	v_and_b32_e32 v2, v0, v2
	v_mul_lo_u32 v3, v3, 24
	s_delay_alu instid0(VALU_DEP_2) | instskip(SKIP_1) | instid1(VALU_DEP_2)
	v_mul_hi_u32 v13, v2, 24
	v_mul_lo_u32 v2, v2, 24
	v_add_nc_u32_e32 v3, v13, v3
	s_waitcnt vmcnt(0)
	s_delay_alu instid0(VALU_DEP_2) | instskip(SKIP_1) | instid1(VALU_DEP_3)
	v_add_co_u32 v8, vcc_lo, v8, v2
	v_mov_b32_e32 v2, v11
	v_add_co_ci_u32_e32 v9, vcc_lo, v9, v3, vcc_lo
	v_mov_b32_e32 v3, v12
	global_store_b64 v[8:9], v[11:12], off
	s_waitcnt_vscnt null, 0x0
	global_atomic_cmpswap_b64 v[2:3], v10, v[0:3], s[2:3] offset:24 glc
	s_waitcnt vmcnt(0)
	v_cmp_ne_u64_e32 vcc_lo, v[2:3], v[11:12]
	s_and_b32 exec_lo, exec_lo, vcc_lo
	s_cbranch_execz .LBB34_248
; %bb.246:
	s_mov_b32 s0, 0
.LBB34_247:                             ; =>This Inner Loop Header: Depth=1
	s_sleep 1
	global_store_b64 v[8:9], v[2:3], off
	s_waitcnt_vscnt null, 0x0
	global_atomic_cmpswap_b64 v[11:12], v10, v[0:3], s[2:3] offset:24 glc
	s_waitcnt vmcnt(0)
	v_cmp_eq_u64_e32 vcc_lo, v[11:12], v[2:3]
	v_dual_mov_b32 v2, v11 :: v_dual_mov_b32 v3, v12
	s_or_b32 s0, vcc_lo, s0
	s_delay_alu instid0(SALU_CYCLE_1)
	s_and_not1_b32 exec_lo, exec_lo, s0
	s_cbranch_execnz .LBB34_247
.LBB34_248:
	s_or_b32 exec_lo, exec_lo, s1
.LBB34_249:
	v_readfirstlane_b32 s0, v35
	v_mov_b32_e32 v10, 0
	v_mov_b32_e32 v11, 0
	s_delay_alu instid0(VALU_DEP_3) | instskip(NEXT) | instid1(VALU_DEP_1)
	v_cmp_eq_u32_e64 s0, s0, v35
	s_and_saveexec_b32 s1, s0
	s_cbranch_execz .LBB34_255
; %bb.250:
	s_waitcnt vmcnt(0)
	v_mov_b32_e32 v0, 0
	s_mov_b32 s4, exec_lo
	global_load_b64 v[12:13], v0, s[2:3] offset:24 glc
	s_waitcnt vmcnt(0)
	buffer_gl1_inv
	buffer_gl0_inv
	s_clause 0x1
	global_load_b64 v[1:2], v0, s[2:3] offset:40
	global_load_b64 v[8:9], v0, s[2:3]
	s_waitcnt vmcnt(1)
	v_and_b32_e32 v1, v1, v12
	v_and_b32_e32 v2, v2, v13
	s_delay_alu instid0(VALU_DEP_2) | instskip(NEXT) | instid1(VALU_DEP_2)
	v_mul_hi_u32 v3, v1, 24
	v_mul_lo_u32 v2, v2, 24
	v_mul_lo_u32 v1, v1, 24
	s_delay_alu instid0(VALU_DEP_2) | instskip(SKIP_1) | instid1(VALU_DEP_2)
	v_add_nc_u32_e32 v2, v3, v2
	s_waitcnt vmcnt(0)
	v_add_co_u32 v1, vcc_lo, v8, v1
	s_delay_alu instid0(VALU_DEP_2)
	v_add_co_ci_u32_e32 v2, vcc_lo, v9, v2, vcc_lo
	global_load_b64 v[10:11], v[1:2], off glc
	s_waitcnt vmcnt(0)
	global_atomic_cmpswap_b64 v[10:11], v0, v[10:13], s[2:3] offset:24 glc
	s_waitcnt vmcnt(0)
	buffer_gl1_inv
	buffer_gl0_inv
	v_cmpx_ne_u64_e64 v[10:11], v[12:13]
	s_cbranch_execz .LBB34_254
; %bb.251:
	s_mov_b32 s5, 0
	.p2align	6
.LBB34_252:                             ; =>This Inner Loop Header: Depth=1
	s_sleep 1
	s_clause 0x1
	global_load_b64 v[1:2], v0, s[2:3] offset:40
	global_load_b64 v[8:9], v0, s[2:3]
	v_dual_mov_b32 v13, v11 :: v_dual_mov_b32 v12, v10
	s_waitcnt vmcnt(1)
	s_delay_alu instid0(VALU_DEP_1) | instskip(SKIP_1) | instid1(VALU_DEP_1)
	v_and_b32_e32 v1, v1, v12
	s_waitcnt vmcnt(0)
	v_mad_u64_u32 v[10:11], null, v1, 24, v[8:9]
	s_delay_alu instid0(VALU_DEP_1) | instskip(NEXT) | instid1(VALU_DEP_1)
	v_dual_mov_b32 v1, v11 :: v_dual_and_b32 v8, v2, v13
	v_mad_u64_u32 v[2:3], null, v8, 24, v[1:2]
	s_delay_alu instid0(VALU_DEP_1)
	v_mov_b32_e32 v11, v2
	global_load_b64 v[10:11], v[10:11], off glc
	s_waitcnt vmcnt(0)
	global_atomic_cmpswap_b64 v[10:11], v0, v[10:13], s[2:3] offset:24 glc
	s_waitcnt vmcnt(0)
	buffer_gl1_inv
	buffer_gl0_inv
	v_cmp_eq_u64_e32 vcc_lo, v[10:11], v[12:13]
	s_or_b32 s5, vcc_lo, s5
	s_delay_alu instid0(SALU_CYCLE_1)
	s_and_not1_b32 exec_lo, exec_lo, s5
	s_cbranch_execnz .LBB34_252
; %bb.253:
	s_or_b32 exec_lo, exec_lo, s5
.LBB34_254:
	s_delay_alu instid0(SALU_CYCLE_1)
	s_or_b32 exec_lo, exec_lo, s4
.LBB34_255:
	s_delay_alu instid0(SALU_CYCLE_1)
	s_or_b32 exec_lo, exec_lo, s1
	s_waitcnt vmcnt(0)
	v_mov_b32_e32 v9, 0
	v_readfirstlane_b32 s4, v10
	v_readfirstlane_b32 s5, v11
	s_mov_b32 s1, exec_lo
	s_clause 0x1
	global_load_b64 v[12:13], v9, s[2:3] offset:40
	global_load_b128 v[0:3], v9, s[2:3]
	s_waitcnt vmcnt(1)
	v_readfirstlane_b32 s6, v12
	v_readfirstlane_b32 s7, v13
	s_delay_alu instid0(VALU_DEP_1) | instskip(NEXT) | instid1(SALU_CYCLE_1)
	s_and_b64 s[6:7], s[4:5], s[6:7]
	s_mul_i32 s10, s7, 24
	s_mul_hi_u32 s11, s6, 24
	s_mul_i32 s12, s6, 24
	s_add_i32 s11, s11, s10
	s_waitcnt vmcnt(0)
	v_add_co_u32 v10, vcc_lo, v0, s12
	v_add_co_ci_u32_e32 v11, vcc_lo, s11, v1, vcc_lo
	s_and_saveexec_b32 s10, s0
	s_cbranch_execz .LBB34_257
; %bb.256:
	v_dual_mov_b32 v8, s1 :: v_dual_mov_b32 v15, 1
	v_dual_mov_b32 v14, 2 :: v_dual_mov_b32 v13, v9
	s_delay_alu instid0(VALU_DEP_2)
	v_mov_b32_e32 v12, v8
	global_store_b128 v[10:11], v[12:15], off offset:8
.LBB34_257:
	s_or_b32 exec_lo, exec_lo, s10
	s_lshl_b64 s[6:7], s[6:7], 12
	s_mov_b32 s12, 0
	v_add_co_u32 v2, vcc_lo, v2, s6
	v_add_co_ci_u32_e32 v3, vcc_lo, s7, v3, vcc_lo
	s_mov_b32 s15, s12
	s_delay_alu instid0(VALU_DEP_2)
	v_add_co_u32 v12, vcc_lo, v2, v34
	s_mov_b32 s13, s12
	s_mov_b32 s14, s12
	v_and_or_b32 v6, 0xffffff1f, v6, 32
	v_dual_mov_b32 v8, 0x13e :: v_dual_mov_b32 v17, s15
	v_readfirstlane_b32 s6, v2
	v_readfirstlane_b32 s7, v3
	v_add_co_ci_u32_e32 v13, vcc_lo, 0, v3, vcc_lo
	v_dual_mov_b32 v16, s14 :: v_dual_mov_b32 v15, s13
	v_mov_b32_e32 v14, s12
	s_clause 0x3
	global_store_b128 v34, v[6:9], s[6:7]
	global_store_b128 v34, v[14:17], s[6:7] offset:16
	global_store_b128 v34, v[14:17], s[6:7] offset:32
	global_store_b128 v34, v[14:17], s[6:7] offset:48
	s_and_saveexec_b32 s1, s0
	s_cbranch_execz .LBB34_265
; %bb.258:
	v_dual_mov_b32 v8, 0 :: v_dual_mov_b32 v15, s5
	v_mov_b32_e32 v14, s4
	s_clause 0x1
	global_load_b64 v[16:17], v8, s[2:3] offset:32 glc
	global_load_b64 v[2:3], v8, s[2:3] offset:40
	s_waitcnt vmcnt(0)
	v_readfirstlane_b32 s6, v2
	v_readfirstlane_b32 s7, v3
	s_delay_alu instid0(VALU_DEP_1) | instskip(NEXT) | instid1(SALU_CYCLE_1)
	s_and_b64 s[6:7], s[6:7], s[4:5]
	s_mul_i32 s7, s7, 24
	s_mul_hi_u32 s10, s6, 24
	s_mul_i32 s6, s6, 24
	s_add_i32 s10, s10, s7
	v_add_co_u32 v6, vcc_lo, v0, s6
	v_add_co_ci_u32_e32 v7, vcc_lo, s10, v1, vcc_lo
	s_mov_b32 s6, exec_lo
	global_store_b64 v[6:7], v[16:17], off
	s_waitcnt_vscnt null, 0x0
	global_atomic_cmpswap_b64 v[2:3], v8, v[14:17], s[2:3] offset:32 glc
	s_waitcnt vmcnt(0)
	v_cmpx_ne_u64_e64 v[2:3], v[16:17]
	s_cbranch_execz .LBB34_261
; %bb.259:
	s_mov_b32 s7, 0
.LBB34_260:                             ; =>This Inner Loop Header: Depth=1
	v_dual_mov_b32 v0, s4 :: v_dual_mov_b32 v1, s5
	s_sleep 1
	global_store_b64 v[6:7], v[2:3], off
	s_waitcnt_vscnt null, 0x0
	global_atomic_cmpswap_b64 v[0:1], v8, v[0:3], s[2:3] offset:32 glc
	s_waitcnt vmcnt(0)
	v_cmp_eq_u64_e32 vcc_lo, v[0:1], v[2:3]
	v_dual_mov_b32 v3, v1 :: v_dual_mov_b32 v2, v0
	s_or_b32 s7, vcc_lo, s7
	s_delay_alu instid0(SALU_CYCLE_1)
	s_and_not1_b32 exec_lo, exec_lo, s7
	s_cbranch_execnz .LBB34_260
.LBB34_261:
	s_or_b32 exec_lo, exec_lo, s6
	v_mov_b32_e32 v3, 0
	s_mov_b32 s7, exec_lo
	s_mov_b32 s6, exec_lo
	v_mbcnt_lo_u32_b32 v2, s7, 0
	global_load_b64 v[0:1], v3, s[2:3] offset:16
	v_cmpx_eq_u32_e32 0, v2
	s_cbranch_execz .LBB34_263
; %bb.262:
	s_bcnt1_i32_b32 s7, s7
	s_delay_alu instid0(SALU_CYCLE_1)
	v_mov_b32_e32 v2, s7
	s_waitcnt vmcnt(0)
	global_atomic_add_u64 v[0:1], v[2:3], off offset:8
.LBB34_263:
	s_or_b32 exec_lo, exec_lo, s6
	s_waitcnt vmcnt(0)
	global_load_b64 v[2:3], v[0:1], off offset:16
	s_waitcnt vmcnt(0)
	v_cmp_eq_u64_e32 vcc_lo, 0, v[2:3]
	s_cbranch_vccnz .LBB34_265
; %bb.264:
	global_load_b32 v0, v[0:1], off offset:24
	s_waitcnt vmcnt(0)
	v_dual_mov_b32 v1, 0 :: v_dual_and_b32 v6, 0xffffff, v0
	s_waitcnt_vscnt null, 0x0
	global_store_b64 v[2:3], v[0:1], off
	v_readfirstlane_b32 m0, v6
	s_sendmsg sendmsg(MSG_INTERRUPT)
.LBB34_265:
	s_or_b32 exec_lo, exec_lo, s1
	s_branch .LBB34_269
	.p2align	6
.LBB34_266:                             ;   in Loop: Header=BB34_269 Depth=1
	s_or_b32 exec_lo, exec_lo, s1
	s_delay_alu instid0(VALU_DEP_1) | instskip(NEXT) | instid1(VALU_DEP_1)
	v_readfirstlane_b32 s1, v0
	s_cmp_eq_u32 s1, 0
	s_cbranch_scc1 .LBB34_268
; %bb.267:                              ;   in Loop: Header=BB34_269 Depth=1
	s_sleep 1
	s_cbranch_execnz .LBB34_269
	s_branch .LBB34_271
	.p2align	6
.LBB34_268:
	s_branch .LBB34_271
.LBB34_269:                             ; =>This Inner Loop Header: Depth=1
	v_mov_b32_e32 v0, 1
	s_and_saveexec_b32 s1, s0
	s_cbranch_execz .LBB34_266
; %bb.270:                              ;   in Loop: Header=BB34_269 Depth=1
	global_load_b32 v0, v[10:11], off offset:20 glc
	s_waitcnt vmcnt(0)
	buffer_gl1_inv
	buffer_gl0_inv
	v_and_b32_e32 v0, 1, v0
	s_branch .LBB34_266
.LBB34_271:
	global_load_b64 v[0:1], v[12:13], off
	s_and_saveexec_b32 s1, s0
	s_cbranch_execz .LBB34_275
; %bb.272:
	v_mov_b32_e32 v10, 0
	s_clause 0x2
	global_load_b64 v[2:3], v10, s[2:3] offset:40
	global_load_b64 v[11:12], v10, s[2:3] offset:24 glc
	global_load_b64 v[8:9], v10, s[2:3]
	s_waitcnt vmcnt(2)
	v_add_co_u32 v13, vcc_lo, v2, 1
	v_add_co_ci_u32_e32 v14, vcc_lo, 0, v3, vcc_lo
	s_delay_alu instid0(VALU_DEP_2) | instskip(NEXT) | instid1(VALU_DEP_2)
	v_add_co_u32 v6, vcc_lo, v13, s4
	v_add_co_ci_u32_e32 v7, vcc_lo, s5, v14, vcc_lo
	s_delay_alu instid0(VALU_DEP_1) | instskip(SKIP_1) | instid1(VALU_DEP_1)
	v_cmp_eq_u64_e32 vcc_lo, 0, v[6:7]
	v_dual_cndmask_b32 v7, v7, v14 :: v_dual_cndmask_b32 v6, v6, v13
	v_and_b32_e32 v3, v7, v3
	s_delay_alu instid0(VALU_DEP_2) | instskip(NEXT) | instid1(VALU_DEP_2)
	v_and_b32_e32 v2, v6, v2
	v_mul_lo_u32 v3, v3, 24
	s_delay_alu instid0(VALU_DEP_2) | instskip(SKIP_1) | instid1(VALU_DEP_2)
	v_mul_hi_u32 v13, v2, 24
	v_mul_lo_u32 v2, v2, 24
	v_add_nc_u32_e32 v3, v13, v3
	s_waitcnt vmcnt(0)
	s_delay_alu instid0(VALU_DEP_2) | instskip(SKIP_1) | instid1(VALU_DEP_3)
	v_add_co_u32 v2, vcc_lo, v8, v2
	v_mov_b32_e32 v8, v11
	v_add_co_ci_u32_e32 v3, vcc_lo, v9, v3, vcc_lo
	v_mov_b32_e32 v9, v12
	global_store_b64 v[2:3], v[11:12], off
	s_waitcnt_vscnt null, 0x0
	global_atomic_cmpswap_b64 v[8:9], v10, v[6:9], s[2:3] offset:24 glc
	s_waitcnt vmcnt(0)
	v_cmp_ne_u64_e32 vcc_lo, v[8:9], v[11:12]
	s_and_b32 exec_lo, exec_lo, vcc_lo
	s_cbranch_execz .LBB34_275
; %bb.273:
	s_mov_b32 s0, 0
.LBB34_274:                             ; =>This Inner Loop Header: Depth=1
	s_sleep 1
	global_store_b64 v[2:3], v[8:9], off
	s_waitcnt_vscnt null, 0x0
	global_atomic_cmpswap_b64 v[11:12], v10, v[6:9], s[2:3] offset:24 glc
	s_waitcnt vmcnt(0)
	v_cmp_eq_u64_e32 vcc_lo, v[11:12], v[8:9]
	v_dual_mov_b32 v8, v11 :: v_dual_mov_b32 v9, v12
	s_or_b32 s0, vcc_lo, s0
	s_delay_alu instid0(SALU_CYCLE_1)
	s_and_not1_b32 exec_lo, exec_lo, s0
	s_cbranch_execnz .LBB34_274
.LBB34_275:
	s_or_b32 exec_lo, exec_lo, s1
	v_dual_mov_b32 v7, v5 :: v_dual_mov_b32 v6, v4
	s_mov_b32 s0, 0
.LBB34_276:                             ; =>This Inner Loop Header: Depth=1
	flat_load_u8 v8, v[6:7]
	v_add_co_u32 v2, vcc_lo, v6, 1
	v_add_co_ci_u32_e32 v3, vcc_lo, 0, v7, vcc_lo
	s_delay_alu instid0(VALU_DEP_1) | instskip(SKIP_3) | instid1(SALU_CYCLE_1)
	v_dual_mov_b32 v7, v3 :: v_dual_mov_b32 v6, v2
	s_waitcnt vmcnt(0) lgkmcnt(0)
	v_cmp_eq_u16_e32 vcc_lo, 0, v8
	s_or_b32 s0, vcc_lo, s0
	s_and_not1_b32 exec_lo, exec_lo, s0
	s_cbranch_execnz .LBB34_276
; %bb.277:
	s_or_b32 exec_lo, exec_lo, s0
	s_delay_alu instid0(SALU_CYCLE_1)
	s_mov_b32 s0, exec_lo
	v_cmpx_ne_u64_e32 0, v[4:5]
	s_xor_b32 s10, exec_lo, s0
	s_cbranch_execz .LBB34_363
; %bb.278:
	v_sub_nc_u32_e32 v26, v2, v4
	v_dual_mov_b32 v7, 0 :: v_dual_and_b32 v32, 2, v0
	v_dual_mov_b32 v9, 1 :: v_dual_and_b32 v0, -3, v0
	v_mov_b32_e32 v8, 2
	s_delay_alu instid0(VALU_DEP_4)
	v_ashrrev_i32_e32 v27, 31, v26
	s_mov_b32 s12, 0
	s_mov_b32 s11, 0
	s_branch .LBB34_280
.LBB34_279:                             ;   in Loop: Header=BB34_280 Depth=1
	s_or_b32 exec_lo, exec_lo, s1
	v_sub_co_u32 v26, vcc_lo, v26, v28
	v_sub_co_ci_u32_e32 v27, vcc_lo, v27, v29, vcc_lo
	v_add_co_u32 v4, s0, v4, v28
	s_delay_alu instid0(VALU_DEP_1) | instskip(NEXT) | instid1(VALU_DEP_3)
	v_add_co_ci_u32_e64 v5, s0, v5, v29, s0
	v_cmp_eq_u64_e32 vcc_lo, 0, v[26:27]
	s_or_b32 s11, vcc_lo, s11
	s_delay_alu instid0(SALU_CYCLE_1)
	s_and_not1_b32 exec_lo, exec_lo, s11
	s_cbranch_execz .LBB34_362
.LBB34_280:                             ; =>This Loop Header: Depth=1
                                        ;     Child Loop BB34_283 Depth 2
                                        ;     Child Loop BB34_291 Depth 2
	;; [unrolled: 1-line block ×11, first 2 shown]
	s_delay_alu instid0(VALU_DEP_1)
	v_cmp_gt_u64_e32 vcc_lo, 56, v[26:27]
	s_mov_b32 s1, exec_lo
                                        ; implicit-def: $vgpr2_vgpr3
                                        ; implicit-def: $sgpr4
	v_dual_cndmask_b32 v29, 0, v27 :: v_dual_cndmask_b32 v28, 56, v26
	v_cmpx_gt_u64_e32 8, v[26:27]
	s_xor_b32 s1, exec_lo, s1
	s_cbranch_execz .LBB34_286
; %bb.281:                              ;   in Loop: Header=BB34_280 Depth=1
	s_waitcnt vmcnt(0)
	v_mov_b32_e32 v2, 0
	v_mov_b32_e32 v3, 0
	s_mov_b64 s[4:5], 0
	s_mov_b32 s6, exec_lo
	v_cmpx_ne_u64_e32 0, v[26:27]
	s_cbranch_execz .LBB34_285
; %bb.282:                              ;   in Loop: Header=BB34_280 Depth=1
	v_lshlrev_b64 v[10:11], 3, v[28:29]
	v_mov_b32_e32 v2, 0
	v_dual_mov_b32 v3, 0 :: v_dual_mov_b32 v12, v5
	v_mov_b32_e32 v11, v4
	s_mov_b32 s7, 0
	.p2align	6
.LBB34_283:                             ;   Parent Loop BB34_280 Depth=1
                                        ; =>  This Inner Loop Header: Depth=2
	flat_load_u8 v6, v[11:12]
	v_mov_b32_e32 v14, s12
	v_add_co_u32 v11, vcc_lo, v11, 1
	v_add_co_ci_u32_e32 v12, vcc_lo, 0, v12, vcc_lo
	s_waitcnt vmcnt(0) lgkmcnt(0)
	v_and_b32_e32 v13, 0xffff, v6
	s_delay_alu instid0(VALU_DEP_1) | instskip(SKIP_3) | instid1(VALU_DEP_2)
	v_lshlrev_b64 v[13:14], s4, v[13:14]
	s_add_u32 s4, s4, 8
	s_addc_u32 s5, s5, 0
	v_cmp_eq_u32_e64 s0, s4, v10
	v_or_b32_e32 v3, v14, v3
	s_delay_alu instid0(VALU_DEP_3) | instskip(NEXT) | instid1(VALU_DEP_3)
	v_or_b32_e32 v2, v13, v2
	s_or_b32 s7, s0, s7
	s_delay_alu instid0(SALU_CYCLE_1)
	s_and_not1_b32 exec_lo, exec_lo, s7
	s_cbranch_execnz .LBB34_283
; %bb.284:                              ;   in Loop: Header=BB34_280 Depth=1
	s_or_b32 exec_lo, exec_lo, s7
.LBB34_285:                             ;   in Loop: Header=BB34_280 Depth=1
	s_delay_alu instid0(SALU_CYCLE_1)
	s_or_b32 exec_lo, exec_lo, s6
	s_mov_b32 s4, 0
.LBB34_286:                             ;   in Loop: Header=BB34_280 Depth=1
	s_or_saveexec_b32 s0, s1
	v_dual_mov_b32 v6, s4 :: v_dual_mov_b32 v23, v5
	v_mov_b32_e32 v22, v4
	s_xor_b32 exec_lo, exec_lo, s0
	s_cbranch_execz .LBB34_288
; %bb.287:                              ;   in Loop: Header=BB34_280 Depth=1
	s_waitcnt vmcnt(0)
	flat_load_b64 v[2:3], v[4:5]
	v_add_co_u32 v22, vcc_lo, v4, 8
	v_add_co_ci_u32_e32 v23, vcc_lo, 0, v5, vcc_lo
	s_waitcnt vmcnt(0) lgkmcnt(0)
	v_and_b32_e32 v6, 0xff, v3
	v_and_b32_e32 v10, 0xff00, v3
	;; [unrolled: 1-line block ×4, first 2 shown]
	v_or3_b32 v2, v2, 0, 0
	s_delay_alu instid0(VALU_DEP_4) | instskip(SKIP_1) | instid1(VALU_DEP_2)
	v_or_b32_e32 v10, v6, v10
	v_add_nc_u32_e32 v6, -8, v28
	v_or3_b32 v3, v10, v11, v3
.LBB34_288:                             ;   in Loop: Header=BB34_280 Depth=1
	s_or_b32 exec_lo, exec_lo, s0
                                        ; implicit-def: $vgpr10_vgpr11
                                        ; implicit-def: $sgpr1
	s_delay_alu instid0(SALU_CYCLE_1) | instskip(NEXT) | instid1(VALU_DEP_2)
	s_mov_b32 s0, exec_lo
	v_cmpx_gt_u32_e32 8, v6
	s_xor_b32 s6, exec_lo, s0
	s_cbranch_execz .LBB34_294
; %bb.289:                              ;   in Loop: Header=BB34_280 Depth=1
	v_mov_b32_e32 v10, 0
	v_mov_b32_e32 v11, 0
	s_mov_b32 s7, exec_lo
	v_cmpx_ne_u32_e32 0, v6
	s_cbranch_execz .LBB34_293
; %bb.290:                              ;   in Loop: Header=BB34_280 Depth=1
	v_mov_b32_e32 v10, 0
	v_mov_b32_e32 v11, 0
	s_mov_b64 s[0:1], 0
	s_mov_b32 s13, 0
	s_mov_b64 s[4:5], 0
	.p2align	6
.LBB34_291:                             ;   Parent Loop BB34_280 Depth=1
                                        ; =>  This Inner Loop Header: Depth=2
	s_delay_alu instid0(SALU_CYCLE_1)
	v_add_co_u32 v12, vcc_lo, v22, s4
	v_add_co_ci_u32_e32 v13, vcc_lo, s5, v23, vcc_lo
	s_add_u32 s4, s4, 1
	s_addc_u32 s5, s5, 0
	v_cmp_eq_u32_e32 vcc_lo, s4, v6
	flat_load_u8 v12, v[12:13]
	s_waitcnt vmcnt(0) lgkmcnt(0)
	v_dual_mov_b32 v13, s12 :: v_dual_and_b32 v12, 0xffff, v12
	s_delay_alu instid0(VALU_DEP_1) | instskip(SKIP_3) | instid1(VALU_DEP_1)
	v_lshlrev_b64 v[12:13], s0, v[12:13]
	s_add_u32 s0, s0, 8
	s_addc_u32 s1, s1, 0
	s_or_b32 s13, vcc_lo, s13
	v_or_b32_e32 v11, v13, v11
	s_delay_alu instid0(VALU_DEP_2)
	v_or_b32_e32 v10, v12, v10
	s_and_not1_b32 exec_lo, exec_lo, s13
	s_cbranch_execnz .LBB34_291
; %bb.292:                              ;   in Loop: Header=BB34_280 Depth=1
	s_or_b32 exec_lo, exec_lo, s13
.LBB34_293:                             ;   in Loop: Header=BB34_280 Depth=1
	s_delay_alu instid0(SALU_CYCLE_1)
	s_or_b32 exec_lo, exec_lo, s7
	s_mov_b32 s1, 0
                                        ; implicit-def: $vgpr6
.LBB34_294:                             ;   in Loop: Header=BB34_280 Depth=1
	s_or_saveexec_b32 s0, s6
	v_mov_b32_e32 v14, s1
	s_xor_b32 exec_lo, exec_lo, s0
	s_cbranch_execz .LBB34_296
; %bb.295:                              ;   in Loop: Header=BB34_280 Depth=1
	flat_load_b64 v[10:11], v[22:23]
	v_add_co_u32 v22, vcc_lo, v22, 8
	v_add_nc_u32_e32 v14, -8, v6
	v_add_co_ci_u32_e32 v23, vcc_lo, 0, v23, vcc_lo
	s_waitcnt vmcnt(0) lgkmcnt(0)
	v_and_b32_e32 v12, 0xff, v11
	v_and_b32_e32 v13, 0xff00, v11
	;; [unrolled: 1-line block ×4, first 2 shown]
	v_or3_b32 v10, v10, 0, 0
	s_delay_alu instid0(VALU_DEP_4) | instskip(NEXT) | instid1(VALU_DEP_1)
	v_or_b32_e32 v12, v12, v13
	v_or3_b32 v11, v12, v15, v11
.LBB34_296:                             ;   in Loop: Header=BB34_280 Depth=1
	s_or_b32 exec_lo, exec_lo, s0
                                        ; implicit-def: $sgpr1
	s_delay_alu instid0(SALU_CYCLE_1)
	s_mov_b32 s0, exec_lo
	v_cmpx_gt_u32_e32 8, v14
	s_xor_b32 s6, exec_lo, s0
	s_cbranch_execz .LBB34_302
; %bb.297:                              ;   in Loop: Header=BB34_280 Depth=1
	v_mov_b32_e32 v12, 0
	v_mov_b32_e32 v13, 0
	s_mov_b32 s7, exec_lo
	v_cmpx_ne_u32_e32 0, v14
	s_cbranch_execz .LBB34_301
; %bb.298:                              ;   in Loop: Header=BB34_280 Depth=1
	v_mov_b32_e32 v12, 0
	v_mov_b32_e32 v13, 0
	s_mov_b64 s[0:1], 0
	s_mov_b32 s13, 0
	s_mov_b64 s[4:5], 0
	.p2align	6
.LBB34_299:                             ;   Parent Loop BB34_280 Depth=1
                                        ; =>  This Inner Loop Header: Depth=2
	s_delay_alu instid0(SALU_CYCLE_1)
	v_add_co_u32 v15, vcc_lo, v22, s4
	v_add_co_ci_u32_e32 v16, vcc_lo, s5, v23, vcc_lo
	s_add_u32 s4, s4, 1
	s_addc_u32 s5, s5, 0
	v_cmp_eq_u32_e32 vcc_lo, s4, v14
	flat_load_u8 v6, v[15:16]
	s_waitcnt vmcnt(0) lgkmcnt(0)
	v_dual_mov_b32 v16, s12 :: v_dual_and_b32 v15, 0xffff, v6
	s_delay_alu instid0(VALU_DEP_1) | instskip(SKIP_3) | instid1(VALU_DEP_1)
	v_lshlrev_b64 v[15:16], s0, v[15:16]
	s_add_u32 s0, s0, 8
	s_addc_u32 s1, s1, 0
	s_or_b32 s13, vcc_lo, s13
	v_or_b32_e32 v13, v16, v13
	s_delay_alu instid0(VALU_DEP_2)
	v_or_b32_e32 v12, v15, v12
	s_and_not1_b32 exec_lo, exec_lo, s13
	s_cbranch_execnz .LBB34_299
; %bb.300:                              ;   in Loop: Header=BB34_280 Depth=1
	s_or_b32 exec_lo, exec_lo, s13
.LBB34_301:                             ;   in Loop: Header=BB34_280 Depth=1
	s_delay_alu instid0(SALU_CYCLE_1)
	s_or_b32 exec_lo, exec_lo, s7
	s_mov_b32 s1, 0
                                        ; implicit-def: $vgpr14
.LBB34_302:                             ;   in Loop: Header=BB34_280 Depth=1
	s_or_saveexec_b32 s0, s6
	v_mov_b32_e32 v6, s1
	s_xor_b32 exec_lo, exec_lo, s0
	s_cbranch_execz .LBB34_304
; %bb.303:                              ;   in Loop: Header=BB34_280 Depth=1
	flat_load_b64 v[12:13], v[22:23]
	v_add_co_u32 v22, vcc_lo, v22, 8
	v_add_co_ci_u32_e32 v23, vcc_lo, 0, v23, vcc_lo
	s_waitcnt vmcnt(0) lgkmcnt(0)
	v_and_b32_e32 v6, 0xff, v13
	v_and_b32_e32 v15, 0xff00, v13
	;; [unrolled: 1-line block ×4, first 2 shown]
	v_or3_b32 v12, v12, 0, 0
	s_delay_alu instid0(VALU_DEP_4) | instskip(SKIP_1) | instid1(VALU_DEP_2)
	v_or_b32_e32 v15, v6, v15
	v_add_nc_u32_e32 v6, -8, v14
	v_or3_b32 v13, v15, v16, v13
.LBB34_304:                             ;   in Loop: Header=BB34_280 Depth=1
	s_or_b32 exec_lo, exec_lo, s0
                                        ; implicit-def: $vgpr14_vgpr15
                                        ; implicit-def: $sgpr1
	s_delay_alu instid0(SALU_CYCLE_1) | instskip(NEXT) | instid1(VALU_DEP_1)
	s_mov_b32 s0, exec_lo
	v_cmpx_gt_u32_e32 8, v6
	s_xor_b32 s6, exec_lo, s0
	s_cbranch_execz .LBB34_310
; %bb.305:                              ;   in Loop: Header=BB34_280 Depth=1
	v_mov_b32_e32 v14, 0
	v_mov_b32_e32 v15, 0
	s_mov_b32 s7, exec_lo
	v_cmpx_ne_u32_e32 0, v6
	s_cbranch_execz .LBB34_309
; %bb.306:                              ;   in Loop: Header=BB34_280 Depth=1
	v_mov_b32_e32 v14, 0
	v_mov_b32_e32 v15, 0
	s_mov_b64 s[0:1], 0
	s_mov_b32 s13, 0
	s_mov_b64 s[4:5], 0
	.p2align	6
.LBB34_307:                             ;   Parent Loop BB34_280 Depth=1
                                        ; =>  This Inner Loop Header: Depth=2
	s_delay_alu instid0(SALU_CYCLE_1)
	v_add_co_u32 v16, vcc_lo, v22, s4
	v_add_co_ci_u32_e32 v17, vcc_lo, s5, v23, vcc_lo
	s_add_u32 s4, s4, 1
	s_addc_u32 s5, s5, 0
	v_cmp_eq_u32_e32 vcc_lo, s4, v6
	flat_load_u8 v16, v[16:17]
	s_waitcnt vmcnt(0) lgkmcnt(0)
	v_dual_mov_b32 v17, s12 :: v_dual_and_b32 v16, 0xffff, v16
	s_delay_alu instid0(VALU_DEP_1) | instskip(SKIP_3) | instid1(VALU_DEP_1)
	v_lshlrev_b64 v[16:17], s0, v[16:17]
	s_add_u32 s0, s0, 8
	s_addc_u32 s1, s1, 0
	s_or_b32 s13, vcc_lo, s13
	v_or_b32_e32 v15, v17, v15
	s_delay_alu instid0(VALU_DEP_2)
	v_or_b32_e32 v14, v16, v14
	s_and_not1_b32 exec_lo, exec_lo, s13
	s_cbranch_execnz .LBB34_307
; %bb.308:                              ;   in Loop: Header=BB34_280 Depth=1
	s_or_b32 exec_lo, exec_lo, s13
.LBB34_309:                             ;   in Loop: Header=BB34_280 Depth=1
	s_delay_alu instid0(SALU_CYCLE_1)
	s_or_b32 exec_lo, exec_lo, s7
	s_mov_b32 s1, 0
                                        ; implicit-def: $vgpr6
.LBB34_310:                             ;   in Loop: Header=BB34_280 Depth=1
	s_or_saveexec_b32 s0, s6
	v_mov_b32_e32 v18, s1
	s_xor_b32 exec_lo, exec_lo, s0
	s_cbranch_execz .LBB34_312
; %bb.311:                              ;   in Loop: Header=BB34_280 Depth=1
	flat_load_b64 v[14:15], v[22:23]
	v_add_co_u32 v22, vcc_lo, v22, 8
	v_add_nc_u32_e32 v18, -8, v6
	v_add_co_ci_u32_e32 v23, vcc_lo, 0, v23, vcc_lo
	s_waitcnt vmcnt(0) lgkmcnt(0)
	v_and_b32_e32 v16, 0xff, v15
	v_and_b32_e32 v17, 0xff00, v15
	;; [unrolled: 1-line block ×4, first 2 shown]
	v_or3_b32 v14, v14, 0, 0
	s_delay_alu instid0(VALU_DEP_4) | instskip(NEXT) | instid1(VALU_DEP_1)
	v_or_b32_e32 v16, v16, v17
	v_or3_b32 v15, v16, v19, v15
.LBB34_312:                             ;   in Loop: Header=BB34_280 Depth=1
	s_or_b32 exec_lo, exec_lo, s0
                                        ; implicit-def: $sgpr1
	s_delay_alu instid0(SALU_CYCLE_1)
	s_mov_b32 s0, exec_lo
	v_cmpx_gt_u32_e32 8, v18
	s_xor_b32 s6, exec_lo, s0
	s_cbranch_execz .LBB34_318
; %bb.313:                              ;   in Loop: Header=BB34_280 Depth=1
	v_mov_b32_e32 v16, 0
	v_mov_b32_e32 v17, 0
	s_mov_b32 s7, exec_lo
	v_cmpx_ne_u32_e32 0, v18
	s_cbranch_execz .LBB34_317
; %bb.314:                              ;   in Loop: Header=BB34_280 Depth=1
	v_mov_b32_e32 v16, 0
	v_mov_b32_e32 v17, 0
	s_mov_b64 s[0:1], 0
	s_mov_b32 s13, 0
	s_mov_b64 s[4:5], 0
	.p2align	6
.LBB34_315:                             ;   Parent Loop BB34_280 Depth=1
                                        ; =>  This Inner Loop Header: Depth=2
	s_delay_alu instid0(SALU_CYCLE_1)
	v_add_co_u32 v19, vcc_lo, v22, s4
	v_add_co_ci_u32_e32 v20, vcc_lo, s5, v23, vcc_lo
	s_add_u32 s4, s4, 1
	s_addc_u32 s5, s5, 0
	v_cmp_eq_u32_e32 vcc_lo, s4, v18
	flat_load_u8 v6, v[19:20]
	s_waitcnt vmcnt(0) lgkmcnt(0)
	v_dual_mov_b32 v20, s12 :: v_dual_and_b32 v19, 0xffff, v6
	s_delay_alu instid0(VALU_DEP_1) | instskip(SKIP_3) | instid1(VALU_DEP_1)
	v_lshlrev_b64 v[19:20], s0, v[19:20]
	s_add_u32 s0, s0, 8
	s_addc_u32 s1, s1, 0
	s_or_b32 s13, vcc_lo, s13
	v_or_b32_e32 v17, v20, v17
	s_delay_alu instid0(VALU_DEP_2)
	v_or_b32_e32 v16, v19, v16
	s_and_not1_b32 exec_lo, exec_lo, s13
	s_cbranch_execnz .LBB34_315
; %bb.316:                              ;   in Loop: Header=BB34_280 Depth=1
	s_or_b32 exec_lo, exec_lo, s13
.LBB34_317:                             ;   in Loop: Header=BB34_280 Depth=1
	s_delay_alu instid0(SALU_CYCLE_1)
	s_or_b32 exec_lo, exec_lo, s7
	s_mov_b32 s1, 0
                                        ; implicit-def: $vgpr18
.LBB34_318:                             ;   in Loop: Header=BB34_280 Depth=1
	s_or_saveexec_b32 s0, s6
	v_mov_b32_e32 v6, s1
	s_xor_b32 exec_lo, exec_lo, s0
	s_cbranch_execz .LBB34_320
; %bb.319:                              ;   in Loop: Header=BB34_280 Depth=1
	flat_load_b64 v[16:17], v[22:23]
	v_add_co_u32 v22, vcc_lo, v22, 8
	v_add_co_ci_u32_e32 v23, vcc_lo, 0, v23, vcc_lo
	s_waitcnt vmcnt(0) lgkmcnt(0)
	v_and_b32_e32 v6, 0xff, v17
	v_and_b32_e32 v19, 0xff00, v17
	;; [unrolled: 1-line block ×4, first 2 shown]
	v_or3_b32 v16, v16, 0, 0
	s_delay_alu instid0(VALU_DEP_4) | instskip(SKIP_1) | instid1(VALU_DEP_2)
	v_or_b32_e32 v19, v6, v19
	v_add_nc_u32_e32 v6, -8, v18
	v_or3_b32 v17, v19, v20, v17
.LBB34_320:                             ;   in Loop: Header=BB34_280 Depth=1
	s_or_b32 exec_lo, exec_lo, s0
                                        ; implicit-def: $vgpr18_vgpr19
                                        ; implicit-def: $sgpr1
	s_delay_alu instid0(SALU_CYCLE_1) | instskip(NEXT) | instid1(VALU_DEP_1)
	s_mov_b32 s0, exec_lo
	v_cmpx_gt_u32_e32 8, v6
	s_xor_b32 s6, exec_lo, s0
	s_cbranch_execz .LBB34_326
; %bb.321:                              ;   in Loop: Header=BB34_280 Depth=1
	v_mov_b32_e32 v18, 0
	v_mov_b32_e32 v19, 0
	s_mov_b32 s7, exec_lo
	v_cmpx_ne_u32_e32 0, v6
	s_cbranch_execz .LBB34_325
; %bb.322:                              ;   in Loop: Header=BB34_280 Depth=1
	v_mov_b32_e32 v18, 0
	v_mov_b32_e32 v19, 0
	s_mov_b64 s[0:1], 0
	s_mov_b32 s13, 0
	s_mov_b64 s[4:5], 0
	.p2align	6
.LBB34_323:                             ;   Parent Loop BB34_280 Depth=1
                                        ; =>  This Inner Loop Header: Depth=2
	s_delay_alu instid0(SALU_CYCLE_1)
	v_add_co_u32 v20, vcc_lo, v22, s4
	v_add_co_ci_u32_e32 v21, vcc_lo, s5, v23, vcc_lo
	s_add_u32 s4, s4, 1
	s_addc_u32 s5, s5, 0
	v_cmp_eq_u32_e32 vcc_lo, s4, v6
	flat_load_u8 v20, v[20:21]
	s_waitcnt vmcnt(0) lgkmcnt(0)
	v_dual_mov_b32 v21, s12 :: v_dual_and_b32 v20, 0xffff, v20
	s_delay_alu instid0(VALU_DEP_1) | instskip(SKIP_3) | instid1(VALU_DEP_1)
	v_lshlrev_b64 v[20:21], s0, v[20:21]
	s_add_u32 s0, s0, 8
	s_addc_u32 s1, s1, 0
	s_or_b32 s13, vcc_lo, s13
	v_or_b32_e32 v19, v21, v19
	s_delay_alu instid0(VALU_DEP_2)
	v_or_b32_e32 v18, v20, v18
	s_and_not1_b32 exec_lo, exec_lo, s13
	s_cbranch_execnz .LBB34_323
; %bb.324:                              ;   in Loop: Header=BB34_280 Depth=1
	s_or_b32 exec_lo, exec_lo, s13
.LBB34_325:                             ;   in Loop: Header=BB34_280 Depth=1
	s_delay_alu instid0(SALU_CYCLE_1)
	s_or_b32 exec_lo, exec_lo, s7
	s_mov_b32 s1, 0
                                        ; implicit-def: $vgpr6
.LBB34_326:                             ;   in Loop: Header=BB34_280 Depth=1
	s_or_saveexec_b32 s0, s6
	v_mov_b32_e32 v24, s1
	s_xor_b32 exec_lo, exec_lo, s0
	s_cbranch_execz .LBB34_328
; %bb.327:                              ;   in Loop: Header=BB34_280 Depth=1
	flat_load_b64 v[18:19], v[22:23]
	v_add_co_u32 v22, vcc_lo, v22, 8
	v_add_nc_u32_e32 v24, -8, v6
	v_add_co_ci_u32_e32 v23, vcc_lo, 0, v23, vcc_lo
	s_waitcnt vmcnt(0) lgkmcnt(0)
	v_and_b32_e32 v20, 0xff, v19
	v_and_b32_e32 v21, 0xff00, v19
	v_and_b32_e32 v25, 0xff0000, v19
	v_and_b32_e32 v19, 0xff000000, v19
	v_or3_b32 v18, v18, 0, 0
	s_delay_alu instid0(VALU_DEP_4) | instskip(NEXT) | instid1(VALU_DEP_1)
	v_or_b32_e32 v20, v20, v21
	v_or3_b32 v19, v20, v25, v19
.LBB34_328:                             ;   in Loop: Header=BB34_280 Depth=1
	s_or_b32 exec_lo, exec_lo, s0
	s_delay_alu instid0(SALU_CYCLE_1)
	s_mov_b32 s0, exec_lo
	v_cmpx_gt_u32_e32 8, v24
	s_xor_b32 s4, exec_lo, s0
	s_cbranch_execz .LBB34_334
; %bb.329:                              ;   in Loop: Header=BB34_280 Depth=1
	v_mov_b32_e32 v20, 0
	v_mov_b32_e32 v21, 0
	s_mov_b32 s5, exec_lo
	v_cmpx_ne_u32_e32 0, v24
	s_cbranch_execz .LBB34_333
; %bb.330:                              ;   in Loop: Header=BB34_280 Depth=1
	v_mov_b32_e32 v20, 0
	v_mov_b32_e32 v21, 0
	s_mov_b64 s[0:1], 0
	s_mov_b32 s6, 0
	.p2align	6
.LBB34_331:                             ;   Parent Loop BB34_280 Depth=1
                                        ; =>  This Inner Loop Header: Depth=2
	flat_load_u8 v6, v[22:23]
	v_dual_mov_b32 v31, s12 :: v_dual_add_nc_u32 v24, -1, v24
	v_add_co_u32 v22, vcc_lo, v22, 1
	v_add_co_ci_u32_e32 v23, vcc_lo, 0, v23, vcc_lo
	s_delay_alu instid0(VALU_DEP_3) | instskip(SKIP_2) | instid1(VALU_DEP_1)
	v_cmp_eq_u32_e32 vcc_lo, 0, v24
	s_waitcnt vmcnt(0) lgkmcnt(0)
	v_and_b32_e32 v30, 0xffff, v6
	v_lshlrev_b64 v[30:31], s0, v[30:31]
	s_add_u32 s0, s0, 8
	s_addc_u32 s1, s1, 0
	s_or_b32 s6, vcc_lo, s6
	s_delay_alu instid0(VALU_DEP_1) | instskip(NEXT) | instid1(VALU_DEP_2)
	v_or_b32_e32 v21, v31, v21
	v_or_b32_e32 v20, v30, v20
	s_and_not1_b32 exec_lo, exec_lo, s6
	s_cbranch_execnz .LBB34_331
; %bb.332:                              ;   in Loop: Header=BB34_280 Depth=1
	s_or_b32 exec_lo, exec_lo, s6
.LBB34_333:                             ;   in Loop: Header=BB34_280 Depth=1
	s_delay_alu instid0(SALU_CYCLE_1)
	s_or_b32 exec_lo, exec_lo, s5
                                        ; implicit-def: $vgpr22_vgpr23
.LBB34_334:                             ;   in Loop: Header=BB34_280 Depth=1
	s_and_not1_saveexec_b32 s0, s4
	s_cbranch_execz .LBB34_336
; %bb.335:                              ;   in Loop: Header=BB34_280 Depth=1
	flat_load_b64 v[20:21], v[22:23]
	s_waitcnt vmcnt(0) lgkmcnt(0)
	v_and_b32_e32 v6, 0xff, v21
	v_and_b32_e32 v22, 0xff00, v21
	;; [unrolled: 1-line block ×4, first 2 shown]
	v_or3_b32 v20, v20, 0, 0
	s_delay_alu instid0(VALU_DEP_4) | instskip(NEXT) | instid1(VALU_DEP_1)
	v_or_b32_e32 v6, v6, v22
	v_or3_b32 v21, v6, v23, v21
.LBB34_336:                             ;   in Loop: Header=BB34_280 Depth=1
	s_or_b32 exec_lo, exec_lo, s0
	v_readfirstlane_b32 s0, v35
	v_mov_b32_e32 v30, 0
	v_mov_b32_e32 v31, 0
	s_delay_alu instid0(VALU_DEP_3) | instskip(NEXT) | instid1(VALU_DEP_1)
	v_cmp_eq_u32_e64 s0, s0, v35
	s_and_saveexec_b32 s1, s0
	s_cbranch_execz .LBB34_342
; %bb.337:                              ;   in Loop: Header=BB34_280 Depth=1
	global_load_b64 v[24:25], v7, s[2:3] offset:24 glc
	s_waitcnt vmcnt(0)
	buffer_gl1_inv
	buffer_gl0_inv
	s_clause 0x1
	global_load_b64 v[22:23], v7, s[2:3] offset:40
	global_load_b64 v[30:31], v7, s[2:3]
	s_mov_b32 s4, exec_lo
	s_waitcnt vmcnt(1)
	v_and_b32_e32 v6, v23, v25
	v_and_b32_e32 v22, v22, v24
	s_delay_alu instid0(VALU_DEP_2) | instskip(NEXT) | instid1(VALU_DEP_2)
	v_mul_lo_u32 v6, v6, 24
	v_mul_hi_u32 v23, v22, 24
	v_mul_lo_u32 v22, v22, 24
	s_delay_alu instid0(VALU_DEP_2) | instskip(SKIP_1) | instid1(VALU_DEP_2)
	v_add_nc_u32_e32 v6, v23, v6
	s_waitcnt vmcnt(0)
	v_add_co_u32 v22, vcc_lo, v30, v22
	s_delay_alu instid0(VALU_DEP_2)
	v_add_co_ci_u32_e32 v23, vcc_lo, v31, v6, vcc_lo
	global_load_b64 v[22:23], v[22:23], off glc
	s_waitcnt vmcnt(0)
	global_atomic_cmpswap_b64 v[30:31], v7, v[22:25], s[2:3] offset:24 glc
	s_waitcnt vmcnt(0)
	buffer_gl1_inv
	buffer_gl0_inv
	v_cmpx_ne_u64_e64 v[30:31], v[24:25]
	s_cbranch_execz .LBB34_341
; %bb.338:                              ;   in Loop: Header=BB34_280 Depth=1
	s_mov_b32 s5, 0
	.p2align	6
.LBB34_339:                             ;   Parent Loop BB34_280 Depth=1
                                        ; =>  This Inner Loop Header: Depth=2
	s_sleep 1
	s_clause 0x1
	global_load_b64 v[22:23], v7, s[2:3] offset:40
	global_load_b64 v[36:37], v7, s[2:3]
	v_dual_mov_b32 v24, v30 :: v_dual_mov_b32 v25, v31
	s_waitcnt vmcnt(1)
	s_delay_alu instid0(VALU_DEP_1) | instskip(NEXT) | instid1(VALU_DEP_2)
	v_and_b32_e32 v6, v22, v24
	v_and_b32_e32 v33, v23, v25
	s_waitcnt vmcnt(0)
	s_delay_alu instid0(VALU_DEP_2) | instskip(NEXT) | instid1(VALU_DEP_1)
	v_mad_u64_u32 v[30:31], null, v6, 24, v[36:37]
	v_mov_b32_e32 v6, v31
	s_delay_alu instid0(VALU_DEP_1) | instskip(NEXT) | instid1(VALU_DEP_1)
	v_mad_u64_u32 v[22:23], null, v33, 24, v[6:7]
	v_mov_b32_e32 v31, v22
	global_load_b64 v[22:23], v[30:31], off glc
	s_waitcnt vmcnt(0)
	global_atomic_cmpswap_b64 v[30:31], v7, v[22:25], s[2:3] offset:24 glc
	s_waitcnt vmcnt(0)
	buffer_gl1_inv
	buffer_gl0_inv
	v_cmp_eq_u64_e32 vcc_lo, v[30:31], v[24:25]
	s_or_b32 s5, vcc_lo, s5
	s_delay_alu instid0(SALU_CYCLE_1)
	s_and_not1_b32 exec_lo, exec_lo, s5
	s_cbranch_execnz .LBB34_339
; %bb.340:                              ;   in Loop: Header=BB34_280 Depth=1
	s_or_b32 exec_lo, exec_lo, s5
.LBB34_341:                             ;   in Loop: Header=BB34_280 Depth=1
	s_delay_alu instid0(SALU_CYCLE_1)
	s_or_b32 exec_lo, exec_lo, s4
.LBB34_342:                             ;   in Loop: Header=BB34_280 Depth=1
	s_delay_alu instid0(SALU_CYCLE_1)
	s_or_b32 exec_lo, exec_lo, s1
	s_clause 0x1
	global_load_b64 v[36:37], v7, s[2:3] offset:40
	global_load_b128 v[22:25], v7, s[2:3]
	v_readfirstlane_b32 s4, v30
	v_readfirstlane_b32 s5, v31
	s_mov_b32 s1, exec_lo
	s_waitcnt vmcnt(1)
	v_readfirstlane_b32 s6, v36
	v_readfirstlane_b32 s7, v37
	s_delay_alu instid0(VALU_DEP_1) | instskip(NEXT) | instid1(SALU_CYCLE_1)
	s_and_b64 s[6:7], s[4:5], s[6:7]
	s_mul_i32 s13, s7, 24
	s_mul_hi_u32 s14, s6, 24
	s_mul_i32 s15, s6, 24
	s_add_i32 s14, s14, s13
	s_waitcnt vmcnt(0)
	v_add_co_u32 v30, vcc_lo, v22, s15
	v_add_co_ci_u32_e32 v31, vcc_lo, s14, v23, vcc_lo
	s_and_saveexec_b32 s13, s0
	s_cbranch_execz .LBB34_344
; %bb.343:                              ;   in Loop: Header=BB34_280 Depth=1
	v_mov_b32_e32 v6, s1
	global_store_b128 v[30:31], v[6:9], off offset:8
.LBB34_344:                             ;   in Loop: Header=BB34_280 Depth=1
	s_or_b32 exec_lo, exec_lo, s13
	v_cmp_lt_u64_e32 vcc_lo, 56, v[26:27]
	v_or_b32_e32 v6, 0, v1
	v_or_b32_e32 v33, v0, v32
	v_lshl_add_u32 v36, v28, 2, 28
	s_lshl_b64 s[6:7], s[6:7], 12
	s_delay_alu instid0(SALU_CYCLE_1) | instskip(NEXT) | instid1(VALU_DEP_1)
	v_add_co_u32 v24, s1, v24, s6
	v_add_co_ci_u32_e64 v25, s1, s7, v25, s1
	v_dual_cndmask_b32 v1, v6, v1 :: v_dual_cndmask_b32 v0, v33, v0
	v_and_b32_e32 v6, 0x1e0, v36
	s_delay_alu instid0(VALU_DEP_4) | instskip(NEXT) | instid1(VALU_DEP_4)
	v_readfirstlane_b32 s6, v24
	v_readfirstlane_b32 s7, v25
	s_delay_alu instid0(VALU_DEP_3)
	v_and_or_b32 v0, 0xffffff1f, v0, v6
	s_clause 0x3
	global_store_b128 v34, v[0:3], s[6:7]
	global_store_b128 v34, v[10:13], s[6:7] offset:16
	global_store_b128 v34, v[14:17], s[6:7] offset:32
	;; [unrolled: 1-line block ×3, first 2 shown]
	s_and_saveexec_b32 s1, s0
	s_cbranch_execz .LBB34_352
; %bb.345:                              ;   in Loop: Header=BB34_280 Depth=1
	s_clause 0x1
	global_load_b64 v[14:15], v7, s[2:3] offset:32 glc
	global_load_b64 v[0:1], v7, s[2:3] offset:40
	v_dual_mov_b32 v12, s4 :: v_dual_mov_b32 v13, s5
	s_waitcnt vmcnt(0)
	v_readfirstlane_b32 s6, v0
	v_readfirstlane_b32 s7, v1
	s_delay_alu instid0(VALU_DEP_1) | instskip(NEXT) | instid1(SALU_CYCLE_1)
	s_and_b64 s[6:7], s[6:7], s[4:5]
	s_mul_i32 s7, s7, 24
	s_mul_hi_u32 s13, s6, 24
	s_mul_i32 s6, s6, 24
	s_add_i32 s13, s13, s7
	v_add_co_u32 v10, vcc_lo, v22, s6
	v_add_co_ci_u32_e32 v11, vcc_lo, s13, v23, vcc_lo
	s_mov_b32 s6, exec_lo
	global_store_b64 v[10:11], v[14:15], off
	s_waitcnt_vscnt null, 0x0
	global_atomic_cmpswap_b64 v[2:3], v7, v[12:15], s[2:3] offset:32 glc
	s_waitcnt vmcnt(0)
	v_cmpx_ne_u64_e64 v[2:3], v[14:15]
	s_cbranch_execz .LBB34_348
; %bb.346:                              ;   in Loop: Header=BB34_280 Depth=1
	s_mov_b32 s7, 0
.LBB34_347:                             ;   Parent Loop BB34_280 Depth=1
                                        ; =>  This Inner Loop Header: Depth=2
	v_dual_mov_b32 v0, s4 :: v_dual_mov_b32 v1, s5
	s_sleep 1
	global_store_b64 v[10:11], v[2:3], off
	s_waitcnt_vscnt null, 0x0
	global_atomic_cmpswap_b64 v[0:1], v7, v[0:3], s[2:3] offset:32 glc
	s_waitcnt vmcnt(0)
	v_cmp_eq_u64_e32 vcc_lo, v[0:1], v[2:3]
	v_dual_mov_b32 v3, v1 :: v_dual_mov_b32 v2, v0
	s_or_b32 s7, vcc_lo, s7
	s_delay_alu instid0(SALU_CYCLE_1)
	s_and_not1_b32 exec_lo, exec_lo, s7
	s_cbranch_execnz .LBB34_347
.LBB34_348:                             ;   in Loop: Header=BB34_280 Depth=1
	s_or_b32 exec_lo, exec_lo, s6
	global_load_b64 v[0:1], v7, s[2:3] offset:16
	s_mov_b32 s7, exec_lo
	s_mov_b32 s6, exec_lo
	v_mbcnt_lo_u32_b32 v2, s7, 0
	s_delay_alu instid0(VALU_DEP_1)
	v_cmpx_eq_u32_e32 0, v2
	s_cbranch_execz .LBB34_350
; %bb.349:                              ;   in Loop: Header=BB34_280 Depth=1
	s_bcnt1_i32_b32 s7, s7
	s_delay_alu instid0(SALU_CYCLE_1)
	v_mov_b32_e32 v6, s7
	s_waitcnt vmcnt(0)
	global_atomic_add_u64 v[0:1], v[6:7], off offset:8
.LBB34_350:                             ;   in Loop: Header=BB34_280 Depth=1
	s_or_b32 exec_lo, exec_lo, s6
	s_waitcnt vmcnt(0)
	global_load_b64 v[2:3], v[0:1], off offset:16
	s_waitcnt vmcnt(0)
	v_cmp_eq_u64_e32 vcc_lo, 0, v[2:3]
	s_cbranch_vccnz .LBB34_352
; %bb.351:                              ;   in Loop: Header=BB34_280 Depth=1
	global_load_b32 v6, v[0:1], off offset:24
	s_waitcnt vmcnt(0)
	v_and_b32_e32 v0, 0xffffff, v6
	s_waitcnt_vscnt null, 0x0
	global_store_b64 v[2:3], v[6:7], off
	v_readfirstlane_b32 m0, v0
	s_sendmsg sendmsg(MSG_INTERRUPT)
.LBB34_352:                             ;   in Loop: Header=BB34_280 Depth=1
	s_or_b32 exec_lo, exec_lo, s1
	v_add_co_u32 v0, vcc_lo, v24, v34
	v_add_co_ci_u32_e32 v1, vcc_lo, 0, v25, vcc_lo
	s_branch .LBB34_356
	.p2align	6
.LBB34_353:                             ;   in Loop: Header=BB34_356 Depth=2
	s_or_b32 exec_lo, exec_lo, s1
	s_delay_alu instid0(VALU_DEP_1) | instskip(NEXT) | instid1(VALU_DEP_1)
	v_readfirstlane_b32 s1, v2
	s_cmp_eq_u32 s1, 0
	s_cbranch_scc1 .LBB34_355
; %bb.354:                              ;   in Loop: Header=BB34_356 Depth=2
	s_sleep 1
	s_cbranch_execnz .LBB34_356
	s_branch .LBB34_358
	.p2align	6
.LBB34_355:                             ;   in Loop: Header=BB34_280 Depth=1
	s_branch .LBB34_358
.LBB34_356:                             ;   Parent Loop BB34_280 Depth=1
                                        ; =>  This Inner Loop Header: Depth=2
	v_mov_b32_e32 v2, 1
	s_and_saveexec_b32 s1, s0
	s_cbranch_execz .LBB34_353
; %bb.357:                              ;   in Loop: Header=BB34_356 Depth=2
	global_load_b32 v2, v[30:31], off offset:20 glc
	s_waitcnt vmcnt(0)
	buffer_gl1_inv
	buffer_gl0_inv
	v_and_b32_e32 v2, 1, v2
	s_branch .LBB34_353
.LBB34_358:                             ;   in Loop: Header=BB34_280 Depth=1
	global_load_b128 v[0:3], v[0:1], off
	s_and_saveexec_b32 s1, s0
	s_cbranch_execz .LBB34_279
; %bb.359:                              ;   in Loop: Header=BB34_280 Depth=1
	s_clause 0x2
	global_load_b64 v[2:3], v7, s[2:3] offset:40
	global_load_b64 v[14:15], v7, s[2:3] offset:24 glc
	global_load_b64 v[12:13], v7, s[2:3]
	s_waitcnt vmcnt(2)
	v_add_co_u32 v6, vcc_lo, v2, 1
	v_add_co_ci_u32_e32 v16, vcc_lo, 0, v3, vcc_lo
	s_delay_alu instid0(VALU_DEP_2) | instskip(NEXT) | instid1(VALU_DEP_2)
	v_add_co_u32 v10, vcc_lo, v6, s4
	v_add_co_ci_u32_e32 v11, vcc_lo, s5, v16, vcc_lo
	s_delay_alu instid0(VALU_DEP_1) | instskip(SKIP_1) | instid1(VALU_DEP_1)
	v_cmp_eq_u64_e32 vcc_lo, 0, v[10:11]
	v_dual_cndmask_b32 v11, v11, v16 :: v_dual_cndmask_b32 v10, v10, v6
	v_and_b32_e32 v3, v11, v3
	s_delay_alu instid0(VALU_DEP_2) | instskip(NEXT) | instid1(VALU_DEP_1)
	v_and_b32_e32 v2, v10, v2
	v_mul_hi_u32 v6, v2, 24
	v_mul_lo_u32 v2, v2, 24
	s_waitcnt vmcnt(0)
	s_delay_alu instid0(VALU_DEP_1) | instskip(SKIP_2) | instid1(VALU_DEP_1)
	v_add_co_u32 v2, vcc_lo, v12, v2
	v_mov_b32_e32 v12, v14
	v_mul_lo_u32 v3, v3, 24
	v_add_nc_u32_e32 v3, v6, v3
	s_delay_alu instid0(VALU_DEP_1)
	v_add_co_ci_u32_e32 v3, vcc_lo, v13, v3, vcc_lo
	v_mov_b32_e32 v13, v15
	global_store_b64 v[2:3], v[14:15], off
	s_waitcnt_vscnt null, 0x0
	global_atomic_cmpswap_b64 v[12:13], v7, v[10:13], s[2:3] offset:24 glc
	s_waitcnt vmcnt(0)
	v_cmp_ne_u64_e32 vcc_lo, v[12:13], v[14:15]
	s_and_b32 exec_lo, exec_lo, vcc_lo
	s_cbranch_execz .LBB34_279
; %bb.360:                              ;   in Loop: Header=BB34_280 Depth=1
	s_mov_b32 s0, 0
.LBB34_361:                             ;   Parent Loop BB34_280 Depth=1
                                        ; =>  This Inner Loop Header: Depth=2
	s_sleep 1
	global_store_b64 v[2:3], v[12:13], off
	s_waitcnt_vscnt null, 0x0
	global_atomic_cmpswap_b64 v[14:15], v7, v[10:13], s[2:3] offset:24 glc
	s_waitcnt vmcnt(0)
	v_cmp_eq_u64_e32 vcc_lo, v[14:15], v[12:13]
	v_dual_mov_b32 v12, v14 :: v_dual_mov_b32 v13, v15
	s_or_b32 s0, vcc_lo, s0
	s_delay_alu instid0(SALU_CYCLE_1)
	s_and_not1_b32 exec_lo, exec_lo, s0
	s_cbranch_execnz .LBB34_361
	s_branch .LBB34_279
.LBB34_362:
	s_or_b32 exec_lo, exec_lo, s11
                                        ; implicit-def: $vgpr34
                                        ; implicit-def: $vgpr35
.LBB34_363:
	s_and_not1_saveexec_b32 s1, s10
	s_cbranch_execz .LBB34_391
; %bb.364:
	v_readfirstlane_b32 s0, v35
	v_mov_b32_e32 v8, 0
	v_mov_b32_e32 v9, 0
	s_delay_alu instid0(VALU_DEP_3) | instskip(NEXT) | instid1(VALU_DEP_1)
	v_cmp_eq_u32_e64 s0, s0, v35
	s_and_saveexec_b32 s4, s0
	s_cbranch_execz .LBB34_370
; %bb.365:
	s_waitcnt vmcnt(0)
	v_mov_b32_e32 v2, 0
	s_mov_b32 s5, exec_lo
	global_load_b64 v[5:6], v2, s[2:3] offset:24 glc
	s_waitcnt vmcnt(0)
	buffer_gl1_inv
	buffer_gl0_inv
	s_clause 0x1
	global_load_b64 v[3:4], v2, s[2:3] offset:40
	global_load_b64 v[7:8], v2, s[2:3]
	s_waitcnt vmcnt(1)
	v_and_b32_e32 v3, v3, v5
	v_and_b32_e32 v4, v4, v6
	s_delay_alu instid0(VALU_DEP_2) | instskip(NEXT) | instid1(VALU_DEP_2)
	v_mul_hi_u32 v9, v3, 24
	v_mul_lo_u32 v4, v4, 24
	v_mul_lo_u32 v3, v3, 24
	s_delay_alu instid0(VALU_DEP_2) | instskip(SKIP_1) | instid1(VALU_DEP_2)
	v_add_nc_u32_e32 v4, v9, v4
	s_waitcnt vmcnt(0)
	v_add_co_u32 v3, vcc_lo, v7, v3
	s_delay_alu instid0(VALU_DEP_2)
	v_add_co_ci_u32_e32 v4, vcc_lo, v8, v4, vcc_lo
	global_load_b64 v[3:4], v[3:4], off glc
	s_waitcnt vmcnt(0)
	global_atomic_cmpswap_b64 v[8:9], v2, v[3:6], s[2:3] offset:24 glc
	s_waitcnt vmcnt(0)
	buffer_gl1_inv
	buffer_gl0_inv
	v_cmpx_ne_u64_e64 v[8:9], v[5:6]
	s_cbranch_execz .LBB34_369
; %bb.366:
	s_mov_b32 s6, 0
	.p2align	6
.LBB34_367:                             ; =>This Inner Loop Header: Depth=1
	s_sleep 1
	s_clause 0x1
	global_load_b64 v[3:4], v2, s[2:3] offset:40
	global_load_b64 v[10:11], v2, s[2:3]
	v_dual_mov_b32 v5, v8 :: v_dual_mov_b32 v6, v9
	s_waitcnt vmcnt(1)
	s_delay_alu instid0(VALU_DEP_1) | instskip(NEXT) | instid1(VALU_DEP_2)
	v_and_b32_e32 v3, v3, v5
	v_and_b32_e32 v4, v4, v6
	s_waitcnt vmcnt(0)
	s_delay_alu instid0(VALU_DEP_2) | instskip(NEXT) | instid1(VALU_DEP_1)
	v_mad_u64_u32 v[7:8], null, v3, 24, v[10:11]
	v_mov_b32_e32 v3, v8
	s_delay_alu instid0(VALU_DEP_1)
	v_mad_u64_u32 v[8:9], null, v4, 24, v[3:4]
	global_load_b64 v[3:4], v[7:8], off glc
	s_waitcnt vmcnt(0)
	global_atomic_cmpswap_b64 v[8:9], v2, v[3:6], s[2:3] offset:24 glc
	s_waitcnt vmcnt(0)
	buffer_gl1_inv
	buffer_gl0_inv
	v_cmp_eq_u64_e32 vcc_lo, v[8:9], v[5:6]
	s_or_b32 s6, vcc_lo, s6
	s_delay_alu instid0(SALU_CYCLE_1)
	s_and_not1_b32 exec_lo, exec_lo, s6
	s_cbranch_execnz .LBB34_367
; %bb.368:
	s_or_b32 exec_lo, exec_lo, s6
.LBB34_369:
	s_delay_alu instid0(SALU_CYCLE_1)
	s_or_b32 exec_lo, exec_lo, s5
.LBB34_370:
	s_delay_alu instid0(SALU_CYCLE_1)
	s_or_b32 exec_lo, exec_lo, s4
	s_waitcnt vmcnt(0)
	v_mov_b32_e32 v2, 0
	v_readfirstlane_b32 s4, v8
	v_readfirstlane_b32 s5, v9
	s_mov_b32 s10, exec_lo
	s_clause 0x1
	global_load_b64 v[10:11], v2, s[2:3] offset:40
	global_load_b128 v[4:7], v2, s[2:3]
	s_waitcnt vmcnt(1)
	v_readfirstlane_b32 s6, v10
	v_readfirstlane_b32 s7, v11
	s_delay_alu instid0(VALU_DEP_1) | instskip(NEXT) | instid1(SALU_CYCLE_1)
	s_and_b64 s[6:7], s[4:5], s[6:7]
	s_mul_i32 s11, s7, 24
	s_mul_hi_u32 s12, s6, 24
	s_mul_i32 s13, s6, 24
	s_add_i32 s12, s12, s11
	s_waitcnt vmcnt(0)
	v_add_co_u32 v8, vcc_lo, v4, s13
	v_add_co_ci_u32_e32 v9, vcc_lo, s12, v5, vcc_lo
	s_and_saveexec_b32 s11, s0
	s_cbranch_execz .LBB34_372
; %bb.371:
	v_dual_mov_b32 v10, s10 :: v_dual_mov_b32 v11, v2
	v_dual_mov_b32 v12, 2 :: v_dual_mov_b32 v13, 1
	global_store_b128 v[8:9], v[10:13], off offset:8
.LBB34_372:
	s_or_b32 exec_lo, exec_lo, s11
	s_lshl_b64 s[6:7], s[6:7], 12
	s_mov_b32 s12, 0
	v_add_co_u32 v6, vcc_lo, v6, s6
	v_add_co_ci_u32_e32 v7, vcc_lo, s7, v7, vcc_lo
	s_mov_b32 s13, s12
	s_delay_alu instid0(VALU_DEP_2)
	v_readfirstlane_b32 s6, v6
	v_add_co_u32 v6, vcc_lo, v6, v34
	s_mov_b32 s14, s12
	s_mov_b32 s15, s12
	v_and_or_b32 v0, 0xffffff1f, v0, 32
	v_dual_mov_b32 v3, v2 :: v_dual_mov_b32 v10, s12
	v_readfirstlane_b32 s7, v7
	v_add_co_ci_u32_e32 v7, vcc_lo, 0, v7, vcc_lo
	v_dual_mov_b32 v11, s13 :: v_dual_mov_b32 v12, s14
	v_mov_b32_e32 v13, s15
	s_clause 0x3
	global_store_b128 v34, v[0:3], s[6:7]
	global_store_b128 v34, v[10:13], s[6:7] offset:16
	global_store_b128 v34, v[10:13], s[6:7] offset:32
	global_store_b128 v34, v[10:13], s[6:7] offset:48
	s_and_saveexec_b32 s6, s0
	s_cbranch_execz .LBB34_380
; %bb.373:
	v_dual_mov_b32 v10, 0 :: v_dual_mov_b32 v11, s4
	v_mov_b32_e32 v12, s5
	s_clause 0x1
	global_load_b64 v[13:14], v10, s[2:3] offset:32 glc
	global_load_b64 v[0:1], v10, s[2:3] offset:40
	s_waitcnt vmcnt(0)
	v_readfirstlane_b32 s10, v0
	v_readfirstlane_b32 s11, v1
	s_delay_alu instid0(VALU_DEP_1) | instskip(NEXT) | instid1(SALU_CYCLE_1)
	s_and_b64 s[10:11], s[10:11], s[4:5]
	s_mul_i32 s7, s11, 24
	s_mul_hi_u32 s11, s10, 24
	s_mul_i32 s10, s10, 24
	s_add_i32 s11, s11, s7
	v_add_co_u32 v4, vcc_lo, v4, s10
	v_add_co_ci_u32_e32 v5, vcc_lo, s11, v5, vcc_lo
	s_mov_b32 s7, exec_lo
	global_store_b64 v[4:5], v[13:14], off
	s_waitcnt_vscnt null, 0x0
	global_atomic_cmpswap_b64 v[2:3], v10, v[11:14], s[2:3] offset:32 glc
	s_waitcnt vmcnt(0)
	v_cmpx_ne_u64_e64 v[2:3], v[13:14]
	s_cbranch_execz .LBB34_376
; %bb.374:
	s_mov_b32 s10, 0
.LBB34_375:                             ; =>This Inner Loop Header: Depth=1
	v_dual_mov_b32 v0, s4 :: v_dual_mov_b32 v1, s5
	s_sleep 1
	global_store_b64 v[4:5], v[2:3], off
	s_waitcnt_vscnt null, 0x0
	global_atomic_cmpswap_b64 v[0:1], v10, v[0:3], s[2:3] offset:32 glc
	s_waitcnt vmcnt(0)
	v_cmp_eq_u64_e32 vcc_lo, v[0:1], v[2:3]
	v_dual_mov_b32 v3, v1 :: v_dual_mov_b32 v2, v0
	s_or_b32 s10, vcc_lo, s10
	s_delay_alu instid0(SALU_CYCLE_1)
	s_and_not1_b32 exec_lo, exec_lo, s10
	s_cbranch_execnz .LBB34_375
.LBB34_376:
	s_or_b32 exec_lo, exec_lo, s7
	v_mov_b32_e32 v3, 0
	s_mov_b32 s10, exec_lo
	s_mov_b32 s7, exec_lo
	v_mbcnt_lo_u32_b32 v2, s10, 0
	global_load_b64 v[0:1], v3, s[2:3] offset:16
	v_cmpx_eq_u32_e32 0, v2
	s_cbranch_execz .LBB34_378
; %bb.377:
	s_bcnt1_i32_b32 s10, s10
	s_delay_alu instid0(SALU_CYCLE_1)
	v_mov_b32_e32 v2, s10
	s_waitcnt vmcnt(0)
	global_atomic_add_u64 v[0:1], v[2:3], off offset:8
.LBB34_378:
	s_or_b32 exec_lo, exec_lo, s7
	s_waitcnt vmcnt(0)
	global_load_b64 v[2:3], v[0:1], off offset:16
	s_waitcnt vmcnt(0)
	v_cmp_eq_u64_e32 vcc_lo, 0, v[2:3]
	s_cbranch_vccnz .LBB34_380
; %bb.379:
	global_load_b32 v0, v[0:1], off offset:24
	s_waitcnt vmcnt(0)
	v_dual_mov_b32 v1, 0 :: v_dual_and_b32 v4, 0xffffff, v0
	s_waitcnt_vscnt null, 0x0
	global_store_b64 v[2:3], v[0:1], off
	v_readfirstlane_b32 m0, v4
	s_sendmsg sendmsg(MSG_INTERRUPT)
.LBB34_380:
	s_or_b32 exec_lo, exec_lo, s6
	s_branch .LBB34_384
	.p2align	6
.LBB34_381:                             ;   in Loop: Header=BB34_384 Depth=1
	s_or_b32 exec_lo, exec_lo, s6
	s_delay_alu instid0(VALU_DEP_1) | instskip(NEXT) | instid1(VALU_DEP_1)
	v_readfirstlane_b32 s6, v0
	s_cmp_eq_u32 s6, 0
	s_cbranch_scc1 .LBB34_383
; %bb.382:                              ;   in Loop: Header=BB34_384 Depth=1
	s_sleep 1
	s_cbranch_execnz .LBB34_384
	s_branch .LBB34_386
	.p2align	6
.LBB34_383:
	s_branch .LBB34_386
.LBB34_384:                             ; =>This Inner Loop Header: Depth=1
	v_mov_b32_e32 v0, 1
	s_and_saveexec_b32 s6, s0
	s_cbranch_execz .LBB34_381
; %bb.385:                              ;   in Loop: Header=BB34_384 Depth=1
	global_load_b32 v0, v[8:9], off offset:20 glc
	s_waitcnt vmcnt(0)
	buffer_gl1_inv
	buffer_gl0_inv
	v_and_b32_e32 v0, 1, v0
	s_branch .LBB34_381
.LBB34_386:
	global_load_b64 v[0:1], v[6:7], off
	s_and_saveexec_b32 s6, s0
	s_cbranch_execz .LBB34_390
; %bb.387:
	v_mov_b32_e32 v8, 0
	s_clause 0x2
	global_load_b64 v[4:5], v8, s[2:3] offset:40
	global_load_b64 v[9:10], v8, s[2:3] offset:24 glc
	global_load_b64 v[6:7], v8, s[2:3]
	s_waitcnt vmcnt(2)
	v_add_co_u32 v11, vcc_lo, v4, 1
	v_add_co_ci_u32_e32 v12, vcc_lo, 0, v5, vcc_lo
	s_delay_alu instid0(VALU_DEP_2) | instskip(NEXT) | instid1(VALU_DEP_2)
	v_add_co_u32 v2, vcc_lo, v11, s4
	v_add_co_ci_u32_e32 v3, vcc_lo, s5, v12, vcc_lo
	s_delay_alu instid0(VALU_DEP_1) | instskip(SKIP_1) | instid1(VALU_DEP_1)
	v_cmp_eq_u64_e32 vcc_lo, 0, v[2:3]
	v_dual_cndmask_b32 v3, v3, v12 :: v_dual_cndmask_b32 v2, v2, v11
	v_and_b32_e32 v5, v3, v5
	s_delay_alu instid0(VALU_DEP_2) | instskip(NEXT) | instid1(VALU_DEP_2)
	v_and_b32_e32 v4, v2, v4
	v_mul_lo_u32 v5, v5, 24
	s_delay_alu instid0(VALU_DEP_2) | instskip(SKIP_1) | instid1(VALU_DEP_2)
	v_mul_hi_u32 v11, v4, 24
	v_mul_lo_u32 v4, v4, 24
	v_add_nc_u32_e32 v5, v11, v5
	s_waitcnt vmcnt(0)
	s_delay_alu instid0(VALU_DEP_2) | instskip(SKIP_1) | instid1(VALU_DEP_3)
	v_add_co_u32 v6, vcc_lo, v6, v4
	v_mov_b32_e32 v4, v9
	v_add_co_ci_u32_e32 v7, vcc_lo, v7, v5, vcc_lo
	v_mov_b32_e32 v5, v10
	global_store_b64 v[6:7], v[9:10], off
	s_waitcnt_vscnt null, 0x0
	global_atomic_cmpswap_b64 v[4:5], v8, v[2:5], s[2:3] offset:24 glc
	s_waitcnt vmcnt(0)
	v_cmp_ne_u64_e32 vcc_lo, v[4:5], v[9:10]
	s_and_b32 exec_lo, exec_lo, vcc_lo
	s_cbranch_execz .LBB34_390
; %bb.388:
	s_mov_b32 s0, 0
.LBB34_389:                             ; =>This Inner Loop Header: Depth=1
	s_sleep 1
	global_store_b64 v[6:7], v[4:5], off
	s_waitcnt_vscnt null, 0x0
	global_atomic_cmpswap_b64 v[9:10], v8, v[2:5], s[2:3] offset:24 glc
	s_waitcnt vmcnt(0)
	v_cmp_eq_u64_e32 vcc_lo, v[9:10], v[4:5]
	v_dual_mov_b32 v4, v9 :: v_dual_mov_b32 v5, v10
	s_or_b32 s0, vcc_lo, s0
	s_delay_alu instid0(SALU_CYCLE_1)
	s_and_not1_b32 exec_lo, exec_lo, s0
	s_cbranch_execnz .LBB34_389
.LBB34_390:
	s_or_b32 exec_lo, exec_lo, s6
.LBB34_391:
	s_delay_alu instid0(SALU_CYCLE_1)
	s_or_b32 exec_lo, exec_lo, s1
	s_getpc_b64 s[0:1]
	s_add_u32 s0, s0, .str.3@rel32@lo+4
	s_addc_u32 s1, s1, .str.3@rel32@hi+12
	s_getpc_b64 s[2:3]
	s_add_u32 s2, s2, .str.3@rel32@lo+65
	s_addc_u32 s3, s3, .str.3@rel32@hi+73
	s_sub_i32 s4, s2, s0
	s_getpc_b64 s[2:3]
	s_add_u32 s2, s2, __ockl_fprintf_append_string_n@rel32@lo+4
	s_addc_u32 s3, s3, __ockl_fprintf_append_string_n@rel32@hi+12
	s_ashr_i32 s5, s4, 31
	s_waitcnt vmcnt(0)
	v_dual_mov_b32 v2, s0 :: v_dual_mov_b32 v3, s1
	v_dual_mov_b32 v4, s4 :: v_dual_mov_b32 v5, s5
	v_mov_b32_e32 v6, 1
	s_swappc_b64 s[30:31], s[2:3]
	s_trap 2
	s_sendmsg_rtn_b32 s0, sendmsg(MSG_RTN_GET_DOORBELL)
	s_mov_b32 ttmp2, m0
	s_waitcnt lgkmcnt(0)
	s_and_b32 s0, s0, 0x3ff
	s_delay_alu instid0(SALU_CYCLE_1) | instskip(NEXT) | instid1(SALU_CYCLE_1)
	s_bitset1_b32 s0, 10
	s_mov_b32 m0, s0
	s_sendmsg sendmsg(MSG_INTERRUPT)
	s_mov_b32 m0, ttmp2
.LBB34_392:                             ; =>This Inner Loop Header: Depth=1
	s_sethalt 5
	s_branch .LBB34_392
.Lfunc_end34:
	.size	__assert_fail, .Lfunc_end34-__assert_fail
                                        ; -- End function
	.section	.AMDGPU.csdata,"",@progbits
; Function info:
; codeLenInByte = 16148
; NumSgprs: 36
; NumVgprs: 41
; ScratchSize: 64
; MemoryBound: 0
	.section	.text._ZN9rocsolver6v33100L14bdsqr_finalizeIffPfS2_S2_EEviiiiPT0_lS4_lT1_iilT2_iilT3_iilPiS8_S8_,"axG",@progbits,_ZN9rocsolver6v33100L14bdsqr_finalizeIffPfS2_S2_EEviiiiPT0_lS4_lT1_iilT2_iilT3_iilPiS8_S8_,comdat
	.globl	_ZN9rocsolver6v33100L14bdsqr_finalizeIffPfS2_S2_EEviiiiPT0_lS4_lT1_iilT2_iilT3_iilPiS8_S8_ ; -- Begin function _ZN9rocsolver6v33100L14bdsqr_finalizeIffPfS2_S2_EEviiiiPT0_lS4_lT1_iilT2_iilT3_iilPiS8_S8_
	.p2align	8
	.type	_ZN9rocsolver6v33100L14bdsqr_finalizeIffPfS2_S2_EEviiiiPT0_lS4_lT1_iilT2_iilT3_iilPiS8_S8_,@function
_ZN9rocsolver6v33100L14bdsqr_finalizeIffPfS2_S2_EEviiiiPT0_lS4_lT1_iilT2_iilT3_iilPiS8_S8_: ; @_ZN9rocsolver6v33100L14bdsqr_finalizeIffPfS2_S2_EEviiiiPT0_lS4_lT1_iilT2_iilT3_iilPiS8_S8_
; %bb.0:
	s_load_b256 s[36:43], s[0:1], 0x70
	s_mov_b32 s8, s15
	s_ashr_i32 s9, s15, 31
	s_mov_b32 s32, 0
	s_lshl_b64 s[22:23], s[8:9], 2
	s_waitcnt lgkmcnt(0)
	s_add_u32 s2, s42, s22
	s_addc_u32 s3, s43, s23
	s_load_b32 s2, s[2:3], 0x8
	s_waitcnt lgkmcnt(0)
	s_cmp_gt_i32 s2, 1
	s_cbranch_scc1 .LBB35_264
; %bb.1:
	s_clause 0x2
	s_load_b64 s[2:3], s[0:1], 0x9c
	s_load_b256 s[44:51], s[0:1], 0x30
	s_load_b256 s[52:59], s[0:1], 0x10
	s_mov_b64 s[28:29], 0
	s_mov_b64 s[34:35], 0
	s_waitcnt lgkmcnt(0)
	s_and_b32 s3, s3, 0xffff
	s_cmp_eq_u64 s[44:45], 0
	s_cbranch_scc1 .LBB35_3
; %bb.2:
	s_mul_i32 s4, s8, s49
	s_mul_hi_u32 s5, s8, s48
	s_mul_i32 s6, s9, s48
	s_add_i32 s4, s5, s4
	s_ashr_i32 s7, s46, 31
	s_add_i32 s5, s4, s6
	s_mul_i32 s4, s8, s48
	s_mov_b32 s6, s46
	s_lshl_b64 s[4:5], s[4:5], 2
	s_delay_alu instid0(SALU_CYCLE_1) | instskip(SKIP_2) | instid1(SALU_CYCLE_1)
	s_add_u32 s10, s44, s4
	s_addc_u32 s11, s45, s5
	s_lshl_b64 s[4:5], s[6:7], 2
	s_add_u32 s34, s10, s4
	s_addc_u32 s35, s11, s5
.LBB35_3:
	s_clause 0x1
	s_load_b64 s[42:43], s[0:1], 0x50
	s_load_b128 s[4:7], s[0:1], 0x58
	s_cmp_eq_u64 s[50:51], 0
	s_cbranch_scc1 .LBB35_5
; %bb.4:
	s_waitcnt lgkmcnt(0)
	s_mul_i32 s5, s8, s5
	s_mul_hi_u32 s10, s8, s4
	s_mul_i32 s11, s9, s4
	s_add_i32 s5, s10, s5
	s_mul_i32 s4, s8, s4
	s_add_i32 s5, s5, s11
	s_ashr_i32 s11, s42, 31
	s_lshl_b64 s[4:5], s[4:5], 2
	s_mov_b32 s10, s42
	s_add_u32 s12, s50, s4
	s_addc_u32 s13, s51, s5
	s_lshl_b64 s[4:5], s[10:11], 2
	s_delay_alu instid0(SALU_CYCLE_1)
	s_add_u32 s28, s12, s4
	s_addc_u32 s29, s13, s5
.LBB35_5:
	s_load_b64 s[48:49], s[0:1], 0x68
	s_waitcnt lgkmcnt(0)
	s_cmp_eq_u64 s[6:7], 0
	s_mov_b64 s[44:45], 0
	s_cbranch_scc1 .LBB35_7
; %bb.6:
	s_mul_i32 s4, s8, s37
	s_mul_hi_u32 s5, s8, s36
	s_mul_i32 s10, s9, s36
	s_add_i32 s4, s5, s4
	s_ashr_i32 s11, s48, 31
	s_add_i32 s5, s4, s10
	s_mul_i32 s4, s8, s36
	s_mov_b32 s10, s48
	s_lshl_b64 s[4:5], s[4:5], 2
	s_delay_alu instid0(SALU_CYCLE_1) | instskip(SKIP_2) | instid1(SALU_CYCLE_1)
	s_add_u32 s6, s6, s4
	s_addc_u32 s7, s7, s5
	s_lshl_b64 s[4:5], s[10:11], 2
	s_add_u32 s44, s6, s4
	s_addc_u32 s45, s7, s5
.LBB35_7:
	s_mul_i32 s4, s8, s55
	s_mul_hi_u32 s5, s8, s54
	s_mul_i32 s6, s9, s54
	s_add_i32 s5, s5, s4
	s_mul_i32 s4, s8, s54
	s_add_i32 s5, s5, s6
	v_bfe_u32 v42, v0, 20, 10
	s_lshl_b64 s[50:51], s[4:5], 2
	s_load_b128 s[24:27], s[0:1], 0x0
	s_add_u32 s36, s52, s50
	s_addc_u32 s37, s53, s51
	s_lshr_b32 s4, s2, 16
	s_and_b32 s21, s2, 0xffff
	v_bfe_u32 v43, v0, 10, 10
	s_mul_i32 s46, s4, s21
	v_and_b32_e32 v44, 0x3ff, v0
	v_mul_lo_u32 v1, s46, v42
	s_and_b32 s3, s3, 0xffff
	v_mul_u32_u24_e32 v0, s21, v43
	s_mul_i32 s46, s46, s3
	s_delay_alu instid0(VALU_DEP_1) | instskip(SKIP_2) | instid1(VALU_DEP_1)
	v_add3_u32 v41, v0, v44, v1
	s_waitcnt lgkmcnt(0)
	s_cmp_lt_i32 s24, 1
	v_cmp_eq_u32_e64 s2, 0, v41
	s_cbranch_scc1 .LBB35_22
; %bb.8:
	s_mul_i32 s3, s8, s59
	s_mul_hi_u32 s4, s8, s58
	s_mul_i32 s5, s9, s58
	s_add_i32 s3, s4, s3
	s_mul_i32 s4, s8, s58
	s_add_i32 s5, s3, s5
	v_cmp_gt_u32_e64 s3, s25, v41
	s_lshl_b64 s[4:5], s[4:5], 2
	v_mov_b32_e32 v0, 0
	s_add_u32 s9, s56, s4
	s_addc_u32 s10, s57, s5
	s_add_i32 s11, s24, -1
	s_mov_b32 s5, 0
	s_cmp_lg_u32 s25, 0
	s_mov_b32 s14, s47
	s_cselect_b32 s12, -1, 0
	s_ashr_i32 s13, s47, 31
	s_mov_b32 s4, s5
	s_mov_b32 s42, s5
	s_branch .LBB35_11
.LBB35_9:                               ;   in Loop: Header=BB35_11 Depth=1
	s_or_b32 exec_lo, exec_lo, s15
.LBB35_10:                              ;   in Loop: Header=BB35_11 Depth=1
	s_add_i32 s4, s4, 1
	s_delay_alu instid0(SALU_CYCLE_1)
	s_cmp_eq_u32 s4, s24
	s_cbranch_scc1 .LBB35_23
.LBB35_11:                              ; =>This Loop Header: Depth=1
                                        ;     Child Loop BB35_18 Depth 2
	s_cmp_ge_i32 s4, s11
	s_cbranch_scc1 .LBB35_14
; %bb.12:                               ;   in Loop: Header=BB35_11 Depth=1
	s_lshl_b64 s[6:7], s[4:5], 2
	s_delay_alu instid0(SALU_CYCLE_1)
	s_add_u32 s6, s9, s6
	s_addc_u32 s7, s10, s7
	global_load_b32 v1, v0, s[6:7]
	s_waitcnt vmcnt(0)
	v_cmp_eq_f32_e32 vcc_lo, 0, v1
	s_cbranch_vccnz .LBB35_14
; %bb.13:                               ;   in Loop: Header=BB35_11 Depth=1
	s_add_i32 s42, s42, 1
.LBB35_14:                              ;   in Loop: Header=BB35_11 Depth=1
	s_lshl_b64 s[6:7], s[4:5], 2
	s_delay_alu instid0(SALU_CYCLE_1)
	s_add_u32 s6, s36, s6
	s_addc_u32 s7, s37, s7
	global_load_b32 v1, v0, s[6:7]
	s_waitcnt vmcnt(0)
	v_cmp_ngt_f32_e32 vcc_lo, 0, v1
	s_cbranch_vccnz .LBB35_10
; %bb.15:                               ;   in Loop: Header=BB35_11 Depth=1
	s_and_not1_b32 vcc_lo, exec_lo, s12
	s_cbranch_vccnz .LBB35_20
; %bb.16:                               ;   in Loop: Header=BB35_11 Depth=1
	s_and_saveexec_b32 s15, s3
	s_cbranch_execz .LBB35_19
; %bb.17:                               ;   in Loop: Header=BB35_11 Depth=1
	v_mov_b32_e32 v1, v41
	s_mov_b32 s16, 0
	.p2align	6
.LBB35_18:                              ;   Parent Loop BB35_11 Depth=1
                                        ; =>  This Inner Loop Header: Depth=2
	s_delay_alu instid0(VALU_DEP_1) | instskip(NEXT) | instid1(VALU_DEP_1)
	v_mad_u64_u32 v[2:3], null, v1, s14, s[4:5]
	v_mad_u64_u32 v[4:5], null, v1, s13, v[3:4]
	v_add_nc_u32_e32 v1, s46, v1
	s_delay_alu instid0(VALU_DEP_2) | instskip(NEXT) | instid1(VALU_DEP_1)
	v_mov_b32_e32 v3, v4
	v_lshlrev_b64 v[2:3], 2, v[2:3]
	s_delay_alu instid0(VALU_DEP_1) | instskip(NEXT) | instid1(VALU_DEP_2)
	v_add_co_u32 v2, vcc_lo, s34, v2
	v_add_co_ci_u32_e32 v3, vcc_lo, s35, v3, vcc_lo
	v_cmp_le_u32_e32 vcc_lo, s25, v1
	flat_load_b32 v4, v[2:3]
	s_or_b32 s16, vcc_lo, s16
	s_waitcnt vmcnt(0) lgkmcnt(0)
	v_xor_b32_e32 v4, 0x80000000, v4
	flat_store_b32 v[2:3], v4
	s_and_not1_b32 exec_lo, exec_lo, s16
	s_cbranch_execnz .LBB35_18
.LBB35_19:                              ;   in Loop: Header=BB35_11 Depth=1
	s_or_b32 exec_lo, exec_lo, s15
	s_waitcnt lgkmcnt(0)
	s_waitcnt_vscnt null, 0x0
	s_barrier
	buffer_gl0_inv
.LBB35_20:                              ;   in Loop: Header=BB35_11 Depth=1
	s_and_saveexec_b32 s15, s2
	s_cbranch_execz .LBB35_9
; %bb.21:                               ;   in Loop: Header=BB35_11 Depth=1
	global_load_b32 v1, v0, s[6:7]
	s_waitcnt vmcnt(0)
	v_xor_b32_e32 v1, 0x80000000, v1
	global_store_b32 v0, v1, s[6:7]
	s_branch .LBB35_9
.LBB35_22:
	s_mov_b32 s42, 0
.LBB35_23:
	s_delay_alu instid0(SALU_CYCLE_1)
	s_cmp_lt_i32 s42, 1
	s_mov_b32 s2, -1
	s_cbranch_scc0 .LBB35_261
; %bb.24:
	s_mul_i32 s2, s8, s24
	s_mov_b32 s54, 0
	s_lshl_b32 s2, s2, 1
	s_waitcnt_vscnt null, 0x0
	s_ashr_i32 s3, s2, 31
	s_barrier
	s_lshl_b64 s[2:3], s[2:3], 2
	buffer_gl0_inv
	s_add_u32 s2, s40, s2
	s_addc_u32 s3, s41, s3
	s_cmp_lg_u64 s[40:41], 0
	s_cselect_b32 s41, s3, 0
	s_cselect_b32 s40, s2, 0
	s_delay_alu instid0(SALU_CYCLE_1)
	s_cmp_lg_u64 s[40:41], 0
	s_cbranch_scc0 .LBB35_40
; %bb.25:
	s_or_b32 s2, s26, s25
	s_delay_alu instid0(SALU_CYCLE_1) | instskip(SKIP_4) | instid1(SALU_CYCLE_1)
	s_or_b32 s2, s2, s27
	s_cmp_gt_i32 s24, 0
	s_cselect_b32 s57, -1, 0
	s_cmp_lg_u64 s[52:53], 0
	s_cselect_b32 s3, -1, 0
	s_and_b32 s48, s57, s3
	s_cmp_eq_u32 s2, 0
	s_cbranch_scc1 .LBB35_41
; %bb.26:
	s_mov_b32 s58, -1
	s_mov_b32 s56, 0
	s_and_b32 vcc_lo, exec_lo, s48
	s_cbranch_vccz .LBB35_119
; %bb.27:
	s_mov_b32 s2, exec_lo
	s_barrier
	buffer_gl0_inv
	v_cmpx_gt_u32_e64 s24, v41
	s_cbranch_execz .LBB35_30
; %bb.28:
	v_dual_mov_b32 v1, 0 :: v_dual_mov_b32 v0, v41
	s_mov_b32 s3, 0
.LBB35_29:                              ; =>This Inner Loop Header: Depth=1
	s_delay_alu instid0(VALU_DEP_1) | instskip(NEXT) | instid1(VALU_DEP_1)
	v_lshlrev_b64 v[2:3], 2, v[0:1]
	v_add_co_u32 v2, vcc_lo, s40, v2
	s_delay_alu instid0(VALU_DEP_2) | instskip(SKIP_2) | instid1(VALU_DEP_1)
	v_add_co_ci_u32_e32 v3, vcc_lo, s41, v3, vcc_lo
	global_store_b32 v[2:3], v0, off
	v_add_nc_u32_e32 v0, s46, v0
	v_cmp_le_u32_e32 vcc_lo, s24, v0
	s_or_b32 s3, vcc_lo, s3
	s_delay_alu instid0(SALU_CYCLE_1)
	s_and_not1_b32 exec_lo, exec_lo, s3
	s_cbranch_execnz .LBB35_29
.LBB35_30:
	s_or_b32 exec_lo, exec_lo, s2
	v_or3_b32 v0, v43, v42, v44
	s_mov_b32 s18, exec_lo
	s_waitcnt_vscnt null, 0x0
	s_barrier
	buffer_gl0_inv
	v_cmpx_eq_u32_e32 0, v0
	s_cbranch_execz .LBB35_103
; %bb.31:
	s_cmpk_lt_i32 s24, 0x2be
	s_cbranch_scc1 .LBB35_42
; %bb.32:
	v_mov_b32_e32 v0, 0
	s_add_u32 s4, s40, 0xaf4
	s_mov_b64 s[2:3], 0x2bd
	s_addc_u32 s5, s41, 0
	s_mov_b64 s[6:7], s[36:37]
	s_branch .LBB35_34
.LBB35_33:                              ;   in Loop: Header=BB35_34 Depth=1
	s_lshl_b64 s[8:9], s[8:9], 2
	s_delay_alu instid0(SALU_CYCLE_1)
	s_add_u32 s10, s36, s8
	s_addc_u32 s11, s37, s9
	s_add_u32 s8, s40, s8
	s_addc_u32 s9, s41, s9
	;; [unrolled: 2-line block ×5, first 2 shown]
	s_cmp_eq_u32 s2, s24
	s_clause 0x1
	global_store_b32 v0, v1, s[10:11]
	global_store_b32 v0, v2, s[8:9]
	s_cbranch_scc1 .LBB35_42
.LBB35_34:                              ; =>This Loop Header: Depth=1
                                        ;     Child Loop BB35_36 Depth 2
	s_lshl_b64 s[8:9], s[2:3], 2
	s_mov_b64 s[12:13], s[4:5]
	s_and_b32 s9, s9, 3
	s_add_u32 s10, s36, s8
	s_addc_u32 s11, s37, s9
	s_add_u32 s8, s40, s8
	s_addc_u32 s9, s41, s9
	s_clause 0x1
	global_load_b32 v1, v0, s[10:11]
	global_load_b32 v2, v0, s[8:9]
	s_mov_b64 s[10:11], s[6:7]
	s_mov_b64 s[8:9], s[2:3]
	s_branch .LBB35_36
	.p2align	6
.LBB35_35:                              ;   in Loop: Header=BB35_36 Depth=2
	global_load_b32 v4, v0, s[12:13] offset:-2804
	s_add_u32 s30, s12, 0xfffff50c
	s_addc_u32 s31, s13, -1
	s_add_u32 s14, s8, 0xfffffd43
	s_addc_u32 s15, s9, -1
	global_store_b32 v0, v3, s[10:11] offset:2804
	s_add_u32 s10, s10, 0xfffff50c
	s_addc_u32 s11, s11, -1
	s_cmpk_lt_i32 s8, 0x57a
	s_mov_b32 s16, 0
	s_mov_b64 s[8:9], s[14:15]
	s_cselect_b32 s17, -1, 0
	s_waitcnt vmcnt(0)
	global_store_b32 v0, v4, s[12:13]
	s_mov_b64 s[12:13], s[30:31]
	s_and_not1_b32 vcc_lo, exec_lo, s17
	s_cbranch_vccz .LBB35_38
.LBB35_36:                              ;   Parent Loop BB35_34 Depth=1
                                        ; =>  This Inner Loop Header: Depth=2
	global_load_b32 v3, v0, s[10:11]
	s_mov_b32 s16, -1
	s_waitcnt vmcnt(0)
	v_cmp_nlt_f32_e32 vcc_lo, v3, v1
	s_cbranch_vccz .LBB35_35
; %bb.37:                               ;   in Loop: Header=BB35_34 Depth=1
                                        ; implicit-def: $sgpr12_sgpr13
                                        ; implicit-def: $sgpr10_sgpr11
                                        ; implicit-def: $sgpr14_sgpr15
.LBB35_38:                              ;   in Loop: Header=BB35_34 Depth=1
	s_and_not1_b32 vcc_lo, exec_lo, s16
	s_cbranch_vccz .LBB35_33
; %bb.39:                               ;   in Loop: Header=BB35_34 Depth=1
	s_bfe_i64 s[8:9], s[14:15], 0x200000
	s_branch .LBB35_33
.LBB35_40:
	s_branch .LBB35_237
.LBB35_41:
	s_mov_b32 s56, 0
	s_cbranch_execnz .LBB35_144
	s_branch .LBB35_232
.LBB35_42:
	s_cmpk_lt_i32 s24, 0x12e
	s_cbranch_scc1 .LBB35_51
; %bb.43:
	v_mov_b32_e32 v0, 0
	s_add_u32 s4, s40, 0x4b4
	s_mov_b64 s[2:3], 0x12d
	s_addc_u32 s5, s41, 0
	s_mov_b64 s[6:7], s[36:37]
	s_branch .LBB35_45
.LBB35_44:                              ;   in Loop: Header=BB35_45 Depth=1
	s_lshl_b64 s[8:9], s[8:9], 2
	s_delay_alu instid0(SALU_CYCLE_1)
	s_add_u32 s10, s36, s8
	s_addc_u32 s11, s37, s9
	s_add_u32 s8, s40, s8
	s_addc_u32 s9, s41, s9
	;; [unrolled: 2-line block ×5, first 2 shown]
	s_cmp_lg_u32 s2, s24
	s_clause 0x1
	global_store_b32 v0, v1, s[10:11]
	global_store_b32 v0, v2, s[8:9]
	s_cbranch_scc0 .LBB35_51
.LBB35_45:                              ; =>This Loop Header: Depth=1
                                        ;     Child Loop BB35_47 Depth 2
	s_lshl_b64 s[8:9], s[2:3], 2
	s_mov_b64 s[12:13], s[4:5]
	s_and_b32 s9, s9, 3
	s_add_u32 s10, s36, s8
	s_addc_u32 s11, s37, s9
	s_add_u32 s8, s40, s8
	s_addc_u32 s9, s41, s9
	s_clause 0x1
	global_load_b32 v1, v0, s[10:11]
	global_load_b32 v2, v0, s[8:9]
	s_mov_b64 s[10:11], s[6:7]
	s_mov_b64 s[8:9], s[2:3]
	s_branch .LBB35_47
	.p2align	6
.LBB35_46:                              ;   in Loop: Header=BB35_47 Depth=2
	global_load_b32 v4, v0, s[12:13] offset:-1204
	s_add_u32 s30, s12, 0xfffffb4c
	s_addc_u32 s31, s13, -1
	s_add_u32 s14, s8, 0xfffffed3
	s_addc_u32 s15, s9, -1
	global_store_b32 v0, v3, s[10:11] offset:1204
	s_add_u32 s10, s10, 0xfffffb4c
	s_addc_u32 s11, s11, -1
	s_cmpk_lt_i32 s8, 0x25a
	s_mov_b32 s16, 0
	s_mov_b64 s[8:9], s[14:15]
	s_cselect_b32 s17, -1, 0
	s_waitcnt vmcnt(0)
	global_store_b32 v0, v4, s[12:13]
	s_mov_b64 s[12:13], s[30:31]
	s_and_not1_b32 vcc_lo, exec_lo, s17
	s_cbranch_vccz .LBB35_49
.LBB35_47:                              ;   Parent Loop BB35_45 Depth=1
                                        ; =>  This Inner Loop Header: Depth=2
	global_load_b32 v3, v0, s[10:11]
	s_mov_b32 s16, -1
	s_waitcnt vmcnt(0)
	v_cmp_nlt_f32_e32 vcc_lo, v3, v1
	s_cbranch_vccz .LBB35_46
; %bb.48:                               ;   in Loop: Header=BB35_45 Depth=1
                                        ; implicit-def: $sgpr12_sgpr13
                                        ; implicit-def: $sgpr10_sgpr11
                                        ; implicit-def: $sgpr14_sgpr15
.LBB35_49:                              ;   in Loop: Header=BB35_45 Depth=1
	s_and_not1_b32 vcc_lo, exec_lo, s16
	s_cbranch_vccz .LBB35_44
; %bb.50:                               ;   in Loop: Header=BB35_45 Depth=1
	s_bfe_i64 s[8:9], s[14:15], 0x200000
	s_branch .LBB35_44
.LBB35_51:
	s_cmpk_lt_i32 s24, 0x85
	s_cbranch_scc1 .LBB35_60
; %bb.52:
	v_mov_b32_e32 v0, 0
	s_add_u32 s4, s40, 0x210
	s_mov_b64 s[2:3], 0x84
	s_addc_u32 s5, s41, 0
	s_mov_b64 s[6:7], s[36:37]
	s_branch .LBB35_54
.LBB35_53:                              ;   in Loop: Header=BB35_54 Depth=1
	s_lshl_b64 s[8:9], s[8:9], 2
	s_delay_alu instid0(SALU_CYCLE_1)
	s_add_u32 s10, s36, s8
	s_addc_u32 s11, s37, s9
	s_add_u32 s8, s40, s8
	s_addc_u32 s9, s41, s9
	;; [unrolled: 2-line block ×5, first 2 shown]
	s_cmp_lg_u32 s2, s24
	s_clause 0x1
	global_store_b32 v0, v1, s[10:11]
	global_store_b32 v0, v2, s[8:9]
	s_cbranch_scc0 .LBB35_60
.LBB35_54:                              ; =>This Loop Header: Depth=1
                                        ;     Child Loop BB35_56 Depth 2
	s_lshl_b64 s[8:9], s[2:3], 2
	s_mov_b64 s[12:13], s[4:5]
	s_and_b32 s9, s9, 3
	s_add_u32 s10, s36, s8
	s_addc_u32 s11, s37, s9
	s_add_u32 s8, s40, s8
	s_addc_u32 s9, s41, s9
	s_clause 0x1
	global_load_b32 v1, v0, s[10:11]
	global_load_b32 v2, v0, s[8:9]
	s_mov_b64 s[10:11], s[6:7]
	s_mov_b64 s[8:9], s[2:3]
	s_branch .LBB35_56
	.p2align	6
.LBB35_55:                              ;   in Loop: Header=BB35_56 Depth=2
	global_load_b32 v4, v0, s[12:13] offset:-528
	s_add_u32 s30, s12, 0xfffffdf0
	s_addc_u32 s31, s13, -1
	s_add_u32 s14, s8, 0xffffff7c
	s_addc_u32 s15, s9, -1
	global_store_b32 v0, v3, s[10:11] offset:528
	s_add_u32 s10, s10, 0xfffffdf0
	s_addc_u32 s11, s11, -1
	s_cmpk_lt_i32 s8, 0x108
	s_mov_b32 s16, 0
	s_mov_b64 s[8:9], s[14:15]
	s_cselect_b32 s17, -1, 0
	s_waitcnt vmcnt(0)
	global_store_b32 v0, v4, s[12:13]
	s_mov_b64 s[12:13], s[30:31]
	s_and_not1_b32 vcc_lo, exec_lo, s17
	s_cbranch_vccz .LBB35_58
.LBB35_56:                              ;   Parent Loop BB35_54 Depth=1
                                        ; =>  This Inner Loop Header: Depth=2
	global_load_b32 v3, v0, s[10:11]
	s_mov_b32 s16, -1
	s_waitcnt vmcnt(0)
	v_cmp_nlt_f32_e32 vcc_lo, v3, v1
	s_cbranch_vccz .LBB35_55
; %bb.57:                               ;   in Loop: Header=BB35_54 Depth=1
                                        ; implicit-def: $sgpr12_sgpr13
                                        ; implicit-def: $sgpr10_sgpr11
                                        ; implicit-def: $sgpr14_sgpr15
.LBB35_58:                              ;   in Loop: Header=BB35_54 Depth=1
	s_and_not1_b32 vcc_lo, exec_lo, s16
	s_cbranch_vccz .LBB35_53
; %bb.59:                               ;   in Loop: Header=BB35_54 Depth=1
	s_bfe_i64 s[8:9], s[14:15], 0x200000
	s_branch .LBB35_53
.LBB35_60:
	s_cmp_lt_i32 s24, 58
	s_cbranch_scc1 .LBB35_69
; %bb.61:
	v_mov_b32_e32 v0, 0
	s_add_u32 s2, s40, 0xe4
	s_addc_u32 s3, s41, 0
	s_mov_b64 s[4:5], 57
	s_mov_b64 s[6:7], s[36:37]
	s_branch .LBB35_63
.LBB35_62:                              ;   in Loop: Header=BB35_63 Depth=1
	s_lshl_b64 s[8:9], s[8:9], 2
	s_delay_alu instid0(SALU_CYCLE_1)
	s_add_u32 s10, s36, s8
	s_addc_u32 s11, s37, s9
	s_add_u32 s8, s40, s8
	s_addc_u32 s9, s41, s9
	;; [unrolled: 2-line block ×5, first 2 shown]
	s_cmp_lg_u32 s4, s24
	s_clause 0x1
	global_store_b32 v0, v1, s[10:11]
	global_store_b32 v0, v2, s[8:9]
	s_cbranch_scc0 .LBB35_69
.LBB35_63:                              ; =>This Loop Header: Depth=1
                                        ;     Child Loop BB35_65 Depth 2
	s_lshl_b64 s[8:9], s[4:5], 2
	s_mov_b64 s[12:13], s[2:3]
	s_and_b32 s9, s9, 3
	s_add_u32 s10, s36, s8
	s_addc_u32 s11, s37, s9
	s_add_u32 s8, s40, s8
	s_addc_u32 s9, s41, s9
	s_clause 0x1
	global_load_b32 v1, v0, s[10:11]
	global_load_b32 v2, v0, s[8:9]
	s_mov_b64 s[10:11], s[6:7]
	s_mov_b64 s[8:9], s[4:5]
	s_branch .LBB35_65
	.p2align	6
.LBB35_64:                              ;   in Loop: Header=BB35_65 Depth=2
	global_load_b32 v4, v0, s[12:13] offset:-228
	s_add_u32 s30, s12, 0xffffff1c
	s_addc_u32 s31, s13, -1
	s_add_u32 s14, s8, 0xffffffc7
	s_addc_u32 s15, s9, -1
	global_store_b32 v0, v3, s[10:11] offset:228
	s_add_u32 s10, s10, 0xffffff1c
	s_addc_u32 s11, s11, -1
	s_cmpk_lt_i32 s8, 0x72
	s_mov_b32 s16, 0
	s_mov_b64 s[8:9], s[14:15]
	s_cselect_b32 s17, -1, 0
	s_waitcnt vmcnt(0)
	global_store_b32 v0, v4, s[12:13]
	s_mov_b64 s[12:13], s[30:31]
	s_and_not1_b32 vcc_lo, exec_lo, s17
	s_cbranch_vccz .LBB35_67
.LBB35_65:                              ;   Parent Loop BB35_63 Depth=1
                                        ; =>  This Inner Loop Header: Depth=2
	global_load_b32 v3, v0, s[10:11]
	s_mov_b32 s16, -1
	s_waitcnt vmcnt(0)
	v_cmp_nlt_f32_e32 vcc_lo, v3, v1
	s_cbranch_vccz .LBB35_64
; %bb.66:                               ;   in Loop: Header=BB35_63 Depth=1
                                        ; implicit-def: $sgpr12_sgpr13
                                        ; implicit-def: $sgpr10_sgpr11
                                        ; implicit-def: $sgpr14_sgpr15
.LBB35_67:                              ;   in Loop: Header=BB35_63 Depth=1
	s_and_not1_b32 vcc_lo, exec_lo, s16
	s_cbranch_vccz .LBB35_62
; %bb.68:                               ;   in Loop: Header=BB35_63 Depth=1
	s_bfe_i64 s[8:9], s[14:15], 0x200000
	s_branch .LBB35_62
.LBB35_69:
	s_cmp_lt_i32 s24, 24
	s_cbranch_scc1 .LBB35_78
; %bb.70:
	v_mov_b32_e32 v0, 0
	s_add_u32 s2, s40, 0x5c
	s_addc_u32 s3, s41, 0
	s_mov_b64 s[4:5], 23
	s_mov_b64 s[6:7], s[36:37]
	s_branch .LBB35_72
.LBB35_71:                              ;   in Loop: Header=BB35_72 Depth=1
	s_lshl_b64 s[8:9], s[8:9], 2
	s_delay_alu instid0(SALU_CYCLE_1)
	s_add_u32 s10, s36, s8
	s_addc_u32 s11, s37, s9
	s_add_u32 s8, s40, s8
	s_addc_u32 s9, s41, s9
	;; [unrolled: 2-line block ×5, first 2 shown]
	s_cmp_lg_u32 s4, s24
	s_clause 0x1
	global_store_b32 v0, v1, s[10:11]
	global_store_b32 v0, v2, s[8:9]
	s_cbranch_scc0 .LBB35_78
.LBB35_72:                              ; =>This Loop Header: Depth=1
                                        ;     Child Loop BB35_74 Depth 2
	s_lshl_b64 s[8:9], s[4:5], 2
	s_mov_b64 s[12:13], s[2:3]
	s_and_b32 s9, s9, 3
	s_add_u32 s10, s36, s8
	s_addc_u32 s11, s37, s9
	s_add_u32 s8, s40, s8
	s_addc_u32 s9, s41, s9
	s_clause 0x1
	global_load_b32 v1, v0, s[10:11]
	global_load_b32 v2, v0, s[8:9]
	s_mov_b64 s[10:11], s[6:7]
	s_mov_b64 s[8:9], s[4:5]
	s_branch .LBB35_74
	.p2align	6
.LBB35_73:                              ;   in Loop: Header=BB35_74 Depth=2
	global_load_b32 v4, v0, s[12:13] offset:-92
	s_add_u32 s30, s12, 0xffffffa4
	s_addc_u32 s31, s13, -1
	s_add_u32 s14, s8, 0xffffffe9
	s_addc_u32 s15, s9, -1
	global_store_b32 v0, v3, s[10:11] offset:92
	s_add_u32 s10, s10, 0xffffffa4
	s_addc_u32 s11, s11, -1
	s_cmp_lt_i32 s8, 46
	s_mov_b32 s16, 0
	s_mov_b64 s[8:9], s[14:15]
	s_cselect_b32 s17, -1, 0
	s_waitcnt vmcnt(0)
	global_store_b32 v0, v4, s[12:13]
	s_mov_b64 s[12:13], s[30:31]
	s_and_not1_b32 vcc_lo, exec_lo, s17
	s_cbranch_vccz .LBB35_76
.LBB35_74:                              ;   Parent Loop BB35_72 Depth=1
                                        ; =>  This Inner Loop Header: Depth=2
	global_load_b32 v3, v0, s[10:11]
	s_mov_b32 s16, -1
	s_waitcnt vmcnt(0)
	v_cmp_nlt_f32_e32 vcc_lo, v3, v1
	s_cbranch_vccz .LBB35_73
; %bb.75:                               ;   in Loop: Header=BB35_72 Depth=1
                                        ; implicit-def: $sgpr12_sgpr13
                                        ; implicit-def: $sgpr10_sgpr11
                                        ; implicit-def: $sgpr14_sgpr15
.LBB35_76:                              ;   in Loop: Header=BB35_72 Depth=1
	s_and_not1_b32 vcc_lo, exec_lo, s16
	s_cbranch_vccz .LBB35_71
; %bb.77:                               ;   in Loop: Header=BB35_72 Depth=1
	s_bfe_i64 s[8:9], s[14:15], 0x200000
	s_branch .LBB35_71
.LBB35_78:
	s_cmp_lt_i32 s24, 11
	s_cbranch_scc1 .LBB35_87
; %bb.79:
	v_mov_b32_e32 v0, 0
	s_add_u32 s2, s40, 40
	s_addc_u32 s3, s41, 0
	s_mov_b64 s[4:5], 10
	s_mov_b64 s[6:7], s[36:37]
	s_branch .LBB35_81
.LBB35_80:                              ;   in Loop: Header=BB35_81 Depth=1
	s_lshl_b64 s[8:9], s[8:9], 2
	s_delay_alu instid0(SALU_CYCLE_1)
	s_add_u32 s10, s36, s8
	s_addc_u32 s11, s37, s9
	s_add_u32 s8, s40, s8
	s_addc_u32 s9, s41, s9
	;; [unrolled: 2-line block ×5, first 2 shown]
	s_cmp_lg_u32 s4, s24
	s_clause 0x1
	global_store_b32 v0, v1, s[10:11]
	global_store_b32 v0, v2, s[8:9]
	s_cbranch_scc0 .LBB35_87
.LBB35_81:                              ; =>This Loop Header: Depth=1
                                        ;     Child Loop BB35_83 Depth 2
	s_lshl_b64 s[8:9], s[4:5], 2
	s_mov_b64 s[12:13], s[2:3]
	s_and_b32 s9, s9, 3
	s_add_u32 s10, s36, s8
	s_addc_u32 s11, s37, s9
	s_add_u32 s8, s40, s8
	s_addc_u32 s9, s41, s9
	s_clause 0x1
	global_load_b32 v1, v0, s[10:11]
	global_load_b32 v2, v0, s[8:9]
	s_mov_b64 s[10:11], s[6:7]
	s_mov_b64 s[8:9], s[4:5]
	s_branch .LBB35_83
	.p2align	6
.LBB35_82:                              ;   in Loop: Header=BB35_83 Depth=2
	global_load_b32 v4, v0, s[12:13] offset:-40
	s_add_u32 s30, s12, 0xffffffd8
	s_addc_u32 s31, s13, -1
	s_add_u32 s14, s8, -10
	s_addc_u32 s15, s9, -1
	global_store_b32 v0, v3, s[10:11] offset:40
	s_add_u32 s10, s10, 0xffffffd8
	s_addc_u32 s11, s11, -1
	s_cmp_lt_i32 s8, 20
	s_mov_b32 s16, 0
	s_mov_b64 s[8:9], s[14:15]
	s_cselect_b32 s17, -1, 0
	s_waitcnt vmcnt(0)
	global_store_b32 v0, v4, s[12:13]
	s_mov_b64 s[12:13], s[30:31]
	s_and_not1_b32 vcc_lo, exec_lo, s17
	s_cbranch_vccz .LBB35_85
.LBB35_83:                              ;   Parent Loop BB35_81 Depth=1
                                        ; =>  This Inner Loop Header: Depth=2
	global_load_b32 v3, v0, s[10:11]
	s_mov_b32 s16, -1
	s_waitcnt vmcnt(0)
	v_cmp_nlt_f32_e32 vcc_lo, v3, v1
	s_cbranch_vccz .LBB35_82
; %bb.84:                               ;   in Loop: Header=BB35_81 Depth=1
                                        ; implicit-def: $sgpr12_sgpr13
                                        ; implicit-def: $sgpr10_sgpr11
                                        ; implicit-def: $sgpr14_sgpr15
.LBB35_85:                              ;   in Loop: Header=BB35_81 Depth=1
	s_and_not1_b32 vcc_lo, exec_lo, s16
	s_cbranch_vccz .LBB35_80
; %bb.86:                               ;   in Loop: Header=BB35_81 Depth=1
	s_bfe_i64 s[8:9], s[14:15], 0x200000
	s_branch .LBB35_80
.LBB35_87:
	s_cmp_lt_i32 s24, 5
	s_cbranch_scc1 .LBB35_96
; %bb.88:
	s_add_u32 s2, s40, 16
	s_addc_u32 s3, s41, 0
	s_add_u32 s4, s50, s52
	v_mov_b32_e32 v0, 0
	s_addc_u32 s5, s51, s53
	s_add_u32 s4, s4, 16
	s_addc_u32 s5, s5, 0
	s_mov_b64 s[6:7], 4
	s_branch .LBB35_90
.LBB35_89:                              ;   in Loop: Header=BB35_90 Depth=1
	s_lshl_b64 s[8:9], s[8:9], 2
	s_delay_alu instid0(SALU_CYCLE_1)
	s_add_u32 s10, s36, s8
	s_addc_u32 s11, s37, s9
	s_add_u32 s8, s40, s8
	s_addc_u32 s9, s41, s9
	;; [unrolled: 2-line block ×5, first 2 shown]
	s_cmp_lg_u32 s6, s24
	s_clause 0x1
	global_store_b32 v0, v1, s[10:11]
	global_store_b32 v0, v2, s[8:9]
	s_cbranch_scc0 .LBB35_96
.LBB35_90:                              ; =>This Loop Header: Depth=1
                                        ;     Child Loop BB35_92 Depth 2
	s_lshl_b64 s[8:9], s[6:7], 2
	s_mov_b64 s[12:13], s[4:5]
	s_and_b32 s9, s9, 3
	s_add_u32 s10, s36, s8
	s_addc_u32 s11, s37, s9
	s_add_u32 s8, s40, s8
	s_addc_u32 s9, s41, s9
	s_clause 0x1
	global_load_b32 v1, v0, s[10:11]
	global_load_b32 v2, v0, s[8:9]
	s_mov_b64 s[10:11], s[2:3]
	s_mov_b64 s[8:9], s[6:7]
	s_branch .LBB35_92
	.p2align	6
.LBB35_91:                              ;   in Loop: Header=BB35_92 Depth=2
	global_load_b32 v4, v0, s[10:11] offset:-16
	s_add_u32 s30, s10, -16
	s_addc_u32 s31, s11, -1
	s_add_u32 s14, s8, -4
	s_addc_u32 s15, s9, -1
	s_cmp_lt_i32 s8, 8
	s_mov_b32 s19, 0
	s_mov_b64 s[8:9], s[14:15]
	s_cselect_b32 s20, -1, 0
	global_store_b32 v0, v3, s[12:13]
	s_waitcnt vmcnt(0)
	global_store_b32 v0, v4, s[10:11]
	s_mov_b64 s[10:11], s[30:31]
	s_mov_b64 s[12:13], s[16:17]
	s_and_not1_b32 vcc_lo, exec_lo, s20
	s_cbranch_vccz .LBB35_94
.LBB35_92:                              ;   Parent Loop BB35_90 Depth=1
                                        ; =>  This Inner Loop Header: Depth=2
	global_load_b32 v3, v0, s[12:13] offset:-16
	s_add_u32 s16, s12, -16
	s_addc_u32 s17, s13, -1
	s_mov_b32 s19, -1
	s_waitcnt vmcnt(0)
	v_cmp_nlt_f32_e32 vcc_lo, v3, v1
	s_cbranch_vccz .LBB35_91
; %bb.93:                               ;   in Loop: Header=BB35_90 Depth=1
                                        ; implicit-def: $sgpr10_sgpr11
                                        ; implicit-def: $sgpr12_sgpr13
                                        ; implicit-def: $sgpr14_sgpr15
.LBB35_94:                              ;   in Loop: Header=BB35_90 Depth=1
	s_and_not1_b32 vcc_lo, exec_lo, s19
	s_cbranch_vccz .LBB35_89
; %bb.95:                               ;   in Loop: Header=BB35_90 Depth=1
	s_bfe_i64 s[8:9], s[14:15], 0x200000
	s_branch .LBB35_89
.LBB35_96:
	s_cmp_lt_i32 s24, 2
	s_cbranch_scc1 .LBB35_103
; %bb.97:
	s_add_u32 s2, s40, 4
	s_addc_u32 s3, s41, 0
	s_add_u32 s4, s50, s52
	v_mov_b32_e32 v0, 0
	s_addc_u32 s5, s51, s53
	s_add_u32 s4, s4, 4
	s_addc_u32 s5, s5, 0
	s_mov_b64 s[6:7], 1
	s_branch .LBB35_99
.LBB35_98:                              ;   in Loop: Header=BB35_99 Depth=1
	s_lshl_b64 s[8:9], s[14:15], 2
	s_delay_alu instid0(SALU_CYCLE_1)
	s_add_u32 s10, s36, s8
	s_addc_u32 s11, s37, s9
	s_add_u32 s8, s40, s8
	s_addc_u32 s9, s41, s9
	;; [unrolled: 2-line block ×5, first 2 shown]
	s_cmp_eq_u32 s6, s24
	s_clause 0x1
	global_store_b32 v0, v1, s[10:11]
	global_store_b32 v0, v2, s[8:9]
	s_cbranch_scc1 .LBB35_103
.LBB35_99:                              ; =>This Loop Header: Depth=1
                                        ;     Child Loop BB35_101 Depth 2
	s_lshl_b64 s[8:9], s[6:7], 2
	s_mov_b64 s[12:13], s[4:5]
	s_and_b32 s9, s9, 3
	s_add_u32 s10, s36, s8
	s_addc_u32 s11, s37, s9
	s_add_u32 s8, s40, s8
	s_addc_u32 s9, s41, s9
	s_clause 0x1
	global_load_b32 v1, v0, s[10:11]
	global_load_b32 v2, v0, s[8:9]
	s_mov_b64 s[10:11], s[2:3]
	s_mov_b64 s[8:9], s[6:7]
	s_branch .LBB35_101
	.p2align	6
.LBB35_100:                             ;   in Loop: Header=BB35_101 Depth=2
	global_load_b32 v4, v0, s[10:11] offset:-4
	s_add_u32 s30, s10, -4
	s_addc_u32 s31, s11, -1
	s_add_u32 s54, s8, -1
	s_addc_u32 s55, s9, -1
	s_cmp_lt_i32 s8, 2
	s_mov_b64 s[14:15], 0
	s_mov_b64 s[8:9], s[54:55]
	s_cselect_b32 s19, -1, 0
	global_store_b32 v0, v3, s[12:13]
	s_waitcnt vmcnt(0)
	global_store_b32 v0, v4, s[10:11]
	s_mov_b64 s[10:11], s[30:31]
	s_mov_b64 s[12:13], s[16:17]
	s_and_not1_b32 vcc_lo, exec_lo, s19
	s_cbranch_vccz .LBB35_98
.LBB35_101:                             ;   Parent Loop BB35_99 Depth=1
                                        ; =>  This Inner Loop Header: Depth=2
	global_load_b32 v3, v0, s[12:13] offset:-4
	s_add_u32 s16, s12, -4
	s_addc_u32 s17, s13, -1
	s_mov_b32 s19, -1
	s_waitcnt vmcnt(0)
	v_cmp_nlt_f32_e32 vcc_lo, v3, v1
	s_cbranch_vccz .LBB35_100
; %bb.102:                              ;   in Loop: Header=BB35_101 Depth=2
	s_mov_b64 s[14:15], s[8:9]
                                        ; implicit-def: $sgpr10_sgpr11
                                        ; implicit-def: $sgpr12_sgpr13
	s_and_not1_b32 vcc_lo, exec_lo, s19
	s_cbranch_vccnz .LBB35_101
	s_branch .LBB35_98
.LBB35_103:
	s_or_b32 exec_lo, exec_lo, s18
	s_cmp_lt_i32 s24, 2
	s_mov_b32 s58, 0
	s_cselect_b32 s5, -1, 0
	s_waitcnt_vscnt null, 0x0
	s_and_b32 vcc_lo, exec_lo, s5
	s_barrier
	buffer_gl0_inv
	s_cbranch_vccnz .LBB35_111
; %bb.104:
	s_add_i32 s4, s24, -1
	s_mov_b32 s5, -1
	s_mov_b32 s2, 0
	s_mov_b32 s3, exec_lo
	v_cmpx_gt_u32_e64 s4, v41
	s_cbranch_execz .LBB35_113
; %bb.105:
	v_dual_mov_b32 v1, 0 :: v_dual_mov_b32 v0, v41
	s_add_u32 s5, s36, 4
	s_addc_u32 s8, s37, 0
	s_mov_b32 s6, 0
                                        ; implicit-def: $sgpr7
	s_set_inst_prefetch_distance 0x1
	s_branch .LBB35_107
	.p2align	6
.LBB35_106:                             ;   in Loop: Header=BB35_107 Depth=1
	s_or_b32 exec_lo, exec_lo, s11
	s_xor_b32 s2, s2, -1
	s_and_b32 s9, exec_lo, s10
	s_delay_alu instid0(SALU_CYCLE_1) | instskip(SKIP_2) | instid1(SALU_CYCLE_1)
	s_or_b32 s6, s9, s6
	s_and_not1_b32 s7, s7, exec_lo
	s_and_b32 s2, s2, exec_lo
	s_or_b32 s7, s7, s2
	s_and_not1_b32 exec_lo, exec_lo, s6
	s_cbranch_execz .LBB35_112
.LBB35_107:                             ; =>This Inner Loop Header: Depth=1
	v_lshlrev_b64 v[2:3], 2, v[0:1]
	s_mov_b32 s10, exec_lo
                                        ; implicit-def: $sgpr2
	s_delay_alu instid0(VALU_DEP_1) | instskip(NEXT) | instid1(VALU_DEP_2)
	v_add_co_u32 v2, vcc_lo, s36, v2
	v_add_co_ci_u32_e32 v3, vcc_lo, s37, v3, vcc_lo
	global_load_b32 v2, v[2:3], off
	s_waitcnt vmcnt(0)
	v_cmp_u_f32_e64 s9, v2, v2
	v_cmpx_o_f32_e32 v2, v2
	s_cbranch_execz .LBB35_109
; %bb.108:                              ;   in Loop: Header=BB35_107 Depth=1
	v_ashrrev_i32_e32 v4, 31, v0
	v_mov_b32_e32 v3, v0
	s_and_not1_b32 s9, s9, exec_lo
	s_delay_alu instid0(VALU_DEP_1) | instskip(NEXT) | instid1(VALU_DEP_1)
	v_lshlrev_b64 v[3:4], 2, v[3:4]
	v_add_co_u32 v3, vcc_lo, s5, v3
	s_delay_alu instid0(VALU_DEP_2) | instskip(SKIP_4) | instid1(VALU_DEP_1)
	v_add_co_ci_u32_e32 v4, vcc_lo, s8, v4, vcc_lo
	global_load_b32 v3, v[3:4], off
	s_waitcnt vmcnt(0)
	v_cmp_u_f32_e32 vcc_lo, v3, v3
	v_cmp_ge_f32_e64 s2, v2, v3
	s_or_b32 s2, vcc_lo, s2
	s_delay_alu instid0(SALU_CYCLE_1)
	s_and_b32 s11, s2, exec_lo
	s_mov_b32 s2, -1
	s_or_b32 s9, s9, s11
.LBB35_109:                             ;   in Loop: Header=BB35_107 Depth=1
	s_or_b32 exec_lo, exec_lo, s10
	s_mov_b32 s10, -1
	s_and_saveexec_b32 s11, s9
	s_cbranch_execz .LBB35_106
; %bb.110:                              ;   in Loop: Header=BB35_107 Depth=1
	v_add_nc_u32_e32 v0, s46, v0
	s_and_not1_b32 s2, s2, exec_lo
	s_delay_alu instid0(VALU_DEP_1)
	v_cmp_le_u32_e32 vcc_lo, s4, v0
	s_or_not1_b32 s10, vcc_lo, exec_lo
	s_branch .LBB35_106
.LBB35_111:
	s_mov_b32 s2, 0
	s_branch .LBB35_114
.LBB35_112:
	s_set_inst_prefetch_distance 0x2
	s_or_b32 exec_lo, exec_lo, s6
	s_delay_alu instid0(SALU_CYCLE_1)
	s_mov_b32 s2, exec_lo
	s_or_not1_b32 s5, s7, exec_lo
.LBB35_113:
	s_or_b32 exec_lo, exec_lo, s3
.LBB35_114:
	s_and_saveexec_b32 s3, s5
	s_cbranch_execz .LBB35_116
; %bb.115:
	s_mov_b32 s58, exec_lo
	s_barrier
	s_and_not1_b32 s2, s2, exec_lo
	buffer_gl0_inv
.LBB35_116:
	s_or_b32 exec_lo, exec_lo, s3
	s_mov_b32 s54, 0
	s_and_saveexec_b32 s59, s2
	s_cbranch_execz .LBB35_118
; %bb.117:
	s_add_u32 s8, s0, 0x90
	s_addc_u32 s9, s1, 0
	s_getpc_b64 s[2:3]
	s_add_u32 s2, s2, __PRETTY_FUNCTION__._ZN9rocsolver6v33100L21shell_sort_descendingIfiEEvT0_PT_PS2_@rel32@lo+4
	s_addc_u32 s3, s3, __PRETTY_FUNCTION__._ZN9rocsolver6v33100L21shell_sort_descendingIfiEEvT0_PT_PS2_@rel32@hi+12
	s_delay_alu instid0(SALU_CYCLE_1)
	v_dual_mov_b32 v0, s2 :: v_dual_mov_b32 v1, s3
	s_getpc_b64 s[4:5]
	s_add_u32 s4, s4, __assert_fail@rel32@lo+4
	s_addc_u32 s5, s5, __assert_fail@rel32@hi+12
	s_mov_b64 s[54:55], s[0:1]
	s_swappc_b64 s[30:31], s[4:5]
	s_mov_b64 s[0:1], s[54:55]
	s_mov_b32 s54, exec_lo
.LBB35_118:
	s_or_b32 exec_lo, exec_lo, s59
.LBB35_119:
	s_and_saveexec_b32 s18, s58
	s_cbranch_execz .LBB35_143
; %bb.120:
	s_and_not1_b32 vcc_lo, exec_lo, s57
	s_waitcnt_vscnt null, 0x0
	s_barrier
	buffer_gl0_inv
	s_cbranch_vccnz .LBB35_142
; %bb.121:
	s_cmp_gt_i32 s25, 0
	v_cmp_eq_u32_e64 s2, 0, v41
	s_cselect_b32 s19, -1, 0
	s_ashr_i32 s20, s47, 31
	s_cmp_gt_i32 s26, 0
	v_cmp_gt_u32_e64 s3, s25, v41
	v_cmp_gt_u32_e64 s4, s26, v41
	;; [unrolled: 1-line block ×3, first 2 shown]
	v_mov_b32_e32 v1, 0
	s_mov_b32 s7, 0
	s_cselect_b32 s31, -1, 0
	s_cmp_gt_i32 s27, 0
	s_mov_b32 s30, s47
	s_mov_b32 s33, s43
	s_cselect_b32 s55, -1, 0
	s_ashr_i32 s56, s49, 31
	s_mov_b32 s57, s49
	s_mov_b32 s6, s7
	s_branch .LBB35_123
.LBB35_122:                             ;   in Loop: Header=BB35_123 Depth=1
	s_add_i32 s6, s6, 1
	s_delay_alu instid0(SALU_CYCLE_1)
	s_cmp_eq_u32 s6, s24
	s_cbranch_scc1 .LBB35_142
.LBB35_123:                             ; =>This Loop Header: Depth=1
                                        ;     Child Loop BB35_126 Depth 2
                                        ;       Child Loop BB35_131 Depth 3
                                        ;       Child Loop BB35_136 Depth 3
	;; [unrolled: 1-line block ×3, first 2 shown]
	s_lshl_b64 s[8:9], s[6:7], 2
	s_delay_alu instid0(SALU_CYCLE_1)
	s_add_u32 s8, s40, s8
	s_addc_u32 s9, s41, s9
	global_load_b32 v0, v1, s[8:9]
	s_waitcnt vmcnt(0)
	v_cmp_eq_u32_e32 vcc_lo, s6, v0
	v_readfirstlane_b32 s14, v0
	s_cbranch_vccz .LBB35_126
	s_branch .LBB35_122
.LBB35_124:                             ;   in Loop: Header=BB35_126 Depth=2
	s_or_b32 exec_lo, exec_lo, s14
	s_waitcnt lgkmcnt(0)
	s_waitcnt_vscnt null, 0x0
	s_barrier
	buffer_gl0_inv
.LBB35_125:                             ;   in Loop: Header=BB35_126 Depth=2
	global_load_b32 v0, v1, s[8:9]
	s_waitcnt vmcnt(0)
	v_cmp_ne_u32_e32 vcc_lo, s6, v0
	v_readfirstlane_b32 s14, v0
	s_cbranch_vccz .LBB35_122
.LBB35_126:                             ;   Parent Loop BB35_123 Depth=1
                                        ; =>  This Loop Header: Depth=2
                                        ;       Child Loop BB35_131 Depth 3
                                        ;       Child Loop BB35_136 Depth 3
                                        ;       Child Loop BB35_141 Depth 3
	s_delay_alu instid0(VALU_DEP_1) | instskip(NEXT) | instid1(SALU_CYCLE_1)
	s_ashr_i32 s15, s14, 31
	s_lshl_b64 s[10:11], s[14:15], 2
	s_delay_alu instid0(SALU_CYCLE_1)
	s_add_u32 s16, s40, s10
	s_addc_u32 s17, s41, s11
	global_load_b32 v0, v1, s[16:17]
	s_waitcnt vmcnt(0)
	s_barrier
	buffer_gl0_inv
	v_readfirstlane_b32 s12, v0
	s_and_saveexec_b32 s13, s2
; %bb.127:                              ;   in Loop: Header=BB35_126 Depth=2
	v_mov_b32_e32 v0, s14
	s_delay_alu instid0(VALU_DEP_2)
	v_mov_b32_e32 v2, s12
	s_clause 0x1
	global_store_b32 v1, v0, s[16:17]
	global_store_b32 v1, v2, s[8:9]
; %bb.128:                              ;   in Loop: Header=BB35_126 Depth=2
	s_or_b32 exec_lo, exec_lo, s13
	s_delay_alu instid0(SALU_CYCLE_1)
	s_and_not1_b32 vcc_lo, exec_lo, s19
	s_waitcnt_vscnt null, 0x0
	s_barrier
	buffer_gl0_inv
	s_cbranch_vccnz .LBB35_133
; %bb.129:                              ;   in Loop: Header=BB35_126 Depth=2
	s_and_saveexec_b32 s15, s3
	s_cbranch_execz .LBB35_132
; %bb.130:                              ;   in Loop: Header=BB35_126 Depth=2
	v_mov_b32_e32 v0, v41
	s_ashr_i32 s13, s12, 31
	s_mov_b32 s58, 0
	s_lshl_b64 s[16:17], s[12:13], 2
	.p2align	6
.LBB35_131:                             ;   Parent Loop BB35_123 Depth=1
                                        ;     Parent Loop BB35_126 Depth=2
                                        ; =>    This Inner Loop Header: Depth=3
	s_delay_alu instid0(VALU_DEP_1) | instskip(NEXT) | instid1(VALU_DEP_1)
	v_mad_u64_u32 v[2:3], null, v0, s30, 0
	v_mad_u64_u32 v[4:5], null, v0, s20, v[3:4]
	s_delay_alu instid0(VALU_DEP_1) | instskip(NEXT) | instid1(VALU_DEP_1)
	v_dual_mov_b32 v3, v4 :: v_dual_add_nc_u32 v0, s46, v0
	v_lshlrev_b64 v[2:3], 2, v[2:3]
	s_delay_alu instid0(VALU_DEP_1) | instskip(NEXT) | instid1(VALU_DEP_2)
	v_add_co_u32 v4, vcc_lo, s34, v2
	v_add_co_ci_u32_e32 v5, vcc_lo, s35, v3, vcc_lo
	s_delay_alu instid0(VALU_DEP_2) | instskip(NEXT) | instid1(VALU_DEP_2)
	v_add_co_u32 v2, vcc_lo, v4, s16
	v_add_co_ci_u32_e32 v3, vcc_lo, s17, v5, vcc_lo
	v_add_co_u32 v4, vcc_lo, v4, s10
	v_add_co_ci_u32_e32 v5, vcc_lo, s11, v5, vcc_lo
	v_cmp_le_u32_e32 vcc_lo, s25, v0
	s_clause 0x1
	flat_load_b32 v6, v[2:3]
	flat_load_b32 v7, v[4:5]
	s_waitcnt vmcnt(1) lgkmcnt(1)
	flat_store_b32 v[4:5], v6
	s_waitcnt vmcnt(0) lgkmcnt(1)
	flat_store_b32 v[2:3], v7
	s_or_b32 s58, vcc_lo, s58
	s_delay_alu instid0(SALU_CYCLE_1)
	s_and_not1_b32 exec_lo, exec_lo, s58
	s_cbranch_execnz .LBB35_131
.LBB35_132:                             ;   in Loop: Header=BB35_126 Depth=2
	s_or_b32 exec_lo, exec_lo, s15
	s_waitcnt lgkmcnt(0)
	s_waitcnt_vscnt null, 0x0
	s_barrier
	buffer_gl0_inv
.LBB35_133:                             ;   in Loop: Header=BB35_126 Depth=2
	s_and_not1_b32 vcc_lo, exec_lo, s31
	s_cbranch_vccnz .LBB35_138
; %bb.134:                              ;   in Loop: Header=BB35_126 Depth=2
	s_and_saveexec_b32 s13, s4
	s_cbranch_execz .LBB35_137
; %bb.135:                              ;   in Loop: Header=BB35_126 Depth=2
	s_mul_hi_i32 s15, s14, s33
	s_mul_i32 s14, s14, s33
	s_mul_hi_i32 s17, s12, s33
	s_lshl_b64 s[14:15], s[14:15], 2
	s_mul_i32 s16, s12, s33
	s_add_u32 s14, s28, s14
	s_addc_u32 s15, s29, s15
	s_lshl_b64 s[16:17], s[16:17], 2
	v_mov_b32_e32 v0, v41
	s_add_u32 s16, s28, s16
	s_addc_u32 s17, s29, s17
	s_mov_b32 s58, 0
	.p2align	6
.LBB35_136:                             ;   Parent Loop BB35_123 Depth=1
                                        ;     Parent Loop BB35_126 Depth=2
                                        ; =>    This Inner Loop Header: Depth=3
	s_delay_alu instid0(VALU_DEP_1) | instskip(SKIP_1) | instid1(VALU_DEP_2)
	v_lshlrev_b64 v[2:3], 2, v[0:1]
	v_add_nc_u32_e32 v0, s46, v0
	v_add_co_u32 v4, vcc_lo, s16, v2
	s_delay_alu instid0(VALU_DEP_3)
	v_add_co_ci_u32_e32 v5, vcc_lo, s17, v3, vcc_lo
	v_add_co_u32 v2, vcc_lo, s14, v2
	v_add_co_ci_u32_e32 v3, vcc_lo, s15, v3, vcc_lo
	v_cmp_le_u32_e32 vcc_lo, s26, v0
	s_clause 0x1
	flat_load_b32 v6, v[4:5]
	flat_load_b32 v7, v[2:3]
	s_waitcnt vmcnt(1) lgkmcnt(1)
	flat_store_b32 v[2:3], v6
	s_waitcnt vmcnt(0) lgkmcnt(1)
	flat_store_b32 v[4:5], v7
	s_or_b32 s58, vcc_lo, s58
	s_delay_alu instid0(SALU_CYCLE_1)
	s_and_not1_b32 exec_lo, exec_lo, s58
	s_cbranch_execnz .LBB35_136
.LBB35_137:                             ;   in Loop: Header=BB35_126 Depth=2
	s_or_b32 exec_lo, exec_lo, s13
	s_waitcnt lgkmcnt(0)
	s_waitcnt_vscnt null, 0x0
	s_barrier
	buffer_gl0_inv
.LBB35_138:                             ;   in Loop: Header=BB35_126 Depth=2
	s_and_not1_b32 vcc_lo, exec_lo, s55
	s_cbranch_vccnz .LBB35_125
; %bb.139:                              ;   in Loop: Header=BB35_126 Depth=2
	s_and_saveexec_b32 s14, s5
	s_cbranch_execz .LBB35_124
; %bb.140:                              ;   in Loop: Header=BB35_126 Depth=2
	v_mov_b32_e32 v0, v41
	s_ashr_i32 s13, s12, 31
	s_mov_b32 s15, 0
	s_lshl_b64 s[12:13], s[12:13], 2
	.p2align	6
.LBB35_141:                             ;   Parent Loop BB35_123 Depth=1
                                        ;     Parent Loop BB35_126 Depth=2
                                        ; =>    This Inner Loop Header: Depth=3
	s_delay_alu instid0(VALU_DEP_1) | instskip(NEXT) | instid1(VALU_DEP_1)
	v_mad_u64_u32 v[2:3], null, v0, s57, 0
	v_mad_u64_u32 v[4:5], null, v0, s56, v[3:4]
	s_delay_alu instid0(VALU_DEP_1) | instskip(NEXT) | instid1(VALU_DEP_1)
	v_dual_mov_b32 v3, v4 :: v_dual_add_nc_u32 v0, s46, v0
	v_lshlrev_b64 v[2:3], 2, v[2:3]
	s_delay_alu instid0(VALU_DEP_1) | instskip(NEXT) | instid1(VALU_DEP_2)
	v_add_co_u32 v4, vcc_lo, s44, v2
	v_add_co_ci_u32_e32 v5, vcc_lo, s45, v3, vcc_lo
	s_delay_alu instid0(VALU_DEP_2) | instskip(NEXT) | instid1(VALU_DEP_2)
	v_add_co_u32 v2, vcc_lo, v4, s12
	v_add_co_ci_u32_e32 v3, vcc_lo, s13, v5, vcc_lo
	v_add_co_u32 v4, vcc_lo, v4, s10
	v_add_co_ci_u32_e32 v5, vcc_lo, s11, v5, vcc_lo
	v_cmp_le_u32_e32 vcc_lo, s27, v0
	s_clause 0x1
	flat_load_b32 v6, v[2:3]
	flat_load_b32 v7, v[4:5]
	s_waitcnt vmcnt(1) lgkmcnt(1)
	flat_store_b32 v[4:5], v6
	s_waitcnt vmcnt(0) lgkmcnt(1)
	flat_store_b32 v[2:3], v7
	s_or_b32 s15, vcc_lo, s15
	s_delay_alu instid0(SALU_CYCLE_1)
	s_and_not1_b32 exec_lo, exec_lo, s15
	s_cbranch_execnz .LBB35_141
	s_branch .LBB35_124
.LBB35_142:
	s_mov_b32 s56, exec_lo
.LBB35_143:
	s_or_b32 exec_lo, exec_lo, s18
	s_branch .LBB35_232
.LBB35_144:
	s_and_b32 vcc_lo, exec_lo, s48
	s_mov_b32 s56, -1
	s_cbranch_vccz .LBB35_232
; %bb.145:
	v_or3_b32 v0, v43, v42, v44
	s_mov_b32 s16, exec_lo
	s_waitcnt_vscnt null, 0x0
	s_barrier
	buffer_gl0_inv
	s_barrier
	buffer_gl0_inv
	v_cmpx_eq_u32_e32 0, v0
	s_cbranch_execz .LBB35_216
; %bb.146:
	s_cmpk_lt_u32 s24, 0x2be
	s_cbranch_scc1 .LBB35_155
; %bb.147:
	v_mov_b32_e32 v0, 0
	s_mov_b64 s[2:3], 0x2bd
	s_mov_b32 s5, 0
	s_mov_b64 s[6:7], s[36:37]
	s_set_inst_prefetch_distance 0x1
	s_branch .LBB35_149
	.p2align	6
.LBB35_148:                             ;   in Loop: Header=BB35_149 Depth=1
	s_lshl_b64 s[8:9], s[8:9], 2
	s_delay_alu instid0(SALU_CYCLE_1)
	s_add_u32 s8, s36, s8
	s_addc_u32 s9, s37, s9
	s_add_u32 s2, s2, 1
	s_addc_u32 s3, s3, 0
	;; [unrolled: 2-line block ×3, first 2 shown]
	s_cmp_eq_u32 s2, s24
	global_store_b32 v0, v1, s[8:9]
	s_cbranch_scc1 .LBB35_155
.LBB35_149:                             ; =>This Loop Header: Depth=1
                                        ;     Child Loop BB35_151 Depth 2
	s_mov_b32 s4, s2
	s_mov_b64 s[10:11], s[6:7]
	s_lshl_b64 s[8:9], s[4:5], 2
	s_delay_alu instid0(SALU_CYCLE_1)
	s_add_u32 s8, s36, s8
	s_addc_u32 s9, s37, s9
	global_load_b32 v1, v0, s[8:9]
	s_mov_b64 s[8:9], s[2:3]
	s_branch .LBB35_151
	.p2align	6
.LBB35_150:                             ;   in Loop: Header=BB35_151 Depth=2
	s_add_u32 s12, s8, 0xfffffd43
	s_addc_u32 s13, s9, -1
	global_store_b32 v0, v2, s[10:11] offset:2804
	s_add_u32 s10, s10, 0xfffff50c
	s_addc_u32 s11, s11, -1
	s_cmpk_lt_i32 s8, 0x57a
	s_mov_b32 s4, 0
	s_cselect_b32 s14, -1, 0
	s_mov_b64 s[8:9], s[12:13]
	s_and_not1_b32 vcc_lo, exec_lo, s14
	s_cbranch_vccz .LBB35_153
.LBB35_151:                             ;   Parent Loop BB35_149 Depth=1
                                        ; =>  This Inner Loop Header: Depth=2
	global_load_b32 v2, v0, s[10:11]
	s_mov_b32 s4, -1
	s_waitcnt vmcnt(0)
	v_cmp_nlt_f32_e32 vcc_lo, v2, v1
	s_cbranch_vccz .LBB35_150
; %bb.152:                              ;   in Loop: Header=BB35_149 Depth=1
                                        ; implicit-def: $sgpr10_sgpr11
                                        ; implicit-def: $sgpr12_sgpr13
.LBB35_153:                             ;   in Loop: Header=BB35_149 Depth=1
	s_and_not1_b32 vcc_lo, exec_lo, s4
	s_cbranch_vccz .LBB35_148
; %bb.154:                              ;   in Loop: Header=BB35_149 Depth=1
	s_bfe_i64 s[8:9], s[12:13], 0x200000
	s_branch .LBB35_148
.LBB35_155:
	s_set_inst_prefetch_distance 0x2
	s_cmpk_lt_i32 s24, 0x12e
	s_cbranch_scc1 .LBB35_164
; %bb.156:
	v_mov_b32_e32 v0, 0
	s_mov_b64 s[2:3], 0x12d
	s_mov_b32 s5, 0
	s_mov_b64 s[6:7], s[36:37]
	s_set_inst_prefetch_distance 0x1
	s_branch .LBB35_158
	.p2align	6
.LBB35_157:                             ;   in Loop: Header=BB35_158 Depth=1
	s_lshl_b64 s[8:9], s[8:9], 2
	s_delay_alu instid0(SALU_CYCLE_1)
	s_add_u32 s8, s36, s8
	s_addc_u32 s9, s37, s9
	s_add_u32 s2, s2, 1
	s_addc_u32 s3, s3, 0
	;; [unrolled: 2-line block ×3, first 2 shown]
	s_cmp_lg_u32 s2, s24
	global_store_b32 v0, v1, s[8:9]
	s_cbranch_scc0 .LBB35_164
.LBB35_158:                             ; =>This Loop Header: Depth=1
                                        ;     Child Loop BB35_160 Depth 2
	s_mov_b32 s4, s2
	s_mov_b64 s[10:11], s[6:7]
	s_lshl_b64 s[8:9], s[4:5], 2
	s_delay_alu instid0(SALU_CYCLE_1)
	s_add_u32 s8, s36, s8
	s_addc_u32 s9, s37, s9
	global_load_b32 v1, v0, s[8:9]
	s_mov_b64 s[8:9], s[2:3]
	s_branch .LBB35_160
	.p2align	6
.LBB35_159:                             ;   in Loop: Header=BB35_160 Depth=2
	s_add_u32 s12, s8, 0xfffffed3
	s_addc_u32 s13, s9, -1
	global_store_b32 v0, v2, s[10:11] offset:1204
	s_add_u32 s10, s10, 0xfffffb4c
	s_addc_u32 s11, s11, -1
	s_cmpk_lt_i32 s8, 0x25a
	s_mov_b32 s4, 0
	s_cselect_b32 s14, -1, 0
	s_mov_b64 s[8:9], s[12:13]
	s_and_not1_b32 vcc_lo, exec_lo, s14
	s_cbranch_vccz .LBB35_162
.LBB35_160:                             ;   Parent Loop BB35_158 Depth=1
                                        ; =>  This Inner Loop Header: Depth=2
	global_load_b32 v2, v0, s[10:11]
	s_mov_b32 s4, -1
	s_waitcnt vmcnt(0)
	v_cmp_nlt_f32_e32 vcc_lo, v2, v1
	s_cbranch_vccz .LBB35_159
; %bb.161:                              ;   in Loop: Header=BB35_158 Depth=1
                                        ; implicit-def: $sgpr10_sgpr11
                                        ; implicit-def: $sgpr12_sgpr13
.LBB35_162:                             ;   in Loop: Header=BB35_158 Depth=1
	s_and_not1_b32 vcc_lo, exec_lo, s4
	s_cbranch_vccz .LBB35_157
; %bb.163:                              ;   in Loop: Header=BB35_158 Depth=1
	s_bfe_i64 s[8:9], s[12:13], 0x200000
	s_branch .LBB35_157
.LBB35_164:
	s_set_inst_prefetch_distance 0x2
	s_cmpk_lt_i32 s24, 0x85
	s_cbranch_scc1 .LBB35_173
; %bb.165:
	v_mov_b32_e32 v0, 0
	s_mov_b64 s[2:3], 0x84
	s_mov_b32 s5, 0
	s_mov_b64 s[6:7], s[36:37]
	s_set_inst_prefetch_distance 0x1
	s_branch .LBB35_167
	.p2align	6
.LBB35_166:                             ;   in Loop: Header=BB35_167 Depth=1
	s_lshl_b64 s[8:9], s[8:9], 2
	s_delay_alu instid0(SALU_CYCLE_1)
	s_add_u32 s8, s36, s8
	s_addc_u32 s9, s37, s9
	s_add_u32 s2, s2, 1
	s_addc_u32 s3, s3, 0
	;; [unrolled: 2-line block ×3, first 2 shown]
	s_cmp_lg_u32 s2, s24
	global_store_b32 v0, v1, s[8:9]
	s_cbranch_scc0 .LBB35_173
.LBB35_167:                             ; =>This Loop Header: Depth=1
                                        ;     Child Loop BB35_169 Depth 2
	s_mov_b32 s4, s2
	s_mov_b64 s[10:11], s[6:7]
	s_lshl_b64 s[8:9], s[4:5], 2
	s_delay_alu instid0(SALU_CYCLE_1)
	s_add_u32 s8, s36, s8
	s_addc_u32 s9, s37, s9
	global_load_b32 v1, v0, s[8:9]
	s_mov_b64 s[8:9], s[2:3]
	s_branch .LBB35_169
	.p2align	6
.LBB35_168:                             ;   in Loop: Header=BB35_169 Depth=2
	s_add_u32 s12, s8, 0xffffff7c
	s_addc_u32 s13, s9, -1
	global_store_b32 v0, v2, s[10:11] offset:528
	s_add_u32 s10, s10, 0xfffffdf0
	s_addc_u32 s11, s11, -1
	s_cmpk_lt_i32 s8, 0x108
	s_mov_b32 s4, 0
	s_cselect_b32 s14, -1, 0
	s_mov_b64 s[8:9], s[12:13]
	s_and_not1_b32 vcc_lo, exec_lo, s14
	s_cbranch_vccz .LBB35_171
.LBB35_169:                             ;   Parent Loop BB35_167 Depth=1
                                        ; =>  This Inner Loop Header: Depth=2
	global_load_b32 v2, v0, s[10:11]
	s_mov_b32 s4, -1
	s_waitcnt vmcnt(0)
	v_cmp_nlt_f32_e32 vcc_lo, v2, v1
	s_cbranch_vccz .LBB35_168
; %bb.170:                              ;   in Loop: Header=BB35_167 Depth=1
                                        ; implicit-def: $sgpr10_sgpr11
                                        ; implicit-def: $sgpr12_sgpr13
.LBB35_171:                             ;   in Loop: Header=BB35_167 Depth=1
	s_and_not1_b32 vcc_lo, exec_lo, s4
	s_cbranch_vccz .LBB35_166
; %bb.172:                              ;   in Loop: Header=BB35_167 Depth=1
	s_bfe_i64 s[8:9], s[12:13], 0x200000
	s_branch .LBB35_166
.LBB35_173:
	s_set_inst_prefetch_distance 0x2
	s_cmp_lt_i32 s24, 58
	s_cbranch_scc1 .LBB35_182
; %bb.174:
	v_mov_b32_e32 v0, 0
	s_mov_b64 s[2:3], 57
	s_mov_b32 s5, 0
	s_mov_b64 s[6:7], s[36:37]
	s_set_inst_prefetch_distance 0x1
	s_branch .LBB35_176
	.p2align	6
.LBB35_175:                             ;   in Loop: Header=BB35_176 Depth=1
	s_lshl_b64 s[8:9], s[8:9], 2
	s_delay_alu instid0(SALU_CYCLE_1)
	s_add_u32 s8, s36, s8
	s_addc_u32 s9, s37, s9
	s_add_u32 s2, s2, 1
	s_addc_u32 s3, s3, 0
	;; [unrolled: 2-line block ×3, first 2 shown]
	s_cmp_lg_u32 s2, s24
	global_store_b32 v0, v1, s[8:9]
	s_cbranch_scc0 .LBB35_182
.LBB35_176:                             ; =>This Loop Header: Depth=1
                                        ;     Child Loop BB35_178 Depth 2
	s_mov_b32 s4, s2
	s_mov_b64 s[10:11], s[6:7]
	s_lshl_b64 s[8:9], s[4:5], 2
	s_delay_alu instid0(SALU_CYCLE_1)
	s_add_u32 s8, s36, s8
	s_addc_u32 s9, s37, s9
	global_load_b32 v1, v0, s[8:9]
	s_mov_b64 s[8:9], s[2:3]
	s_branch .LBB35_178
	.p2align	6
.LBB35_177:                             ;   in Loop: Header=BB35_178 Depth=2
	s_add_u32 s12, s8, 0xffffffc7
	s_addc_u32 s13, s9, -1
	global_store_b32 v0, v2, s[10:11] offset:228
	s_add_u32 s10, s10, 0xffffff1c
	s_addc_u32 s11, s11, -1
	s_cmpk_lt_i32 s8, 0x72
	s_mov_b32 s4, 0
	s_cselect_b32 s14, -1, 0
	s_mov_b64 s[8:9], s[12:13]
	s_and_not1_b32 vcc_lo, exec_lo, s14
	s_cbranch_vccz .LBB35_180
.LBB35_178:                             ;   Parent Loop BB35_176 Depth=1
                                        ; =>  This Inner Loop Header: Depth=2
	global_load_b32 v2, v0, s[10:11]
	s_mov_b32 s4, -1
	s_waitcnt vmcnt(0)
	v_cmp_nlt_f32_e32 vcc_lo, v2, v1
	s_cbranch_vccz .LBB35_177
; %bb.179:                              ;   in Loop: Header=BB35_176 Depth=1
                                        ; implicit-def: $sgpr10_sgpr11
                                        ; implicit-def: $sgpr12_sgpr13
.LBB35_180:                             ;   in Loop: Header=BB35_176 Depth=1
	s_and_not1_b32 vcc_lo, exec_lo, s4
	s_cbranch_vccz .LBB35_175
; %bb.181:                              ;   in Loop: Header=BB35_176 Depth=1
	s_bfe_i64 s[8:9], s[12:13], 0x200000
	s_branch .LBB35_175
.LBB35_182:
	s_set_inst_prefetch_distance 0x2
	s_cmp_lt_i32 s24, 24
	s_cbranch_scc1 .LBB35_191
; %bb.183:
	v_mov_b32_e32 v0, 0
	s_mov_b64 s[2:3], 23
	s_mov_b32 s5, 0
	s_mov_b64 s[6:7], s[36:37]
	s_set_inst_prefetch_distance 0x1
	s_branch .LBB35_185
	.p2align	6
.LBB35_184:                             ;   in Loop: Header=BB35_185 Depth=1
	s_lshl_b64 s[8:9], s[8:9], 2
	s_delay_alu instid0(SALU_CYCLE_1)
	s_add_u32 s8, s36, s8
	s_addc_u32 s9, s37, s9
	s_add_u32 s2, s2, 1
	s_addc_u32 s3, s3, 0
	;; [unrolled: 2-line block ×3, first 2 shown]
	s_cmp_lg_u32 s2, s24
	global_store_b32 v0, v1, s[8:9]
	s_cbranch_scc0 .LBB35_191
.LBB35_185:                             ; =>This Loop Header: Depth=1
                                        ;     Child Loop BB35_187 Depth 2
	s_mov_b32 s4, s2
	s_mov_b64 s[10:11], s[6:7]
	s_lshl_b64 s[8:9], s[4:5], 2
	s_delay_alu instid0(SALU_CYCLE_1)
	s_add_u32 s8, s36, s8
	s_addc_u32 s9, s37, s9
	global_load_b32 v1, v0, s[8:9]
	s_mov_b64 s[8:9], s[2:3]
	s_branch .LBB35_187
	.p2align	6
.LBB35_186:                             ;   in Loop: Header=BB35_187 Depth=2
	s_add_u32 s12, s8, 0xffffffe9
	s_addc_u32 s13, s9, -1
	global_store_b32 v0, v2, s[10:11] offset:92
	s_add_u32 s10, s10, 0xffffffa4
	s_addc_u32 s11, s11, -1
	s_cmp_lt_i32 s8, 46
	s_mov_b32 s4, 0
	s_cselect_b32 s14, -1, 0
	s_mov_b64 s[8:9], s[12:13]
	s_and_not1_b32 vcc_lo, exec_lo, s14
	s_cbranch_vccz .LBB35_189
.LBB35_187:                             ;   Parent Loop BB35_185 Depth=1
                                        ; =>  This Inner Loop Header: Depth=2
	global_load_b32 v2, v0, s[10:11]
	s_mov_b32 s4, -1
	s_waitcnt vmcnt(0)
	v_cmp_nlt_f32_e32 vcc_lo, v2, v1
	s_cbranch_vccz .LBB35_186
; %bb.188:                              ;   in Loop: Header=BB35_185 Depth=1
                                        ; implicit-def: $sgpr10_sgpr11
                                        ; implicit-def: $sgpr12_sgpr13
.LBB35_189:                             ;   in Loop: Header=BB35_185 Depth=1
	s_and_not1_b32 vcc_lo, exec_lo, s4
	s_cbranch_vccz .LBB35_184
; %bb.190:                              ;   in Loop: Header=BB35_185 Depth=1
	s_bfe_i64 s[8:9], s[12:13], 0x200000
	s_branch .LBB35_184
.LBB35_191:
	s_set_inst_prefetch_distance 0x2
	s_cmp_lt_i32 s24, 11
	s_cbranch_scc1 .LBB35_200
; %bb.192:
	v_mov_b32_e32 v0, 0
	s_mov_b64 s[2:3], 10
	s_mov_b32 s5, 0
	s_mov_b64 s[6:7], s[36:37]
	s_set_inst_prefetch_distance 0x1
	s_branch .LBB35_194
	.p2align	6
.LBB35_193:                             ;   in Loop: Header=BB35_194 Depth=1
	s_lshl_b64 s[8:9], s[8:9], 2
	s_delay_alu instid0(SALU_CYCLE_1)
	s_add_u32 s8, s36, s8
	s_addc_u32 s9, s37, s9
	s_add_u32 s2, s2, 1
	s_addc_u32 s3, s3, 0
	;; [unrolled: 2-line block ×3, first 2 shown]
	s_cmp_lg_u32 s2, s24
	global_store_b32 v0, v1, s[8:9]
	s_cbranch_scc0 .LBB35_200
.LBB35_194:                             ; =>This Loop Header: Depth=1
                                        ;     Child Loop BB35_196 Depth 2
	s_mov_b32 s4, s2
	s_mov_b64 s[10:11], s[6:7]
	s_lshl_b64 s[8:9], s[4:5], 2
	s_delay_alu instid0(SALU_CYCLE_1)
	s_add_u32 s8, s36, s8
	s_addc_u32 s9, s37, s9
	global_load_b32 v1, v0, s[8:9]
	s_mov_b64 s[8:9], s[2:3]
	s_branch .LBB35_196
	.p2align	6
.LBB35_195:                             ;   in Loop: Header=BB35_196 Depth=2
	s_add_u32 s12, s8, -10
	s_addc_u32 s13, s9, -1
	global_store_b32 v0, v2, s[10:11] offset:40
	s_add_u32 s10, s10, 0xffffffd8
	s_addc_u32 s11, s11, -1
	s_cmp_lt_i32 s8, 20
	s_mov_b32 s4, 0
	s_cselect_b32 s14, -1, 0
	s_mov_b64 s[8:9], s[12:13]
	s_and_not1_b32 vcc_lo, exec_lo, s14
	s_cbranch_vccz .LBB35_198
.LBB35_196:                             ;   Parent Loop BB35_194 Depth=1
                                        ; =>  This Inner Loop Header: Depth=2
	global_load_b32 v2, v0, s[10:11]
	s_mov_b32 s4, -1
	s_waitcnt vmcnt(0)
	v_cmp_nlt_f32_e32 vcc_lo, v2, v1
	s_cbranch_vccz .LBB35_195
; %bb.197:                              ;   in Loop: Header=BB35_194 Depth=1
                                        ; implicit-def: $sgpr10_sgpr11
                                        ; implicit-def: $sgpr12_sgpr13
.LBB35_198:                             ;   in Loop: Header=BB35_194 Depth=1
	s_and_not1_b32 vcc_lo, exec_lo, s4
	s_cbranch_vccz .LBB35_193
; %bb.199:                              ;   in Loop: Header=BB35_194 Depth=1
	s_bfe_i64 s[8:9], s[12:13], 0x200000
	s_branch .LBB35_193
.LBB35_200:
	s_set_inst_prefetch_distance 0x2
	s_cmp_lt_i32 s24, 5
	s_cbranch_scc1 .LBB35_209
; %bb.201:
	s_add_u32 s2, s50, s52
	v_mov_b32_e32 v0, 0
	s_addc_u32 s3, s51, s53
	s_add_u32 s2, s2, 16
	s_addc_u32 s3, s3, 0
	s_mov_b64 s[4:5], 4
	s_mov_b32 s7, 0
	s_set_inst_prefetch_distance 0x1
	s_branch .LBB35_203
	.p2align	6
.LBB35_202:                             ;   in Loop: Header=BB35_203 Depth=1
	s_lshl_b64 s[8:9], s[8:9], 2
	s_delay_alu instid0(SALU_CYCLE_1)
	s_add_u32 s8, s36, s8
	s_addc_u32 s9, s37, s9
	s_add_u32 s4, s4, 1
	s_addc_u32 s5, s5, 0
	;; [unrolled: 2-line block ×3, first 2 shown]
	s_cmp_lg_u32 s4, s24
	global_store_b32 v0, v1, s[8:9]
	s_cbranch_scc0 .LBB35_209
.LBB35_203:                             ; =>This Loop Header: Depth=1
                                        ;     Child Loop BB35_205 Depth 2
	s_mov_b32 s6, s4
	s_mov_b64 s[10:11], s[2:3]
	s_lshl_b64 s[8:9], s[6:7], 2
	s_delay_alu instid0(SALU_CYCLE_1)
	s_add_u32 s8, s36, s8
	s_addc_u32 s9, s37, s9
	global_load_b32 v1, v0, s[8:9]
	s_mov_b64 s[8:9], s[4:5]
	s_branch .LBB35_205
	.p2align	6
.LBB35_204:                             ;   in Loop: Header=BB35_205 Depth=2
	s_add_u32 s12, s8, -4
	s_addc_u32 s13, s9, -1
	s_cmp_lt_i32 s8, 8
	global_store_b32 v0, v2, s[10:11]
	s_mov_b32 s6, 0
	s_cselect_b32 s17, -1, 0
	s_mov_b64 s[8:9], s[12:13]
	s_mov_b64 s[10:11], s[14:15]
	s_and_not1_b32 vcc_lo, exec_lo, s17
	s_cbranch_vccz .LBB35_207
.LBB35_205:                             ;   Parent Loop BB35_203 Depth=1
                                        ; =>  This Inner Loop Header: Depth=2
	global_load_b32 v2, v0, s[10:11] offset:-16
	s_add_u32 s14, s10, -16
	s_addc_u32 s15, s11, -1
	s_mov_b32 s6, -1
	s_waitcnt vmcnt(0)
	v_cmp_nlt_f32_e32 vcc_lo, v2, v1
	s_cbranch_vccz .LBB35_204
; %bb.206:                              ;   in Loop: Header=BB35_203 Depth=1
                                        ; implicit-def: $sgpr10_sgpr11
                                        ; implicit-def: $sgpr12_sgpr13
.LBB35_207:                             ;   in Loop: Header=BB35_203 Depth=1
	s_and_not1_b32 vcc_lo, exec_lo, s6
	s_cbranch_vccz .LBB35_202
; %bb.208:                              ;   in Loop: Header=BB35_203 Depth=1
	s_bfe_i64 s[8:9], s[12:13], 0x200000
	s_branch .LBB35_202
.LBB35_209:
	s_set_inst_prefetch_distance 0x2
	s_cmp_lt_i32 s24, 2
	s_cbranch_scc1 .LBB35_216
; %bb.210:
	s_add_u32 s2, s50, s52
	v_mov_b32_e32 v0, 0
	s_addc_u32 s3, s51, s53
	s_add_u32 s2, s2, 4
	s_addc_u32 s3, s3, 0
	s_mov_b64 s[4:5], 1
	s_mov_b32 s7, 0
	s_set_inst_prefetch_distance 0x1
	s_branch .LBB35_212
	.p2align	6
.LBB35_211:                             ;   in Loop: Header=BB35_212 Depth=1
	s_lshl_b64 s[8:9], s[12:13], 2
	s_delay_alu instid0(SALU_CYCLE_1)
	s_add_u32 s8, s36, s8
	s_addc_u32 s9, s37, s9
	s_add_u32 s4, s4, 1
	s_addc_u32 s5, s5, 0
	s_add_u32 s2, s2, 4
	s_addc_u32 s3, s3, 0
	s_cmp_eq_u32 s4, s24
	global_store_b32 v0, v1, s[8:9]
	s_cbranch_scc1 .LBB35_216
.LBB35_212:                             ; =>This Loop Header: Depth=1
                                        ;     Child Loop BB35_214 Depth 2
	s_mov_b32 s6, s4
	s_mov_b64 s[10:11], s[2:3]
	s_lshl_b64 s[8:9], s[6:7], 2
	s_delay_alu instid0(SALU_CYCLE_1)
	s_add_u32 s8, s36, s8
	s_addc_u32 s9, s37, s9
	global_load_b32 v1, v0, s[8:9]
	s_mov_b64 s[8:9], s[4:5]
	s_branch .LBB35_214
	.p2align	6
.LBB35_213:                             ;   in Loop: Header=BB35_214 Depth=2
	global_store_b32 v0, v2, s[10:11]
	s_add_u32 s10, s8, -1
	s_addc_u32 s11, s9, -1
	s_cmp_lt_i32 s8, 2
	s_mov_b64 s[12:13], 0
	s_cselect_b32 s6, -1, 0
	s_mov_b64 s[8:9], s[10:11]
	s_mov_b64 s[10:11], s[14:15]
	s_and_not1_b32 vcc_lo, exec_lo, s6
	s_cbranch_vccz .LBB35_211
.LBB35_214:                             ;   Parent Loop BB35_212 Depth=1
                                        ; =>  This Inner Loop Header: Depth=2
	global_load_b32 v2, v0, s[10:11] offset:-4
	s_add_u32 s14, s10, -4
	s_addc_u32 s15, s11, -1
	s_mov_b32 s6, -1
	s_waitcnt vmcnt(0)
	v_cmp_nlt_f32_e32 vcc_lo, v2, v1
	s_cbranch_vccz .LBB35_213
; %bb.215:                              ;   in Loop: Header=BB35_214 Depth=2
	s_mov_b64 s[12:13], s[8:9]
                                        ; implicit-def: $sgpr10_sgpr11
	s_and_not1_b32 vcc_lo, exec_lo, s6
	s_cbranch_vccnz .LBB35_214
	s_branch .LBB35_211
.LBB35_216:
	s_set_inst_prefetch_distance 0x2
	s_or_b32 exec_lo, exec_lo, s16
	s_cmp_lt_i32 s24, 2
	s_mov_b32 s56, 0
	s_cselect_b32 s5, -1, 0
	s_waitcnt_vscnt null, 0x0
	s_and_b32 vcc_lo, exec_lo, s5
	s_barrier
	buffer_gl0_inv
	s_cbranch_vccnz .LBB35_224
; %bb.217:
	s_add_i32 s4, s24, -1
	s_mov_b32 s5, -1
	s_mov_b32 s2, 0
	s_mov_b32 s3, exec_lo
	v_cmpx_gt_u32_e64 s4, v41
	s_cbranch_execz .LBB35_226
; %bb.218:
	v_dual_mov_b32 v1, 0 :: v_dual_mov_b32 v0, v41
	s_add_u32 s5, s36, 4
	s_addc_u32 s8, s37, 0
	s_mov_b32 s6, 0
                                        ; implicit-def: $sgpr7
	s_set_inst_prefetch_distance 0x1
	s_branch .LBB35_220
	.p2align	6
.LBB35_219:                             ;   in Loop: Header=BB35_220 Depth=1
	s_or_b32 exec_lo, exec_lo, s11
	s_xor_b32 s2, s2, -1
	s_and_b32 s9, exec_lo, s10
	s_delay_alu instid0(SALU_CYCLE_1) | instskip(SKIP_2) | instid1(SALU_CYCLE_1)
	s_or_b32 s6, s9, s6
	s_and_not1_b32 s7, s7, exec_lo
	s_and_b32 s2, s2, exec_lo
	s_or_b32 s7, s7, s2
	s_and_not1_b32 exec_lo, exec_lo, s6
	s_cbranch_execz .LBB35_225
.LBB35_220:                             ; =>This Inner Loop Header: Depth=1
	v_lshlrev_b64 v[2:3], 2, v[0:1]
	s_mov_b32 s10, exec_lo
                                        ; implicit-def: $sgpr2
	s_delay_alu instid0(VALU_DEP_1) | instskip(NEXT) | instid1(VALU_DEP_2)
	v_add_co_u32 v2, vcc_lo, s36, v2
	v_add_co_ci_u32_e32 v3, vcc_lo, s37, v3, vcc_lo
	global_load_b32 v2, v[2:3], off
	s_waitcnt vmcnt(0)
	v_cmp_u_f32_e64 s9, v2, v2
	v_cmpx_o_f32_e32 v2, v2
	s_cbranch_execz .LBB35_222
; %bb.221:                              ;   in Loop: Header=BB35_220 Depth=1
	v_ashrrev_i32_e32 v4, 31, v0
	v_mov_b32_e32 v3, v0
	s_and_not1_b32 s9, s9, exec_lo
	s_delay_alu instid0(VALU_DEP_1) | instskip(NEXT) | instid1(VALU_DEP_1)
	v_lshlrev_b64 v[3:4], 2, v[3:4]
	v_add_co_u32 v3, vcc_lo, s5, v3
	s_delay_alu instid0(VALU_DEP_2) | instskip(SKIP_4) | instid1(VALU_DEP_1)
	v_add_co_ci_u32_e32 v4, vcc_lo, s8, v4, vcc_lo
	global_load_b32 v3, v[3:4], off
	s_waitcnt vmcnt(0)
	v_cmp_u_f32_e32 vcc_lo, v3, v3
	v_cmp_ge_f32_e64 s2, v2, v3
	s_or_b32 s2, vcc_lo, s2
	s_delay_alu instid0(SALU_CYCLE_1)
	s_and_b32 s11, s2, exec_lo
	s_mov_b32 s2, -1
	s_or_b32 s9, s9, s11
.LBB35_222:                             ;   in Loop: Header=BB35_220 Depth=1
	s_or_b32 exec_lo, exec_lo, s10
	s_mov_b32 s10, -1
	s_and_saveexec_b32 s11, s9
	s_cbranch_execz .LBB35_219
; %bb.223:                              ;   in Loop: Header=BB35_220 Depth=1
	v_add_nc_u32_e32 v0, s46, v0
	s_and_not1_b32 s2, s2, exec_lo
	s_delay_alu instid0(VALU_DEP_1)
	v_cmp_le_u32_e32 vcc_lo, s4, v0
	s_or_not1_b32 s10, vcc_lo, exec_lo
	s_branch .LBB35_219
.LBB35_224:
	s_mov_b32 s2, 0
	s_branch .LBB35_227
.LBB35_225:
	s_set_inst_prefetch_distance 0x2
	s_or_b32 exec_lo, exec_lo, s6
	s_delay_alu instid0(SALU_CYCLE_1)
	s_mov_b32 s2, exec_lo
	s_or_not1_b32 s5, s7, exec_lo
.LBB35_226:
	s_or_b32 exec_lo, exec_lo, s3
.LBB35_227:
	s_and_saveexec_b32 s3, s5
	s_cbranch_execz .LBB35_229
; %bb.228:
	s_mov_b32 s56, exec_lo
	s_barrier
	s_and_not1_b32 s2, s2, exec_lo
	buffer_gl0_inv
.LBB35_229:
	s_or_b32 exec_lo, exec_lo, s3
	s_and_saveexec_b32 s40, s2
	s_cbranch_execz .LBB35_231
; %bb.230:
	s_add_u32 s8, s0, 0x90
	s_addc_u32 s9, s1, 0
	s_getpc_b64 s[0:1]
	s_add_u32 s0, s0, __PRETTY_FUNCTION__._ZN9rocsolver6v33100L21shell_sort_descendingIfiEEvT0_PT_PS2_@rel32@lo+4
	s_addc_u32 s1, s1, __PRETTY_FUNCTION__._ZN9rocsolver6v33100L21shell_sort_descendingIfiEEvT0_PT_PS2_@rel32@hi+12
	s_delay_alu instid0(SALU_CYCLE_1) | instskip(SKIP_3) | instid1(SALU_CYCLE_1)
	v_dual_mov_b32 v0, s0 :: v_dual_mov_b32 v1, s1
	s_getpc_b64 s[2:3]
	s_add_u32 s2, s2, __assert_fail@rel32@lo+4
	s_addc_u32 s3, s3, __assert_fail@rel32@hi+12
	s_swappc_b64 s[30:31], s[2:3]
	s_or_b32 s54, s54, exec_lo
.LBB35_231:
	s_or_b32 exec_lo, exec_lo, s40
.LBB35_232:
	s_and_saveexec_b32 s0, s54
; %bb.233:
	; divergent unreachable
; %bb.234:
	s_delay_alu instid0(SALU_CYCLE_1)
	s_or_b32 exec_lo, exec_lo, s0
	s_and_saveexec_b32 s0, s56
	s_cbranch_execz .LBB35_236
; %bb.235:
	s_waitcnt_vscnt null, 0x0
	s_barrier
	buffer_gl0_inv
.LBB35_236:
	s_or_b32 exec_lo, exec_lo, s0
	s_cbranch_execnz .LBB35_260
.LBB35_237:
	s_cmp_lt_i32 s24, 2
	s_cbranch_scc1 .LBB35_260
; %bb.238:
	s_cmp_lg_u32 s25, 0
	v_mul_lo_u32 v0, s47, v41
	s_cselect_b32 s14, -1, 0
	s_cmp_lg_u32 s26, 0
	v_mul_lo_u32 v1, s49, v41
	s_cselect_b32 s15, -1, 0
	s_cmp_lg_u32 s27, 0
	v_cmp_eq_u32_e64 s0, 0, v41
	s_cselect_b32 s16, -1, 0
	s_add_i32 s17, s24, -2
	v_cmp_gt_i32_e64 s1, s25, v41
	v_cmp_gt_i32_e64 s2, s26, v41
	;; [unrolled: 1-line block ×3, first 2 shown]
	s_add_u32 s4, s50, s52
	v_mov_b32_e32 v2, 0
	s_addc_u32 s7, s51, s53
	s_add_u32 s6, s4, 4
	s_mov_b32 s5, 0
	s_addc_u32 s7, s7, 0
	s_mul_i32 s18, s47, s21
	s_mul_i32 s19, s49, s21
	s_mov_b32 s20, 0
	s_mov_b32 s30, 0
	s_branch .LBB35_241
.LBB35_239:                             ;   in Loop: Header=BB35_241 Depth=1
	s_or_b32 exec_lo, exec_lo, s9
	s_waitcnt lgkmcnt(0)
	s_waitcnt_vscnt null, 0x0
	s_barrier
	buffer_gl0_inv
.LBB35_240:                             ;   in Loop: Header=BB35_241 Depth=1
	s_add_u32 s6, s6, 4
	s_addc_u32 s7, s7, 0
	s_add_i32 s20, s20, s43
	s_cmp_eq_u32 s4, s17
	s_cbranch_scc1 .LBB35_260
.LBB35_241:                             ; =>This Loop Header: Depth=1
                                        ;     Child Loop BB35_242 Depth 2
                                        ;     Child Loop BB35_249 Depth 2
	;; [unrolled: 1-line block ×4, first 2 shown]
	s_mov_b32 s4, s30
	s_mov_b64 s[12:13], s[6:7]
	s_lshl_b64 s[8:9], s[4:5], 2
	s_delay_alu instid0(SALU_CYCLE_1)
	s_add_u32 s10, s36, s8
	s_addc_u32 s11, s37, s9
	s_add_i32 s30, s30, 1
	global_load_b32 v3, v2, s[10:11]
	s_mov_b32 s9, s30
	s_mov_b32 s8, s4
.LBB35_242:                             ;   Parent Loop BB35_241 Depth=1
                                        ; =>  This Inner Loop Header: Depth=2
	global_load_b32 v4, v2, s[12:13]
	s_waitcnt vmcnt(0)
	v_cmp_gt_f32_e32 vcc_lo, v4, v3
	s_and_b32 s31, vcc_lo, exec_lo
	v_cndmask_b32_e32 v3, v3, v4, vcc_lo
	s_cselect_b32 s8, s9, s8
	s_add_i32 s9, s9, 1
	s_add_u32 s12, s12, 4
	s_addc_u32 s13, s13, 0
	s_cmp_lt_i32 s9, s24
	s_cbranch_scc1 .LBB35_242
; %bb.243:                              ;   in Loop: Header=BB35_241 Depth=1
	s_cmp_eq_u32 s8, s4
	s_waitcnt_vscnt null, 0x0
	s_barrier
	buffer_gl0_inv
	s_cbranch_scc1 .LBB35_240
; %bb.244:                              ;   in Loop: Header=BB35_241 Depth=1
	s_and_saveexec_b32 s12, s0
	s_cbranch_execz .LBB35_246
; %bb.245:                              ;   in Loop: Header=BB35_241 Depth=1
	global_load_b32 v4, v2, s[10:11]
	s_ashr_i32 s9, s8, 31
	s_delay_alu instid0(SALU_CYCLE_1) | instskip(NEXT) | instid1(SALU_CYCLE_1)
	s_lshl_b64 s[40:41], s[8:9], 2
	s_add_u32 s40, s36, s40
	s_addc_u32 s41, s37, s41
	s_waitcnt vmcnt(0)
	s_clause 0x1
	global_store_b32 v2, v4, s[40:41]
	global_store_b32 v2, v3, s[10:11]
.LBB35_246:                             ;   in Loop: Header=BB35_241 Depth=1
	s_or_b32 exec_lo, exec_lo, s12
	s_delay_alu instid0(SALU_CYCLE_1)
	s_and_not1_b32 vcc_lo, exec_lo, s14
	s_cbranch_vccnz .LBB35_251
; %bb.247:                              ;   in Loop: Header=BB35_241 Depth=1
	s_and_saveexec_b32 s9, s1
	s_cbranch_execz .LBB35_250
; %bb.248:                              ;   in Loop: Header=BB35_241 Depth=1
	v_dual_mov_b32 v3, v0 :: v_dual_mov_b32 v4, v41
	s_mov_b32 s10, 0
	.p2align	6
.LBB35_249:                             ;   Parent Loop BB35_241 Depth=1
                                        ; =>  This Inner Loop Header: Depth=2
	s_delay_alu instid0(VALU_DEP_1) | instskip(SKIP_1) | instid1(VALU_DEP_3)
	v_add_nc_u32_e32 v5, s4, v3
	v_add_nc_u32_e32 v7, s8, v3
	;; [unrolled: 1-line block ×4, first 2 shown]
	s_delay_alu instid0(VALU_DEP_4) | instskip(NEXT) | instid1(VALU_DEP_4)
	v_ashrrev_i32_e32 v6, 31, v5
	v_ashrrev_i32_e32 v8, 31, v7
	s_delay_alu instid0(VALU_DEP_2) | instskip(NEXT) | instid1(VALU_DEP_2)
	v_lshlrev_b64 v[5:6], 2, v[5:6]
	v_lshlrev_b64 v[7:8], 2, v[7:8]
	s_delay_alu instid0(VALU_DEP_2) | instskip(NEXT) | instid1(VALU_DEP_3)
	v_add_co_u32 v5, vcc_lo, s34, v5
	v_add_co_ci_u32_e32 v6, vcc_lo, s35, v6, vcc_lo
	s_delay_alu instid0(VALU_DEP_3) | instskip(NEXT) | instid1(VALU_DEP_4)
	v_add_co_u32 v7, vcc_lo, s34, v7
	v_add_co_ci_u32_e32 v8, vcc_lo, s35, v8, vcc_lo
	v_cmp_le_i32_e32 vcc_lo, s25, v4
	s_clause 0x1
	flat_load_b32 v9, v[5:6]
	flat_load_b32 v10, v[7:8]
	s_waitcnt vmcnt(1) lgkmcnt(1)
	flat_store_b32 v[7:8], v9
	s_waitcnt vmcnt(0) lgkmcnt(1)
	flat_store_b32 v[5:6], v10
	s_or_b32 s10, vcc_lo, s10
	s_delay_alu instid0(SALU_CYCLE_1)
	s_and_not1_b32 exec_lo, exec_lo, s10
	s_cbranch_execnz .LBB35_249
.LBB35_250:                             ;   in Loop: Header=BB35_241 Depth=1
	s_or_b32 exec_lo, exec_lo, s9
	s_waitcnt lgkmcnt(0)
	s_waitcnt_vscnt null, 0x0
	s_barrier
	buffer_gl0_inv
.LBB35_251:                             ;   in Loop: Header=BB35_241 Depth=1
	s_and_not1_b32 vcc_lo, exec_lo, s15
	s_cbranch_vccnz .LBB35_256
; %bb.252:                              ;   in Loop: Header=BB35_241 Depth=1
	s_and_saveexec_b32 s9, s2
	s_cbranch_execz .LBB35_255
; %bb.253:                              ;   in Loop: Header=BB35_241 Depth=1
	v_mov_b32_e32 v3, v41
	s_mul_i32 s10, s8, s43
	s_mov_b32 s11, 0
	.p2align	6
.LBB35_254:                             ;   Parent Loop BB35_241 Depth=1
                                        ; =>  This Inner Loop Header: Depth=2
	s_delay_alu instid0(VALU_DEP_1) | instskip(SKIP_2) | instid1(VALU_DEP_3)
	v_add_nc_u32_e32 v4, s20, v3
	v_add_nc_u32_e32 v6, s10, v3
	;; [unrolled: 1-line block ×3, first 2 shown]
	v_ashrrev_i32_e32 v5, 31, v4
	s_delay_alu instid0(VALU_DEP_3) | instskip(NEXT) | instid1(VALU_DEP_2)
	v_ashrrev_i32_e32 v7, 31, v6
	v_lshlrev_b64 v[4:5], 2, v[4:5]
	s_delay_alu instid0(VALU_DEP_2) | instskip(NEXT) | instid1(VALU_DEP_2)
	v_lshlrev_b64 v[6:7], 2, v[6:7]
	v_add_co_u32 v4, vcc_lo, s28, v4
	s_delay_alu instid0(VALU_DEP_3) | instskip(NEXT) | instid1(VALU_DEP_3)
	v_add_co_ci_u32_e32 v5, vcc_lo, s29, v5, vcc_lo
	v_add_co_u32 v6, vcc_lo, s28, v6
	s_delay_alu instid0(VALU_DEP_4)
	v_add_co_ci_u32_e32 v7, vcc_lo, s29, v7, vcc_lo
	v_cmp_le_i32_e32 vcc_lo, s26, v3
	s_clause 0x1
	flat_load_b32 v8, v[4:5]
	flat_load_b32 v9, v[6:7]
	s_waitcnt vmcnt(1) lgkmcnt(1)
	flat_store_b32 v[6:7], v8
	s_waitcnt vmcnt(0) lgkmcnt(1)
	flat_store_b32 v[4:5], v9
	s_or_b32 s11, vcc_lo, s11
	s_delay_alu instid0(SALU_CYCLE_1)
	s_and_not1_b32 exec_lo, exec_lo, s11
	s_cbranch_execnz .LBB35_254
.LBB35_255:                             ;   in Loop: Header=BB35_241 Depth=1
	s_or_b32 exec_lo, exec_lo, s9
	s_waitcnt lgkmcnt(0)
	s_waitcnt_vscnt null, 0x0
	s_barrier
	buffer_gl0_inv
.LBB35_256:                             ;   in Loop: Header=BB35_241 Depth=1
	s_and_not1_b32 vcc_lo, exec_lo, s16
	s_cbranch_vccnz .LBB35_240
; %bb.257:                              ;   in Loop: Header=BB35_241 Depth=1
	s_and_saveexec_b32 s9, s3
	s_cbranch_execz .LBB35_239
; %bb.258:                              ;   in Loop: Header=BB35_241 Depth=1
	v_mov_b32_e32 v3, v1
	v_mov_b32_e32 v4, v41
	s_mov_b32 s10, 0
	.p2align	6
.LBB35_259:                             ;   Parent Loop BB35_241 Depth=1
                                        ; =>  This Inner Loop Header: Depth=2
	s_delay_alu instid0(VALU_DEP_2) | instskip(SKIP_1) | instid1(VALU_DEP_3)
	v_add_nc_u32_e32 v5, s4, v3
	v_add_nc_u32_e32 v7, s8, v3
	;; [unrolled: 1-line block ×4, first 2 shown]
	s_delay_alu instid0(VALU_DEP_4) | instskip(NEXT) | instid1(VALU_DEP_4)
	v_ashrrev_i32_e32 v6, 31, v5
	v_ashrrev_i32_e32 v8, 31, v7
	s_delay_alu instid0(VALU_DEP_2) | instskip(NEXT) | instid1(VALU_DEP_2)
	v_lshlrev_b64 v[5:6], 2, v[5:6]
	v_lshlrev_b64 v[7:8], 2, v[7:8]
	s_delay_alu instid0(VALU_DEP_2) | instskip(NEXT) | instid1(VALU_DEP_3)
	v_add_co_u32 v5, vcc_lo, s44, v5
	v_add_co_ci_u32_e32 v6, vcc_lo, s45, v6, vcc_lo
	s_delay_alu instid0(VALU_DEP_3) | instskip(NEXT) | instid1(VALU_DEP_4)
	v_add_co_u32 v7, vcc_lo, s44, v7
	v_add_co_ci_u32_e32 v8, vcc_lo, s45, v8, vcc_lo
	v_cmp_le_i32_e32 vcc_lo, s27, v4
	s_clause 0x1
	flat_load_b32 v9, v[5:6]
	flat_load_b32 v10, v[7:8]
	s_waitcnt vmcnt(1) lgkmcnt(1)
	flat_store_b32 v[7:8], v9
	s_waitcnt vmcnt(0) lgkmcnt(1)
	flat_store_b32 v[5:6], v10
	s_or_b32 s10, vcc_lo, s10
	s_delay_alu instid0(SALU_CYCLE_1)
	s_and_not1_b32 exec_lo, exec_lo, s10
	s_cbranch_execnz .LBB35_259
	s_branch .LBB35_239
.LBB35_260:
	s_mov_b32 s2, 0
.LBB35_261:
	s_delay_alu instid0(SALU_CYCLE_1)
	s_and_not1_b32 vcc_lo, exec_lo, s2
	s_cbranch_vccnz .LBB35_264
; %bb.262:
	s_mov_b32 s0, exec_lo
	v_cmpx_eq_u32_e32 0, v41
	s_cbranch_execz .LBB35_264
; %bb.263:
	v_dual_mov_b32 v0, 0 :: v_dual_mov_b32 v1, s42
	s_add_u32 s0, s38, s22
	s_addc_u32 s1, s39, s23
	global_store_b32 v0, v1, s[0:1]
.LBB35_264:
	s_endpgm
	.section	.rodata,"a",@progbits
	.p2align	6, 0x0
	.amdhsa_kernel _ZN9rocsolver6v33100L14bdsqr_finalizeIffPfS2_S2_EEviiiiPT0_lS4_lT1_iilT2_iilT3_iilPiS8_S8_
		.amdhsa_group_segment_fixed_size 0
		.amdhsa_private_segment_fixed_size 64
		.amdhsa_kernarg_size 400
		.amdhsa_user_sgpr_count 14
		.amdhsa_user_sgpr_dispatch_ptr 0
		.amdhsa_user_sgpr_queue_ptr 0
		.amdhsa_user_sgpr_kernarg_segment_ptr 1
		.amdhsa_user_sgpr_dispatch_id 0
		.amdhsa_user_sgpr_private_segment_size 0
		.amdhsa_wavefront_size32 1
		.amdhsa_uses_dynamic_stack 0
		.amdhsa_enable_private_segment 1
		.amdhsa_system_sgpr_workgroup_id_x 1
		.amdhsa_system_sgpr_workgroup_id_y 1
		.amdhsa_system_sgpr_workgroup_id_z 0
		.amdhsa_system_sgpr_workgroup_info 0
		.amdhsa_system_vgpr_workitem_id 2
		.amdhsa_next_free_vgpr 45
		.amdhsa_next_free_sgpr 60
		.amdhsa_reserve_vcc 1
		.amdhsa_float_round_mode_32 0
		.amdhsa_float_round_mode_16_64 0
		.amdhsa_float_denorm_mode_32 3
		.amdhsa_float_denorm_mode_16_64 3
		.amdhsa_dx10_clamp 1
		.amdhsa_ieee_mode 1
		.amdhsa_fp16_overflow 0
		.amdhsa_workgroup_processor_mode 1
		.amdhsa_memory_ordered 1
		.amdhsa_forward_progress 0
		.amdhsa_shared_vgpr_count 0
		.amdhsa_exception_fp_ieee_invalid_op 0
		.amdhsa_exception_fp_denorm_src 0
		.amdhsa_exception_fp_ieee_div_zero 0
		.amdhsa_exception_fp_ieee_overflow 0
		.amdhsa_exception_fp_ieee_underflow 0
		.amdhsa_exception_fp_ieee_inexact 0
		.amdhsa_exception_int_div_zero 0
	.end_amdhsa_kernel
	.section	.text._ZN9rocsolver6v33100L14bdsqr_finalizeIffPfS2_S2_EEviiiiPT0_lS4_lT1_iilT2_iilT3_iilPiS8_S8_,"axG",@progbits,_ZN9rocsolver6v33100L14bdsqr_finalizeIffPfS2_S2_EEviiiiPT0_lS4_lT1_iilT2_iilT3_iilPiS8_S8_,comdat
.Lfunc_end35:
	.size	_ZN9rocsolver6v33100L14bdsqr_finalizeIffPfS2_S2_EEviiiiPT0_lS4_lT1_iilT2_iilT3_iilPiS8_S8_, .Lfunc_end35-_ZN9rocsolver6v33100L14bdsqr_finalizeIffPfS2_S2_EEviiiiPT0_lS4_lT1_iilT2_iilT3_iilPiS8_S8_
                                        ; -- End function
	.section	.AMDGPU.csdata,"",@progbits
; Kernel info:
; codeLenInByte = 8412
; NumSgprs: 62
; NumVgprs: 45
; ScratchSize: 64
; MemoryBound: 0
; FloatMode: 240
; IeeeMode: 1
; LDSByteSize: 0 bytes/workgroup (compile time only)
; SGPRBlocks: 7
; VGPRBlocks: 5
; NumSGPRsForWavesPerEU: 62
; NumVGPRsForWavesPerEU: 45
; Occupancy: 16
; WaveLimiterHint : 1
; COMPUTE_PGM_RSRC2:SCRATCH_EN: 1
; COMPUTE_PGM_RSRC2:USER_SGPR: 14
; COMPUTE_PGM_RSRC2:TRAP_HANDLER: 0
; COMPUTE_PGM_RSRC2:TGID_X_EN: 1
; COMPUTE_PGM_RSRC2:TGID_Y_EN: 1
; COMPUTE_PGM_RSRC2:TGID_Z_EN: 0
; COMPUTE_PGM_RSRC2:TIDIG_COMP_CNT: 2
	.section	.text._ZN9rocsolver6v33100L8copy_matIfPfS2_NS0_7no_maskEEEviiT0_iilT1_iilT2_13rocblas_fill_17rocblas_diagonal_,"axG",@progbits,_ZN9rocsolver6v33100L8copy_matIfPfS2_NS0_7no_maskEEEviiT0_iilT1_iilT2_13rocblas_fill_17rocblas_diagonal_,comdat
	.globl	_ZN9rocsolver6v33100L8copy_matIfPfS2_NS0_7no_maskEEEviiT0_iilT1_iilT2_13rocblas_fill_17rocblas_diagonal_ ; -- Begin function _ZN9rocsolver6v33100L8copy_matIfPfS2_NS0_7no_maskEEEviiT0_iilT1_iilT2_13rocblas_fill_17rocblas_diagonal_
	.p2align	8
	.type	_ZN9rocsolver6v33100L8copy_matIfPfS2_NS0_7no_maskEEEviiT0_iilT1_iilT2_13rocblas_fill_17rocblas_diagonal_,@function
_ZN9rocsolver6v33100L8copy_matIfPfS2_NS0_7no_maskEEEviiT0_iilT1_iilT2_13rocblas_fill_17rocblas_diagonal_: ; @_ZN9rocsolver6v33100L8copy_matIfPfS2_NS0_7no_maskEEEviiT0_iilT1_iilT2_13rocblas_fill_17rocblas_diagonal_
; %bb.0:
	s_clause 0x1
	s_load_b32 s4, s[0:1], 0x54
	s_load_b64 s[2:3], s[0:1], 0x0
	v_and_b32_e32 v2, 0x3ff, v0
	v_bfe_u32 v3, v0, 10, 10
	s_waitcnt lgkmcnt(0)
	s_lshr_b32 s5, s4, 16
	s_and_b32 s4, s4, 0xffff
	s_delay_alu instid0(VALU_DEP_1) | instid1(SALU_CYCLE_1)
	v_mad_u64_u32 v[0:1], null, s13, s4, v[2:3]
	v_mad_u64_u32 v[1:2], null, s14, s5, v[3:4]
	s_delay_alu instid0(VALU_DEP_2) | instskip(NEXT) | instid1(VALU_DEP_2)
	v_cmp_gt_u32_e32 vcc_lo, s2, v0
	v_cmp_gt_u32_e64 s2, s3, v1
	s_delay_alu instid0(VALU_DEP_1) | instskip(NEXT) | instid1(SALU_CYCLE_1)
	s_and_b32 s2, s2, vcc_lo
	s_and_saveexec_b32 s3, s2
	s_cbranch_execz .LBB36_14
; %bb.1:
	s_load_b64 s[4:5], s[0:1], 0x3c
	s_waitcnt lgkmcnt(0)
	s_cmpk_lt_i32 s4, 0x7a
	s_cbranch_scc1 .LBB36_4
; %bb.2:
	s_cmpk_gt_i32 s4, 0x7a
	s_cbranch_scc0 .LBB36_5
; %bb.3:
	s_cmpk_lg_i32 s4, 0x7b
	s_mov_b32 s3, -1
	s_cselect_b32 s6, -1, 0
	s_cbranch_execz .LBB36_6
	s_branch .LBB36_7
.LBB36_4:
	s_mov_b32 s6, 0
	s_mov_b32 s3, 0
	s_cbranch_execnz .LBB36_8
	s_branch .LBB36_10
.LBB36_5:
	s_mov_b32 s3, 0
	s_mov_b32 s6, 0
.LBB36_6:
	v_cmp_gt_u32_e32 vcc_lo, v0, v1
	v_cmp_le_u32_e64 s2, v0, v1
	s_and_not1_b32 s3, s3, exec_lo
	s_and_not1_b32 s6, s6, exec_lo
	s_and_b32 s7, vcc_lo, exec_lo
	s_delay_alu instid0(VALU_DEP_1)
	s_and_b32 s2, s2, exec_lo
	s_or_b32 s3, s3, s7
	s_or_b32 s6, s6, s2
.LBB36_7:
	s_branch .LBB36_10
.LBB36_8:
	s_cmpk_eq_i32 s4, 0x79
	s_mov_b32 s6, -1
	s_cbranch_scc0 .LBB36_10
; %bb.9:
	v_cmp_gt_u32_e32 vcc_lo, v1, v0
	v_cmp_le_u32_e64 s2, v1, v0
	s_and_not1_b32 s3, s3, exec_lo
	s_and_b32 s4, vcc_lo, exec_lo
	s_delay_alu instid0(VALU_DEP_1)
	s_or_not1_b32 s6, s2, exec_lo
	s_or_b32 s3, s3, s4
.LBB36_10:
	s_and_saveexec_b32 s2, s6
; %bb.11:
	v_cmp_eq_u32_e32 vcc_lo, v0, v1
	s_cmpk_eq_i32 s5, 0x83
	s_cselect_b32 s4, -1, 0
	s_and_not1_b32 s3, s3, exec_lo
	s_and_b32 s4, s4, vcc_lo
	s_delay_alu instid0(SALU_CYCLE_1) | instskip(NEXT) | instid1(SALU_CYCLE_1)
	s_and_b32 s4, s4, exec_lo
	s_or_b32 s3, s3, s4
; %bb.12:
	s_or_b32 exec_lo, exec_lo, s2
	s_delay_alu instid0(SALU_CYCLE_1)
	s_and_b32 exec_lo, exec_lo, s3
	s_cbranch_execz .LBB36_14
; %bb.13:
	s_load_b256 s[4:11], s[0:1], 0x8
	s_waitcnt lgkmcnt(0)
	v_mad_u64_u32 v[2:3], null, v1, s7, v[0:1]
	s_mul_i32 s2, s15, s9
	s_mul_hi_u32 s9, s15, s8
	v_mov_b32_e32 v3, 0
	s_mul_i32 s8, s15, s8
	s_add_i32 s9, s9, s2
	s_ashr_i32 s3, s6, 31
	s_lshl_b64 s[8:9], s[8:9], 2
	s_mov_b32 s2, s6
	v_lshlrev_b64 v[4:5], 2, v[2:3]
	s_add_u32 s4, s4, s8
	s_addc_u32 s5, s5, s9
	s_lshl_b64 s[2:3], s[2:3], 2
	s_delay_alu instid0(SALU_CYCLE_1)
	s_add_u32 s2, s4, s2
	s_addc_u32 s3, s5, s3
	v_add_co_u32 v4, vcc_lo, s2, v4
	v_add_co_ci_u32_e32 v5, vcc_lo, s3, v5, vcc_lo
	s_load_b128 s[0:3], s[0:1], 0x28
	global_load_b32 v2, v[4:5], off
	s_waitcnt lgkmcnt(0)
	v_mad_u64_u32 v[4:5], null, v1, s1, v[0:1]
	s_mul_i32 s3, s15, s3
	s_mul_hi_u32 s4, s15, s2
	v_mov_b32_e32 v5, v3
	s_add_i32 s3, s4, s3
	s_mul_i32 s2, s15, s2
	s_ashr_i32 s5, s0, 31
	s_lshl_b64 s[2:3], s[2:3], 2
	s_mov_b32 s4, s0
	v_lshlrev_b64 v[0:1], 2, v[4:5]
	s_add_u32 s2, s10, s2
	s_addc_u32 s3, s11, s3
	s_lshl_b64 s[0:1], s[4:5], 2
	s_delay_alu instid0(SALU_CYCLE_1)
	s_add_u32 s0, s2, s0
	s_addc_u32 s1, s3, s1
	v_add_co_u32 v0, vcc_lo, s0, v0
	v_add_co_ci_u32_e32 v1, vcc_lo, s1, v1, vcc_lo
	s_waitcnt vmcnt(0)
	global_store_b32 v[0:1], v2, off
.LBB36_14:
	s_nop 0
	s_sendmsg sendmsg(MSG_DEALLOC_VGPRS)
	s_endpgm
	.section	.rodata,"a",@progbits
	.p2align	6, 0x0
	.amdhsa_kernel _ZN9rocsolver6v33100L8copy_matIfPfS2_NS0_7no_maskEEEviiT0_iilT1_iilT2_13rocblas_fill_17rocblas_diagonal_
		.amdhsa_group_segment_fixed_size 0
		.amdhsa_private_segment_fixed_size 0
		.amdhsa_kernarg_size 328
		.amdhsa_user_sgpr_count 13
		.amdhsa_user_sgpr_dispatch_ptr 0
		.amdhsa_user_sgpr_queue_ptr 0
		.amdhsa_user_sgpr_kernarg_segment_ptr 1
		.amdhsa_user_sgpr_dispatch_id 0
		.amdhsa_user_sgpr_private_segment_size 0
		.amdhsa_wavefront_size32 1
		.amdhsa_uses_dynamic_stack 0
		.amdhsa_enable_private_segment 0
		.amdhsa_system_sgpr_workgroup_id_x 1
		.amdhsa_system_sgpr_workgroup_id_y 1
		.amdhsa_system_sgpr_workgroup_id_z 1
		.amdhsa_system_sgpr_workgroup_info 0
		.amdhsa_system_vgpr_workitem_id 1
		.amdhsa_next_free_vgpr 6
		.amdhsa_next_free_sgpr 16
		.amdhsa_reserve_vcc 1
		.amdhsa_float_round_mode_32 0
		.amdhsa_float_round_mode_16_64 0
		.amdhsa_float_denorm_mode_32 3
		.amdhsa_float_denorm_mode_16_64 3
		.amdhsa_dx10_clamp 1
		.amdhsa_ieee_mode 1
		.amdhsa_fp16_overflow 0
		.amdhsa_workgroup_processor_mode 1
		.amdhsa_memory_ordered 1
		.amdhsa_forward_progress 0
		.amdhsa_shared_vgpr_count 0
		.amdhsa_exception_fp_ieee_invalid_op 0
		.amdhsa_exception_fp_denorm_src 0
		.amdhsa_exception_fp_ieee_div_zero 0
		.amdhsa_exception_fp_ieee_overflow 0
		.amdhsa_exception_fp_ieee_underflow 0
		.amdhsa_exception_fp_ieee_inexact 0
		.amdhsa_exception_int_div_zero 0
	.end_amdhsa_kernel
	.section	.text._ZN9rocsolver6v33100L8copy_matIfPfS2_NS0_7no_maskEEEviiT0_iilT1_iilT2_13rocblas_fill_17rocblas_diagonal_,"axG",@progbits,_ZN9rocsolver6v33100L8copy_matIfPfS2_NS0_7no_maskEEEviiT0_iilT1_iilT2_13rocblas_fill_17rocblas_diagonal_,comdat
.Lfunc_end36:
	.size	_ZN9rocsolver6v33100L8copy_matIfPfS2_NS0_7no_maskEEEviiT0_iilT1_iilT2_13rocblas_fill_17rocblas_diagonal_, .Lfunc_end36-_ZN9rocsolver6v33100L8copy_matIfPfS2_NS0_7no_maskEEEviiT0_iilT1_iilT2_13rocblas_fill_17rocblas_diagonal_
                                        ; -- End function
	.section	.AMDGPU.csdata,"",@progbits
; Kernel info:
; codeLenInByte = 540
; NumSgprs: 18
; NumVgprs: 6
; ScratchSize: 0
; MemoryBound: 0
; FloatMode: 240
; IeeeMode: 1
; LDSByteSize: 0 bytes/workgroup (compile time only)
; SGPRBlocks: 2
; VGPRBlocks: 0
; NumSGPRsForWavesPerEU: 18
; NumVGPRsForWavesPerEU: 6
; Occupancy: 16
; WaveLimiterHint : 0
; COMPUTE_PGM_RSRC2:SCRATCH_EN: 0
; COMPUTE_PGM_RSRC2:USER_SGPR: 13
; COMPUTE_PGM_RSRC2:TRAP_HANDLER: 0
; COMPUTE_PGM_RSRC2:TGID_X_EN: 1
; COMPUTE_PGM_RSRC2:TGID_Y_EN: 1
; COMPUTE_PGM_RSRC2:TGID_Z_EN: 1
; COMPUTE_PGM_RSRC2:TIDIG_COMP_CNT: 1
	.section	.text._ZN9rocsolver6v33100L6iota_nIdEEvPT_jS2_,"axG",@progbits,_ZN9rocsolver6v33100L6iota_nIdEEvPT_jS2_,comdat
	.globl	_ZN9rocsolver6v33100L6iota_nIdEEvPT_jS2_ ; -- Begin function _ZN9rocsolver6v33100L6iota_nIdEEvPT_jS2_
	.p2align	8
	.type	_ZN9rocsolver6v33100L6iota_nIdEEvPT_jS2_,@function
_ZN9rocsolver6v33100L6iota_nIdEEvPT_jS2_: ; @_ZN9rocsolver6v33100L6iota_nIdEEvPT_jS2_
; %bb.0:
	s_load_b32 s2, s[0:1], 0x8
	s_waitcnt lgkmcnt(0)
	v_cmp_gt_u32_e32 vcc_lo, s2, v0
	s_and_saveexec_b32 s2, vcc_lo
	s_cbranch_execz .LBB37_2
; %bb.1:
	v_cvt_f64_u32_e32 v[1:2], v0
	s_clause 0x1
	s_load_b64 s[2:3], s[0:1], 0x10
	s_load_b64 s[0:1], s[0:1], 0x0
	v_lshlrev_b32_e32 v0, 3, v0
	s_waitcnt lgkmcnt(0)
	s_delay_alu instid0(VALU_DEP_2)
	v_add_f64 v[1:2], v[1:2], s[2:3]
	global_store_b64 v0, v[1:2], s[0:1]
.LBB37_2:
	s_nop 0
	s_sendmsg sendmsg(MSG_DEALLOC_VGPRS)
	s_endpgm
	.section	.rodata,"a",@progbits
	.p2align	6, 0x0
	.amdhsa_kernel _ZN9rocsolver6v33100L6iota_nIdEEvPT_jS2_
		.amdhsa_group_segment_fixed_size 0
		.amdhsa_private_segment_fixed_size 0
		.amdhsa_kernarg_size 24
		.amdhsa_user_sgpr_count 15
		.amdhsa_user_sgpr_dispatch_ptr 0
		.amdhsa_user_sgpr_queue_ptr 0
		.amdhsa_user_sgpr_kernarg_segment_ptr 1
		.amdhsa_user_sgpr_dispatch_id 0
		.amdhsa_user_sgpr_private_segment_size 0
		.amdhsa_wavefront_size32 1
		.amdhsa_uses_dynamic_stack 0
		.amdhsa_enable_private_segment 0
		.amdhsa_system_sgpr_workgroup_id_x 1
		.amdhsa_system_sgpr_workgroup_id_y 0
		.amdhsa_system_sgpr_workgroup_id_z 0
		.amdhsa_system_sgpr_workgroup_info 0
		.amdhsa_system_vgpr_workitem_id 0
		.amdhsa_next_free_vgpr 3
		.amdhsa_next_free_sgpr 4
		.amdhsa_reserve_vcc 1
		.amdhsa_float_round_mode_32 0
		.amdhsa_float_round_mode_16_64 0
		.amdhsa_float_denorm_mode_32 3
		.amdhsa_float_denorm_mode_16_64 3
		.amdhsa_dx10_clamp 1
		.amdhsa_ieee_mode 1
		.amdhsa_fp16_overflow 0
		.amdhsa_workgroup_processor_mode 1
		.amdhsa_memory_ordered 1
		.amdhsa_forward_progress 0
		.amdhsa_shared_vgpr_count 0
		.amdhsa_exception_fp_ieee_invalid_op 0
		.amdhsa_exception_fp_denorm_src 0
		.amdhsa_exception_fp_ieee_div_zero 0
		.amdhsa_exception_fp_ieee_overflow 0
		.amdhsa_exception_fp_ieee_underflow 0
		.amdhsa_exception_fp_ieee_inexact 0
		.amdhsa_exception_int_div_zero 0
	.end_amdhsa_kernel
	.section	.text._ZN9rocsolver6v33100L6iota_nIdEEvPT_jS2_,"axG",@progbits,_ZN9rocsolver6v33100L6iota_nIdEEvPT_jS2_,comdat
.Lfunc_end37:
	.size	_ZN9rocsolver6v33100L6iota_nIdEEvPT_jS2_, .Lfunc_end37-_ZN9rocsolver6v33100L6iota_nIdEEvPT_jS2_
                                        ; -- End function
	.section	.AMDGPU.csdata,"",@progbits
; Kernel info:
; codeLenInByte = 88
; NumSgprs: 6
; NumVgprs: 3
; ScratchSize: 0
; MemoryBound: 0
; FloatMode: 240
; IeeeMode: 1
; LDSByteSize: 0 bytes/workgroup (compile time only)
; SGPRBlocks: 0
; VGPRBlocks: 0
; NumSGPRsForWavesPerEU: 6
; NumVGPRsForWavesPerEU: 3
; Occupancy: 16
; WaveLimiterHint : 0
; COMPUTE_PGM_RSRC2:SCRATCH_EN: 0
; COMPUTE_PGM_RSRC2:USER_SGPR: 15
; COMPUTE_PGM_RSRC2:TRAP_HANDLER: 0
; COMPUTE_PGM_RSRC2:TGID_X_EN: 1
; COMPUTE_PGM_RSRC2:TGID_Y_EN: 0
; COMPUTE_PGM_RSRC2:TGID_Z_EN: 0
; COMPUTE_PGM_RSRC2:TIDIG_COMP_CNT: 0
	.section	.text._ZN9rocsolver6v33100L18geqr2_kernel_smallILi256EdidPdEEvT1_S3_T3_lS3_lPT2_lPT0_l,"axG",@progbits,_ZN9rocsolver6v33100L18geqr2_kernel_smallILi256EdidPdEEvT1_S3_T3_lS3_lPT2_lPT0_l,comdat
	.globl	_ZN9rocsolver6v33100L18geqr2_kernel_smallILi256EdidPdEEvT1_S3_T3_lS3_lPT2_lPT0_l ; -- Begin function _ZN9rocsolver6v33100L18geqr2_kernel_smallILi256EdidPdEEvT1_S3_T3_lS3_lPT2_lPT0_l
	.p2align	8
	.type	_ZN9rocsolver6v33100L18geqr2_kernel_smallILi256EdidPdEEvT1_S3_T3_lS3_lPT2_lPT0_l,@function
_ZN9rocsolver6v33100L18geqr2_kernel_smallILi256EdidPdEEvT1_S3_T3_lS3_lPT2_lPT0_l: ; @_ZN9rocsolver6v33100L18geqr2_kernel_smallILi256EdidPdEEvT1_S3_T3_lS3_lPT2_lPT0_l
; %bb.0:
	s_clause 0x4
	s_load_b256 s[4:11], s[0:1], 0x20
	s_load_b64 s[12:13], s[0:1], 0x0
	s_load_b128 s[24:27], s[0:1], 0x8
	s_load_b32 s17, s[0:1], 0x18
	s_load_b64 s[2:3], s[0:1], 0x40
	s_ashr_i32 s21, s15, 31
	v_and_b32_e32 v1, 0x7f, v0
	v_lshrrev_b32_e32 v11, 7, v0
	s_delay_alu instid0(VALU_DEP_2)
	v_lshlrev_b32_e32 v12, 3, v1
	s_waitcnt lgkmcnt(0)
	s_mul_i32 s0, s15, s5
	s_mul_hi_u32 s1, s15, s4
	s_mul_i32 s5, s21, s4
	s_add_i32 s1, s1, s0
	s_mul_i32 s0, s15, s4
	s_add_i32 s1, s1, s5
	s_delay_alu instid0(SALU_CYCLE_1) | instskip(SKIP_4) | instid1(SALU_CYCLE_1)
	s_lshl_b64 s[4:5], s[0:1], 3
	v_cmp_gt_i32_e64 s0, s12, v1
	s_add_u32 s1, s24, s4
	s_addc_u32 s16, s25, s5
	s_lshl_b64 s[4:5], s[26:27], 3
	s_add_u32 s14, s1, s4
	s_addc_u32 s16, s16, s5
	s_and_saveexec_b32 s4, s0
	s_cbranch_execz .LBB38_6
; %bb.1:
	v_lshrrev_b32_e32 v5, 7, v0
	s_mov_b32 s5, 0
	s_lshl_b32 s18, s12, 4
	s_lshl_b32 s19, s17, 1
	v_mov_b32_e32 v7, v1
	v_mul_lo_u32 v2, s12, v5
	v_cmp_gt_i32_e32 vcc_lo, s13, v5
	s_delay_alu instid0(VALU_DEP_2) | instskip(SKIP_1) | instid1(VALU_DEP_2)
	v_lshlrev_b32_e32 v4, 3, v2
	v_mad_u64_u32 v[2:3], null, s17, v5, v[1:2]
	v_add3_u32 v6, v4, v12, 0
	s_set_inst_prefetch_distance 0x1
	s_branch .LBB38_3
	.p2align	6
.LBB38_2:                               ;   in Loop: Header=BB38_3 Depth=1
	s_or_b32 exec_lo, exec_lo, s20
	v_add_nc_u32_e32 v7, 0x80, v7
	v_add_nc_u32_e32 v6, 0x400, v6
	;; [unrolled: 1-line block ×3, first 2 shown]
	s_delay_alu instid0(VALU_DEP_3) | instskip(NEXT) | instid1(VALU_DEP_1)
	v_cmp_le_i32_e64 s1, s12, v7
	s_or_b32 s5, s1, s5
	s_delay_alu instid0(SALU_CYCLE_1)
	s_and_not1_b32 exec_lo, exec_lo, s5
	s_cbranch_execz .LBB38_6
.LBB38_3:                               ; =>This Loop Header: Depth=1
                                        ;     Child Loop BB38_5 Depth 2
	s_and_saveexec_b32 s20, vcc_lo
	s_cbranch_execz .LBB38_2
; %bb.4:                                ;   in Loop: Header=BB38_3 Depth=1
	s_delay_alu instid0(VALU_DEP_2)
	v_mov_b32_e32 v3, v2
	v_dual_mov_b32 v8, v6 :: v_dual_mov_b32 v9, v5
	s_mov_b32 s22, 0
	.p2align	6
.LBB38_5:                               ;   Parent Loop BB38_3 Depth=1
                                        ; =>  This Inner Loop Header: Depth=2
	s_delay_alu instid0(VALU_DEP_2) | instskip(NEXT) | instid1(VALU_DEP_2)
	v_ashrrev_i32_e32 v4, 31, v3
	v_add_nc_u32_e32 v9, 2, v9
	s_delay_alu instid0(VALU_DEP_2) | instskip(SKIP_1) | instid1(VALU_DEP_2)
	v_lshlrev_b64 v[13:14], 3, v[3:4]
	v_add_nc_u32_e32 v3, s19, v3
	v_add_co_u32 v13, s1, s14, v13
	s_delay_alu instid0(VALU_DEP_1)
	v_add_co_ci_u32_e64 v14, s1, s16, v14, s1
	v_cmp_le_i32_e64 s1, s13, v9
	global_load_b64 v[13:14], v[13:14], off
	s_or_b32 s22, s1, s22
	s_waitcnt vmcnt(0)
	ds_store_b64 v8, v[13:14]
	v_add_nc_u32_e32 v8, s18, v8
	s_and_not1_b32 exec_lo, exec_lo, s22
	s_cbranch_execnz .LBB38_5
	s_branch .LBB38_2
.LBB38_6:
	s_set_inst_prefetch_distance 0x2
	s_or_b32 exec_lo, exec_lo, s4
	s_min_i32 s18, s13, s12
	s_waitcnt lgkmcnt(0)
	s_cmp_lt_i32 s18, 1
	s_barrier
	buffer_gl0_inv
	s_cbranch_scc1 .LBB38_43
; %bb.7:
	v_mbcnt_lo_u32_b32 v2, -1, 0
	s_mul_i32 s1, s15, s9
	s_mul_hi_u32 s4, s15, s8
	s_mul_i32 s5, s21, s8
	s_add_i32 s1, s4, s1
	v_cmp_ne_u32_e32 vcc_lo, 31, v2
	s_mul_i32 s4, s15, s8
	s_add_i32 s5, s1, s5
	s_mul_i32 s1, s15, s3
	s_lshl_b64 s[4:5], s[4:5], 3
	v_add_co_ci_u32_e32 v3, vcc_lo, 0, v2, vcc_lo
	v_cmp_gt_u32_e32 vcc_lo, 30, v2
	s_mul_hi_u32 s3, s15, s2
	s_add_u32 s19, s6, s4
	s_addc_u32 s20, s7, s5
	s_add_i32 s1, s3, s1
	v_cndmask_b32_e64 v4, 0, 1, vcc_lo
	v_cmp_gt_u32_e32 vcc_lo, 28, v2
	s_mul_i32 s3, s21, s2
	s_mul_i32 s2, s15, s2
	s_add_i32 s3, s1, s3
	s_mul_i32 s1, s13, s12
	v_cndmask_b32_e64 v5, 0, 1, vcc_lo
	v_cmp_gt_u32_e32 vcc_lo, 24, v2
	s_lshl_b64 s[2:3], s[2:3], 3
	v_lshlrev_b32_e32 v13, 2, v3
	v_lshlrev_b32_e32 v3, 1, v4
	;; [unrolled: 1-line block ×3, first 2 shown]
	v_cndmask_b32_e64 v6, 0, 1, vcc_lo
	v_cmp_gt_u32_e32 vcc_lo, 16, v2
	s_add_u32 s15, s10, s2
	s_addc_u32 s21, s11, s3
	s_lshl_b32 s1, s1, 3
	v_lshlrev_b32_e32 v5, 3, v6
	v_cndmask_b32_e64 v7, 0, 1, vcc_lo
	s_add_i32 s22, s1, 0
	s_lshl_b32 s1, s13, 3
	v_add_lshl_u32 v14, v3, v2, 2
	v_add_lshl_u32 v15, v4, v2, 2
	v_lshlrev_b32_e32 v6, 4, v7
	v_add_lshl_u32 v16, v5, v2, 2
	s_add_i32 s23, s22, s1
	s_cmp_eq_u64 s[6:7], 0
	v_and_b32_e32 v7, 31, v0
	v_add_lshl_u32 v17, v6, v2, 2
	v_mad_u64_u32 v[2:3], null, s12, v0, s[12:13]
	v_lshrrev_b32_e32 v4, 2, v0
	v_lshlrev_b32_e32 v3, 3, v0
	s_cselect_b32 s24, -1, 0
	s_cmp_lg_u64 s[6:7], 0
	v_cmp_eq_u32_e64 s1, 0, v7
	s_cselect_b32 s25, -1, 0
	s_lshl_b32 s26, s12, 3
	v_cmp_eq_u32_e64 s2, 0, v0
	v_add3_u32 v18, v3, 0, 8
	v_lshl_add_u32 v19, v2, 3, 0
	v_mov_b32_e32 v2, 0
	v_add3_u32 v20, 0, s26, v3
	v_add_nc_u32_e32 v21, s23, v4
	s_mov_b32 s9, 0
	s_add_i32 s27, s26, 8
	s_lshl_b32 s28, s12, 11
	s_mov_b32 s29, 0
	s_mov_b32 s8, s9
	s_branch .LBB38_9
.LBB38_8:                               ;   in Loop: Header=BB38_9 Depth=1
	s_set_inst_prefetch_distance 0x2
	s_or_b32 exec_lo, exec_lo, s4
	v_add_nc_u32_e32 v18, s27, v18
	v_add_nc_u32_e32 v19, s27, v19
	;; [unrolled: 1-line block ×3, first 2 shown]
	s_add_i32 s8, s8, 1
	s_add_i32 s29, s29, s27
	s_cmp_eq_u32 s8, s18
	s_waitcnt lgkmcnt(0)
	s_barrier
	buffer_gl0_inv
	s_cbranch_scc1 .LBB38_43
.LBB38_9:                               ; =>This Loop Header: Depth=1
                                        ;     Child Loop BB38_11 Depth 2
                                        ;     Child Loop BB38_30 Depth 2
	;; [unrolled: 1-line block ×3, first 2 shown]
                                        ;       Child Loop BB38_36 Depth 3
                                        ;     Child Loop BB38_40 Depth 2
                                        ;       Child Loop BB38_42 Depth 3
	s_sub_i32 s30, s12, s8
	v_mov_b32_e32 v3, 0
	s_add_i32 s33, s30, -1
	v_mov_b32_e32 v4, 0
	v_cmp_gt_i32_e64 s3, s33, v0
	s_delay_alu instid0(VALU_DEP_1)
	s_and_saveexec_b32 s4, s3
	s_cbranch_execz .LBB38_13
; %bb.10:                               ;   in Loop: Header=BB38_9 Depth=1
	v_dual_mov_b32 v3, 0 :: v_dual_mov_b32 v6, v0
	v_dual_mov_b32 v4, 0 :: v_dual_mov_b32 v5, v18
	s_mov_b32 s5, 0
.LBB38_11:                              ;   Parent Loop BB38_9 Depth=1
                                        ; =>  This Inner Loop Header: Depth=2
	ds_load_b64 v[7:8], v5
	v_add_nc_u32_e32 v6, 0x100, v6
	v_add_nc_u32_e32 v5, 0x800, v5
	s_delay_alu instid0(VALU_DEP_2) | instskip(SKIP_3) | instid1(VALU_DEP_1)
	v_cmp_le_i32_e32 vcc_lo, s33, v6
	s_or_b32 s5, vcc_lo, s5
	s_waitcnt lgkmcnt(0)
	v_mul_f64 v[7:8], v[7:8], v[7:8]
	v_add_f64 v[3:4], v[3:4], v[7:8]
	s_and_not1_b32 exec_lo, exec_lo, s5
	s_cbranch_execnz .LBB38_11
; %bb.12:                               ;   in Loop: Header=BB38_9 Depth=1
	s_or_b32 exec_lo, exec_lo, s5
.LBB38_13:                              ;   in Loop: Header=BB38_9 Depth=1
	s_delay_alu instid0(SALU_CYCLE_1)
	s_or_b32 exec_lo, exec_lo, s4
	ds_bpermute_b32 v5, v13, v3
	ds_bpermute_b32 v6, v13, v4
	s_waitcnt lgkmcnt(0)
	v_add_f64 v[3:4], v[3:4], v[5:6]
	ds_bpermute_b32 v5, v14, v3
	ds_bpermute_b32 v6, v14, v4
	s_waitcnt lgkmcnt(0)
	v_add_f64 v[3:4], v[3:4], v[5:6]
	ds_bpermute_b32 v5, v15, v3
	ds_bpermute_b32 v6, v15, v4
	s_waitcnt lgkmcnt(0)
	v_add_f64 v[3:4], v[3:4], v[5:6]
	ds_bpermute_b32 v5, v16, v3
	ds_bpermute_b32 v6, v16, v4
	s_waitcnt lgkmcnt(0)
	v_add_f64 v[3:4], v[3:4], v[5:6]
	ds_bpermute_b32 v5, v17, v3
	ds_bpermute_b32 v6, v17, v4
	s_waitcnt lgkmcnt(0)
	v_add_f64 v[3:4], v[3:4], v[5:6]
	s_and_saveexec_b32 s4, s1
	s_cbranch_execz .LBB38_15
; %bb.14:                               ;   in Loop: Header=BB38_9 Depth=1
	ds_store_b64 v21, v[3:4] offset:8
.LBB38_15:                              ;   in Loop: Header=BB38_9 Depth=1
	s_or_b32 exec_lo, exec_lo, s4
	s_lshl_b32 s4, s8, 3
	s_mul_i32 s5, s8, s12
	s_add_i32 s31, s4, 0
	s_lshl_b32 s4, s5, 3
	s_waitcnt lgkmcnt(0)
	s_add_i32 s31, s31, s4
	s_barrier
	buffer_gl0_inv
	s_and_saveexec_b32 s34, s2
	s_cbranch_execz .LBB38_28
; %bb.16:                               ;   in Loop: Header=BB38_9 Depth=1
	v_mov_b32_e32 v9, s23
	s_mov_b32 s36, 0
	s_mov_b32 s35, 0
	s_mov_b32 s37, exec_lo
                                        ; implicit-def: $sgpr6_sgpr7
                                        ; implicit-def: $sgpr10_sgpr11
                                        ; implicit-def: $sgpr4_sgpr5
	ds_load_2addr_b64 v[5:8], v9 offset0:2 offset1:3
	ds_load_2addr_b64 v[22:25], v9 offset0:4 offset1:5
	s_waitcnt lgkmcnt(1)
	v_add_f64 v[3:4], v[3:4], v[5:6]
	s_delay_alu instid0(VALU_DEP_1) | instskip(SKIP_1) | instid1(VALU_DEP_1)
	v_add_f64 v[3:4], v[3:4], v[7:8]
	s_waitcnt lgkmcnt(0)
	v_add_f64 v[3:4], v[3:4], v[22:23]
	s_delay_alu instid0(VALU_DEP_1) | instskip(SKIP_4) | instid1(VALU_DEP_1)
	v_add_f64 v[7:8], v[3:4], v[24:25]
	ds_load_2addr_b64 v[3:6], v9 offset0:6 offset1:7
	ds_load_b64 v[9:10], v9 offset:64
	s_waitcnt lgkmcnt(1)
	v_add_f64 v[3:4], v[7:8], v[3:4]
	v_add_f64 v[3:4], v[3:4], v[5:6]
	s_waitcnt lgkmcnt(0)
	s_delay_alu instid0(VALU_DEP_1) | instskip(NEXT) | instid1(VALU_DEP_1)
	v_add_f64 v[7:8], v[3:4], v[9:10]
                                        ; implicit-def: $vgpr3_vgpr4
	v_cmpx_nlt_f64_e32 0, v[7:8]
	s_xor_b32 s37, exec_lo, s37
	s_cbranch_execz .LBB38_21
; %bb.17:                               ;   in Loop: Header=BB38_9 Depth=1
	v_dual_mov_b32 v3, v2 :: v_dual_mov_b32 v4, s23
	s_and_b32 vcc_lo, exec_lo, s25
	ds_store_b64 v4, v[2:3]
	s_cbranch_vccz .LBB38_19
; %bb.18:                               ;   in Loop: Header=BB38_9 Depth=1
	v_mov_b32_e32 v3, s31
	s_mov_b32 s35, -1
	s_mov_b64 s[4:5], 1.0
	ds_load_b64 v[3:4], v3
	s_branch .LBB38_20
.LBB38_19:                              ;   in Loop: Header=BB38_9 Depth=1
                                        ; implicit-def: $vgpr3_vgpr4
                                        ; implicit-def: $sgpr4_sgpr5
.LBB38_20:                              ;   in Loop: Header=BB38_9 Depth=1
	s_mov_b64 s[10:11], 0
	s_mov_b64 s[6:7], 1.0
	s_and_b32 s35, s35, exec_lo
                                        ; implicit-def: $vgpr7_vgpr8
.LBB38_21:                              ;   in Loop: Header=BB38_9 Depth=1
	s_or_saveexec_b32 s37, s37
	v_dual_mov_b32 v6, s5 :: v_dual_mov_b32 v5, s4
	s_xor_b32 exec_lo, exec_lo, s37
	s_cbranch_execz .LBB38_23
; %bb.22:                               ;   in Loop: Header=BB38_9 Depth=1
	s_waitcnt lgkmcnt(0)
	v_mov_b32_e32 v3, s31
	s_and_b32 s5, s25, exec_lo
	s_and_b32 s36, s24, exec_lo
	ds_load_b64 v[5:6], v3
	s_waitcnt lgkmcnt(0)
	v_fma_f64 v[3:4], v[5:6], v[5:6], v[7:8]
	s_delay_alu instid0(VALU_DEP_1) | instskip(SKIP_1) | instid1(VALU_DEP_1)
	v_cmp_gt_f64_e32 vcc_lo, 0x10000000, v[3:4]
	v_cndmask_b32_e64 v7, 0, 1, vcc_lo
	v_lshlrev_b32_e32 v7, 8, v7
	s_delay_alu instid0(VALU_DEP_1) | instskip(NEXT) | instid1(VALU_DEP_1)
	v_ldexp_f64 v[3:4], v[3:4], v7
	v_rsq_f64_e32 v[7:8], v[3:4]
	s_waitcnt_depctr 0xfff
	v_mul_f64 v[9:10], v[3:4], v[7:8]
	v_mul_f64 v[7:8], v[7:8], 0.5
	s_delay_alu instid0(VALU_DEP_1) | instskip(NEXT) | instid1(VALU_DEP_1)
	v_fma_f64 v[22:23], -v[7:8], v[9:10], 0.5
	v_fma_f64 v[9:10], v[9:10], v[22:23], v[9:10]
	v_fma_f64 v[7:8], v[7:8], v[22:23], v[7:8]
	s_delay_alu instid0(VALU_DEP_2) | instskip(NEXT) | instid1(VALU_DEP_1)
	v_fma_f64 v[22:23], -v[9:10], v[9:10], v[3:4]
	v_fma_f64 v[9:10], v[22:23], v[7:8], v[9:10]
	s_delay_alu instid0(VALU_DEP_1) | instskip(NEXT) | instid1(VALU_DEP_1)
	v_fma_f64 v[22:23], -v[9:10], v[9:10], v[3:4]
	v_fma_f64 v[7:8], v[22:23], v[7:8], v[9:10]
	v_cndmask_b32_e64 v9, 0, 0xffffff80, vcc_lo
	v_cmp_class_f64_e64 vcc_lo, v[3:4], 0x260
	s_delay_alu instid0(VALU_DEP_2) | instskip(NEXT) | instid1(VALU_DEP_1)
	v_ldexp_f64 v[7:8], v[7:8], v9
	v_dual_cndmask_b32 v4, v8, v4 :: v_dual_cndmask_b32 v3, v7, v3
	v_cmp_le_f64_e32 vcc_lo, 0, v[5:6]
	s_delay_alu instid0(VALU_DEP_2) | instskip(NEXT) | instid1(VALU_DEP_1)
	v_xor_b32_e32 v7, 0x80000000, v4
	v_cndmask_b32_e32 v4, v4, v7, vcc_lo
	s_delay_alu instid0(VALU_DEP_1) | instskip(SKIP_1) | instid1(VALU_DEP_2)
	v_add_f64 v[7:8], v[5:6], -v[3:4]
	v_add_f64 v[5:6], v[3:4], -v[5:6]
	v_div_scale_f64 v[9:10], null, v[7:8], v[7:8], 1.0
	s_delay_alu instid0(VALU_DEP_2) | instskip(SKIP_1) | instid1(VALU_DEP_3)
	v_div_scale_f64 v[22:23], null, v[3:4], v[3:4], v[5:6]
	v_div_scale_f64 v[32:33], vcc_lo, 1.0, v[7:8], 1.0
	v_rcp_f64_e32 v[24:25], v[9:10]
	s_delay_alu instid0(VALU_DEP_2) | instskip(SKIP_3) | instid1(VALU_DEP_2)
	v_rcp_f64_e32 v[26:27], v[22:23]
	s_waitcnt_depctr 0xfff
	v_fma_f64 v[28:29], -v[9:10], v[24:25], 1.0
	v_fma_f64 v[30:31], -v[22:23], v[26:27], 1.0
	v_fma_f64 v[24:25], v[24:25], v[28:29], v[24:25]
	s_delay_alu instid0(VALU_DEP_2) | instskip(NEXT) | instid1(VALU_DEP_2)
	v_fma_f64 v[26:27], v[26:27], v[30:31], v[26:27]
	v_fma_f64 v[28:29], -v[9:10], v[24:25], 1.0
	s_delay_alu instid0(VALU_DEP_2) | instskip(NEXT) | instid1(VALU_DEP_2)
	v_fma_f64 v[30:31], -v[22:23], v[26:27], 1.0
	v_fma_f64 v[24:25], v[24:25], v[28:29], v[24:25]
	v_div_scale_f64 v[28:29], s4, v[5:6], v[3:4], v[5:6]
	s_delay_alu instid0(VALU_DEP_3) | instskip(NEXT) | instid1(VALU_DEP_3)
	v_fma_f64 v[26:27], v[26:27], v[30:31], v[26:27]
	v_mul_f64 v[30:31], v[32:33], v[24:25]
	s_delay_alu instid0(VALU_DEP_2) | instskip(NEXT) | instid1(VALU_DEP_2)
	v_mul_f64 v[34:35], v[28:29], v[26:27]
	v_fma_f64 v[9:10], -v[9:10], v[30:31], v[32:33]
	s_delay_alu instid0(VALU_DEP_2) | instskip(NEXT) | instid1(VALU_DEP_2)
	v_fma_f64 v[22:23], -v[22:23], v[34:35], v[28:29]
	v_div_fmas_f64 v[9:10], v[9:10], v[24:25], v[30:31]
	s_mov_b32 vcc_lo, s4
	s_and_not1_b32 s4, s35, exec_lo
	s_delay_alu instid0(VALU_DEP_2) | instskip(SKIP_1) | instid1(VALU_DEP_1)
	v_div_fmas_f64 v[22:23], v[22:23], v[26:27], v[34:35]
	s_or_b32 s35, s4, s5
	v_div_fixup_f64 v[22:23], v[22:23], v[3:4], v[5:6]
	s_delay_alu instid0(VALU_DEP_3)
	v_div_fixup_f64 v[5:6], v[9:10], v[7:8], 1.0
	v_mov_b32_e32 v7, s23
	ds_store_b64 v7, v[22:23]
.LBB38_23:                              ;   in Loop: Header=BB38_9 Depth=1
	s_or_b32 exec_lo, exec_lo, s37
	s_and_saveexec_b32 s4, s35
	s_cbranch_execz .LBB38_25
; %bb.24:                               ;   in Loop: Header=BB38_9 Depth=1
	s_lshl_b64 s[38:39], s[8:9], 3
	s_delay_alu instid0(SALU_CYCLE_1)
	s_add_u32 s38, s19, s38
	s_addc_u32 s39, s20, s39
	s_or_b32 s36, s36, exec_lo
	s_waitcnt lgkmcnt(0)
	global_store_b64 v2, v[3:4], s[38:39]
	v_mov_b32_e32 v3, 0
	v_mov_b32_e32 v4, 0x3ff00000
.LBB38_25:                              ;   in Loop: Header=BB38_9 Depth=1
	s_or_b32 exec_lo, exec_lo, s4
	v_dual_mov_b32 v7, s10 :: v_dual_mov_b32 v8, s11
	v_dual_mov_b32 v10, s7 :: v_dual_mov_b32 v9, s6
	s_and_saveexec_b32 s4, s36
	s_cbranch_execz .LBB38_27
; %bb.26:                               ;   in Loop: Header=BB38_9 Depth=1
	v_dual_mov_b32 v7, s31 :: v_dual_mov_b32 v8, s23
	v_dual_mov_b32 v10, v6 :: v_dual_mov_b32 v9, v5
	s_waitcnt lgkmcnt(0)
	ds_store_b64 v7, v[3:4]
	ds_load_b64 v[7:8], v8
.LBB38_27:                              ;   in Loop: Header=BB38_9 Depth=1
	s_or_b32 exec_lo, exec_lo, s4
	s_lshl_b64 s[4:5], s[8:9], 3
	s_waitcnt lgkmcnt(0)
	v_mov_b32_e32 v3, s23
	s_add_u32 s4, s15, s4
	s_addc_u32 s5, s21, s5
	global_store_b64 v2, v[7:8], s[4:5]
	ds_store_b64 v3, v[9:10] offset:8
.LBB38_28:                              ;   in Loop: Header=BB38_9 Depth=1
	s_or_b32 exec_lo, exec_lo, s34
	s_waitcnt lgkmcnt(0)
	s_waitcnt_vscnt null, 0x0
	s_barrier
	buffer_gl0_inv
	s_and_saveexec_b32 s4, s3
	s_cbranch_execz .LBB38_31
; %bb.29:                               ;   in Loop: Header=BB38_9 Depth=1
	v_mov_b32_e32 v3, v0
	s_mov_b32 s3, 0
	s_mov_b32 s5, 0
	.p2align	6
.LBB38_30:                              ;   Parent Loop BB38_9 Depth=1
                                        ; =>  This Inner Loop Header: Depth=2
	s_delay_alu instid0(VALU_DEP_1)
	v_dual_mov_b32 v4, s23 :: v_dual_add_nc_u32 v3, 0x100, v3
	v_add_nc_u32_e32 v8, s5, v18
	s_addk_i32 s5, 0x800
	ds_load_b64 v[4:5], v4 offset:8
	ds_load_b64 v[6:7], v8
	v_cmp_le_i32_e32 vcc_lo, s33, v3
	s_or_b32 s3, vcc_lo, s3
	s_waitcnt lgkmcnt(0)
	v_mul_f64 v[4:5], v[4:5], v[6:7]
	ds_store_b64 v8, v[4:5]
	s_and_not1_b32 exec_lo, exec_lo, s3
	s_cbranch_execnz .LBB38_30
.LBB38_31:                              ;   in Loop: Header=BB38_9 Depth=1
	s_or_b32 exec_lo, exec_lo, s4
	s_not_b32 s3, s8
	s_mov_b32 s4, exec_lo
	s_add_i32 s3, s3, s13
	s_waitcnt lgkmcnt(0)
	s_barrier
	buffer_gl0_inv
	v_cmpx_gt_i32_e64 s3, v0
	s_cbranch_execz .LBB38_37
; %bb.32:                               ;   in Loop: Header=BB38_9 Depth=1
	v_dual_mov_b32 v5, v19 :: v_dual_mov_b32 v6, v0
	s_cmp_gt_i32 s30, 0
	s_mov_b32 s5, 0
	s_cselect_b32 s6, -1, 0
	s_set_inst_prefetch_distance 0x1
	s_branch .LBB38_34
	.p2align	6
.LBB38_33:                              ;   in Loop: Header=BB38_34 Depth=2
	v_mov_b32_e32 v7, s23
	v_add_nc_u32_e32 v5, s28, v5
	ds_load_b64 v[7:8], v7
	s_waitcnt lgkmcnt(0)
	v_mul_f64 v[3:4], v[3:4], v[7:8]
	v_lshl_add_u32 v7, v6, 3, s22
	v_add_nc_u32_e32 v6, 0x100, v6
	s_delay_alu instid0(VALU_DEP_1)
	v_cmp_le_i32_e32 vcc_lo, s3, v6
	s_or_b32 s5, vcc_lo, s5
	ds_store_b64 v7, v[3:4]
	s_and_not1_b32 exec_lo, exec_lo, s5
	s_cbranch_execz .LBB38_37
.LBB38_34:                              ;   Parent Loop BB38_9 Depth=1
                                        ; =>  This Loop Header: Depth=2
                                        ;       Child Loop BB38_36 Depth 3
	v_mov_b32_e32 v3, 0
	v_mov_b32_e32 v4, 0
	s_and_not1_b32 vcc_lo, exec_lo, s6
	s_cbranch_vccnz .LBB38_33
; %bb.35:                               ;   in Loop: Header=BB38_34 Depth=2
	v_mov_b32_e32 v7, v5
	s_mov_b32 s7, 0
	s_mov_b32 s10, s29
.LBB38_36:                              ;   Parent Loop BB38_9 Depth=1
                                        ;     Parent Loop BB38_34 Depth=2
                                        ; =>    This Inner Loop Header: Depth=3
	s_delay_alu instid0(SALU_CYCLE_1)
	v_mov_b32_e32 v10, s10
	s_add_i32 s7, s7, 1
	s_add_i32 s10, s10, 8
	s_cmp_ge_i32 s7, s30
	ds_load_b64 v[8:9], v7
	ds_load_b64 v[22:23], v10
	v_add_nc_u32_e32 v7, 8, v7
	s_waitcnt lgkmcnt(0)
	v_fma_f64 v[3:4], v[8:9], v[22:23], v[3:4]
	s_cbranch_scc0 .LBB38_36
	s_branch .LBB38_33
.LBB38_37:                              ;   in Loop: Header=BB38_9 Depth=1
	s_set_inst_prefetch_distance 0x2
	s_or_b32 exec_lo, exec_lo, s4
	s_delay_alu instid0(SALU_CYCLE_1)
	s_mov_b32 s4, exec_lo
	s_waitcnt lgkmcnt(0)
	s_barrier
	buffer_gl0_inv
	v_cmpx_gt_i32_e64 s30, v0
	s_cbranch_execz .LBB38_8
; %bb.38:                               ;   in Loop: Header=BB38_9 Depth=1
	v_mov_b32_e32 v3, v20
	v_mov_b32_e32 v4, v0
	s_cmp_gt_i32 s3, 0
	s_mov_b32 s5, 0
	s_cselect_b32 s6, -1, 0
	s_set_inst_prefetch_distance 0x1
	s_branch .LBB38_40
	.p2align	6
.LBB38_39:                              ;   in Loop: Header=BB38_40 Depth=2
	v_add_nc_u32_e32 v4, 0x100, v4
	v_add_nc_u32_e32 v3, 0x800, v3
	s_delay_alu instid0(VALU_DEP_2) | instskip(SKIP_1) | instid1(SALU_CYCLE_1)
	v_cmp_le_i32_e32 vcc_lo, s30, v4
	s_or_b32 s5, vcc_lo, s5
	s_and_not1_b32 exec_lo, exec_lo, s5
	s_cbranch_execz .LBB38_8
.LBB38_40:                              ;   Parent Loop BB38_9 Depth=1
                                        ; =>  This Loop Header: Depth=2
                                        ;       Child Loop BB38_42 Depth 3
	s_and_not1_b32 vcc_lo, exec_lo, s6
	s_cbranch_vccnz .LBB38_39
; %bb.41:                               ;   in Loop: Header=BB38_40 Depth=2
	v_lshl_add_u32 v5, v4, 3, s31
	v_mov_b32_e32 v6, v3
	s_mov_b32 s7, 0
	s_mov_b32 s10, s22
	.p2align	6
.LBB38_42:                              ;   Parent Loop BB38_9 Depth=1
                                        ;     Parent Loop BB38_40 Depth=2
                                        ; =>    This Inner Loop Header: Depth=3
	s_delay_alu instid0(SALU_CYCLE_1)
	v_mov_b32_e32 v22, s10
	s_add_i32 s7, s7, 1
	s_add_i32 s10, s10, 8
	ds_load_b64 v[7:8], v6
	ds_load_b64 v[9:10], v5
	;; [unrolled: 1-line block ×3, first 2 shown]
	s_cmp_ge_i32 s7, s3
	s_waitcnt lgkmcnt(0)
	v_fma_f64 v[7:8], -v[9:10], v[22:23], v[7:8]
	ds_store_b64 v6, v[7:8]
	v_add_nc_u32_e32 v6, s26, v6
	s_cbranch_scc0 .LBB38_42
	s_branch .LBB38_39
.LBB38_43:
	s_and_saveexec_b32 s1, s0
	s_cbranch_execz .LBB38_49
; %bb.44:
	v_mul_lo_u32 v0, s12, v11
	v_mad_u64_u32 v[2:3], null, s17, v11, v[1:2]
	v_cmp_gt_i32_e32 vcc_lo, s13, v11
	s_lshl_b32 s2, s17, 1
	s_mov_b32 s3, 0
	s_lshl_b32 s4, s12, 4
	s_delay_alu instid0(VALU_DEP_3) | instskip(NEXT) | instid1(VALU_DEP_1)
	v_lshlrev_b32_e32 v0, 3, v0
	v_add3_u32 v0, v0, v12, 0
	s_set_inst_prefetch_distance 0x1
	s_branch .LBB38_46
	.p2align	6
.LBB38_45:                              ;   in Loop: Header=BB38_46 Depth=1
	s_or_b32 exec_lo, exec_lo, s5
	v_add_nc_u32_e32 v1, 0x80, v1
	v_add_nc_u32_e32 v2, 0x80, v2
	;; [unrolled: 1-line block ×3, first 2 shown]
	s_delay_alu instid0(VALU_DEP_3) | instskip(NEXT) | instid1(VALU_DEP_1)
	v_cmp_le_i32_e64 s0, s12, v1
	s_or_b32 s3, s0, s3
	s_delay_alu instid0(SALU_CYCLE_1)
	s_and_not1_b32 exec_lo, exec_lo, s3
	s_cbranch_execz .LBB38_49
.LBB38_46:                              ; =>This Loop Header: Depth=1
                                        ;     Child Loop BB38_48 Depth 2
	s_and_saveexec_b32 s5, vcc_lo
	s_cbranch_execz .LBB38_45
; %bb.47:                               ;   in Loop: Header=BB38_46 Depth=1
	v_dual_mov_b32 v5, v0 :: v_dual_mov_b32 v6, v11
	v_mov_b32_e32 v3, v2
	s_mov_b32 s6, 0
	.p2align	6
.LBB38_48:                              ;   Parent Loop BB38_46 Depth=1
                                        ; =>  This Inner Loop Header: Depth=2
	ds_load_b64 v[7:8], v5
	v_ashrrev_i32_e32 v4, 31, v3
	v_add_nc_u32_e32 v6, 2, v6
	v_add_nc_u32_e32 v5, s4, v5
	s_delay_alu instid0(VALU_DEP_3) | instskip(NEXT) | instid1(VALU_DEP_3)
	v_lshlrev_b64 v[9:10], 3, v[3:4]
	v_cmp_le_i32_e64 s0, s13, v6
	v_add_nc_u32_e32 v3, s2, v3
	s_delay_alu instid0(VALU_DEP_2) | instskip(NEXT) | instid1(VALU_DEP_3)
	s_or_b32 s6, s0, s6
	v_add_co_u32 v9, s1, s14, v9
	s_delay_alu instid0(VALU_DEP_1)
	v_add_co_ci_u32_e64 v10, s1, s16, v10, s1
	s_waitcnt lgkmcnt(0)
	global_store_b64 v[9:10], v[7:8], off
	s_and_not1_b32 exec_lo, exec_lo, s6
	s_cbranch_execnz .LBB38_48
	s_branch .LBB38_45
.LBB38_49:
	s_set_inst_prefetch_distance 0x2
	s_nop 0
	s_sendmsg sendmsg(MSG_DEALLOC_VGPRS)
	s_endpgm
	.section	.rodata,"a",@progbits
	.p2align	6, 0x0
	.amdhsa_kernel _ZN9rocsolver6v33100L18geqr2_kernel_smallILi256EdidPdEEvT1_S3_T3_lS3_lPT2_lPT0_l
		.amdhsa_group_segment_fixed_size 0
		.amdhsa_private_segment_fixed_size 0
		.amdhsa_kernarg_size 72
		.amdhsa_user_sgpr_count 14
		.amdhsa_user_sgpr_dispatch_ptr 0
		.amdhsa_user_sgpr_queue_ptr 0
		.amdhsa_user_sgpr_kernarg_segment_ptr 1
		.amdhsa_user_sgpr_dispatch_id 0
		.amdhsa_user_sgpr_private_segment_size 0
		.amdhsa_wavefront_size32 1
		.amdhsa_uses_dynamic_stack 0
		.amdhsa_enable_private_segment 0
		.amdhsa_system_sgpr_workgroup_id_x 1
		.amdhsa_system_sgpr_workgroup_id_y 0
		.amdhsa_system_sgpr_workgroup_id_z 1
		.amdhsa_system_sgpr_workgroup_info 0
		.amdhsa_system_vgpr_workitem_id 0
		.amdhsa_next_free_vgpr 36
		.amdhsa_next_free_sgpr 40
		.amdhsa_reserve_vcc 1
		.amdhsa_float_round_mode_32 0
		.amdhsa_float_round_mode_16_64 0
		.amdhsa_float_denorm_mode_32 3
		.amdhsa_float_denorm_mode_16_64 3
		.amdhsa_dx10_clamp 1
		.amdhsa_ieee_mode 1
		.amdhsa_fp16_overflow 0
		.amdhsa_workgroup_processor_mode 1
		.amdhsa_memory_ordered 1
		.amdhsa_forward_progress 0
		.amdhsa_shared_vgpr_count 0
		.amdhsa_exception_fp_ieee_invalid_op 0
		.amdhsa_exception_fp_denorm_src 0
		.amdhsa_exception_fp_ieee_div_zero 0
		.amdhsa_exception_fp_ieee_overflow 0
		.amdhsa_exception_fp_ieee_underflow 0
		.amdhsa_exception_fp_ieee_inexact 0
		.amdhsa_exception_int_div_zero 0
	.end_amdhsa_kernel
	.section	.text._ZN9rocsolver6v33100L18geqr2_kernel_smallILi256EdidPdEEvT1_S3_T3_lS3_lPT2_lPT0_l,"axG",@progbits,_ZN9rocsolver6v33100L18geqr2_kernel_smallILi256EdidPdEEvT1_S3_T3_lS3_lPT2_lPT0_l,comdat
.Lfunc_end38:
	.size	_ZN9rocsolver6v33100L18geqr2_kernel_smallILi256EdidPdEEvT1_S3_T3_lS3_lPT2_lPT0_l, .Lfunc_end38-_ZN9rocsolver6v33100L18geqr2_kernel_smallILi256EdidPdEEvT1_S3_T3_lS3_lPT2_lPT0_l
                                        ; -- End function
	.section	.AMDGPU.csdata,"",@progbits
; Kernel info:
; codeLenInByte = 2812
; NumSgprs: 42
; NumVgprs: 36
; ScratchSize: 0
; MemoryBound: 0
; FloatMode: 240
; IeeeMode: 1
; LDSByteSize: 0 bytes/workgroup (compile time only)
; SGPRBlocks: 5
; VGPRBlocks: 4
; NumSGPRsForWavesPerEU: 42
; NumVGPRsForWavesPerEU: 36
; Occupancy: 16
; WaveLimiterHint : 0
; COMPUTE_PGM_RSRC2:SCRATCH_EN: 0
; COMPUTE_PGM_RSRC2:USER_SGPR: 14
; COMPUTE_PGM_RSRC2:TRAP_HANDLER: 0
; COMPUTE_PGM_RSRC2:TGID_X_EN: 1
; COMPUTE_PGM_RSRC2:TGID_Y_EN: 0
; COMPUTE_PGM_RSRC2:TGID_Z_EN: 1
; COMPUTE_PGM_RSRC2:TIDIG_COMP_CNT: 0
	.section	.text._ZN9rocsolver6v33100L16reset_batch_infoIdiiPdEEvT2_lT0_T1_,"axG",@progbits,_ZN9rocsolver6v33100L16reset_batch_infoIdiiPdEEvT2_lT0_T1_,comdat
	.globl	_ZN9rocsolver6v33100L16reset_batch_infoIdiiPdEEvT2_lT0_T1_ ; -- Begin function _ZN9rocsolver6v33100L16reset_batch_infoIdiiPdEEvT2_lT0_T1_
	.p2align	8
	.type	_ZN9rocsolver6v33100L16reset_batch_infoIdiiPdEEvT2_lT0_T1_,@function
_ZN9rocsolver6v33100L16reset_batch_infoIdiiPdEEvT2_lT0_T1_: ; @_ZN9rocsolver6v33100L16reset_batch_infoIdiiPdEEvT2_lT0_T1_
; %bb.0:
	s_clause 0x1
	s_load_b32 s4, s[0:1], 0x24
	s_load_b64 s[2:3], s[0:1], 0x10
	s_waitcnt lgkmcnt(0)
	s_and_b32 s4, s4, 0xffff
	s_delay_alu instid0(SALU_CYCLE_1) | instskip(NEXT) | instid1(VALU_DEP_1)
	v_mad_u64_u32 v[1:2], null, s14, s4, v[0:1]
	v_cmp_gt_i32_e32 vcc_lo, s2, v1
	s_and_saveexec_b32 s2, vcc_lo
	s_cbranch_execz .LBB39_2
; %bb.1:
	v_cvt_f64_i32_e32 v[3:4], s3
	s_load_b128 s[4:7], s[0:1], 0x0
	v_ashrrev_i32_e32 v2, 31, v1
	s_ashr_i32 s0, s15, 31
	s_delay_alu instid0(VALU_DEP_1)
	v_lshlrev_b64 v[0:1], 3, v[1:2]
	s_waitcnt lgkmcnt(0)
	s_mul_i32 s1, s15, s7
	s_mul_hi_u32 s2, s15, s6
	s_mul_i32 s0, s0, s6
	s_add_i32 s1, s2, s1
	s_delay_alu instid0(SALU_CYCLE_1) | instskip(SKIP_1) | instid1(SALU_CYCLE_1)
	s_add_i32 s1, s1, s0
	s_mul_i32 s0, s15, s6
	s_lshl_b64 s[0:1], s[0:1], 3
	s_delay_alu instid0(SALU_CYCLE_1)
	s_add_u32 s0, s4, s0
	s_addc_u32 s1, s5, s1
	v_add_co_u32 v0, vcc_lo, s0, v0
	v_add_co_ci_u32_e32 v1, vcc_lo, s1, v1, vcc_lo
	global_store_b64 v[0:1], v[3:4], off
.LBB39_2:
	s_nop 0
	s_sendmsg sendmsg(MSG_DEALLOC_VGPRS)
	s_endpgm
	.section	.rodata,"a",@progbits
	.p2align	6, 0x0
	.amdhsa_kernel _ZN9rocsolver6v33100L16reset_batch_infoIdiiPdEEvT2_lT0_T1_
		.amdhsa_group_segment_fixed_size 0
		.amdhsa_private_segment_fixed_size 0
		.amdhsa_kernarg_size 280
		.amdhsa_user_sgpr_count 14
		.amdhsa_user_sgpr_dispatch_ptr 0
		.amdhsa_user_sgpr_queue_ptr 0
		.amdhsa_user_sgpr_kernarg_segment_ptr 1
		.amdhsa_user_sgpr_dispatch_id 0
		.amdhsa_user_sgpr_private_segment_size 0
		.amdhsa_wavefront_size32 1
		.amdhsa_uses_dynamic_stack 0
		.amdhsa_enable_private_segment 0
		.amdhsa_system_sgpr_workgroup_id_x 1
		.amdhsa_system_sgpr_workgroup_id_y 1
		.amdhsa_system_sgpr_workgroup_id_z 0
		.amdhsa_system_sgpr_workgroup_info 0
		.amdhsa_system_vgpr_workitem_id 0
		.amdhsa_next_free_vgpr 5
		.amdhsa_next_free_sgpr 16
		.amdhsa_reserve_vcc 1
		.amdhsa_float_round_mode_32 0
		.amdhsa_float_round_mode_16_64 0
		.amdhsa_float_denorm_mode_32 3
		.amdhsa_float_denorm_mode_16_64 3
		.amdhsa_dx10_clamp 1
		.amdhsa_ieee_mode 1
		.amdhsa_fp16_overflow 0
		.amdhsa_workgroup_processor_mode 1
		.amdhsa_memory_ordered 1
		.amdhsa_forward_progress 0
		.amdhsa_shared_vgpr_count 0
		.amdhsa_exception_fp_ieee_invalid_op 0
		.amdhsa_exception_fp_denorm_src 0
		.amdhsa_exception_fp_ieee_div_zero 0
		.amdhsa_exception_fp_ieee_overflow 0
		.amdhsa_exception_fp_ieee_underflow 0
		.amdhsa_exception_fp_ieee_inexact 0
		.amdhsa_exception_int_div_zero 0
	.end_amdhsa_kernel
	.section	.text._ZN9rocsolver6v33100L16reset_batch_infoIdiiPdEEvT2_lT0_T1_,"axG",@progbits,_ZN9rocsolver6v33100L16reset_batch_infoIdiiPdEEvT2_lT0_T1_,comdat
.Lfunc_end39:
	.size	_ZN9rocsolver6v33100L16reset_batch_infoIdiiPdEEvT2_lT0_T1_, .Lfunc_end39-_ZN9rocsolver6v33100L16reset_batch_infoIdiiPdEEvT2_lT0_T1_
                                        ; -- End function
	.section	.AMDGPU.csdata,"",@progbits
; Kernel info:
; codeLenInByte = 168
; NumSgprs: 18
; NumVgprs: 5
; ScratchSize: 0
; MemoryBound: 0
; FloatMode: 240
; IeeeMode: 1
; LDSByteSize: 0 bytes/workgroup (compile time only)
; SGPRBlocks: 2
; VGPRBlocks: 0
; NumSGPRsForWavesPerEU: 18
; NumVGPRsForWavesPerEU: 5
; Occupancy: 16
; WaveLimiterHint : 0
; COMPUTE_PGM_RSRC2:SCRATCH_EN: 0
; COMPUTE_PGM_RSRC2:USER_SGPR: 14
; COMPUTE_PGM_RSRC2:TRAP_HANDLER: 0
; COMPUTE_PGM_RSRC2:TGID_X_EN: 1
; COMPUTE_PGM_RSRC2:TGID_Y_EN: 1
; COMPUTE_PGM_RSRC2:TGID_Z_EN: 0
; COMPUTE_PGM_RSRC2:TIDIG_COMP_CNT: 0
	.section	.text._ZN9rocsolver6v33100L8set_diagIdidPdTnNSt9enable_ifIXoont18rocblas_is_complexIT_E18rocblas_is_complexIT1_EEiE4typeELi0EEEvPS5_llT2_lT0_lSA_b,"axG",@progbits,_ZN9rocsolver6v33100L8set_diagIdidPdTnNSt9enable_ifIXoont18rocblas_is_complexIT_E18rocblas_is_complexIT1_EEiE4typeELi0EEEvPS5_llT2_lT0_lSA_b,comdat
	.globl	_ZN9rocsolver6v33100L8set_diagIdidPdTnNSt9enable_ifIXoont18rocblas_is_complexIT_E18rocblas_is_complexIT1_EEiE4typeELi0EEEvPS5_llT2_lT0_lSA_b ; -- Begin function _ZN9rocsolver6v33100L8set_diagIdidPdTnNSt9enable_ifIXoont18rocblas_is_complexIT_E18rocblas_is_complexIT1_EEiE4typeELi0EEEvPS5_llT2_lT0_lSA_b
	.p2align	8
	.type	_ZN9rocsolver6v33100L8set_diagIdidPdTnNSt9enable_ifIXoont18rocblas_is_complexIT_E18rocblas_is_complexIT1_EEiE4typeELi0EEEvPS5_llT2_lT0_lSA_b,@function
_ZN9rocsolver6v33100L8set_diagIdidPdTnNSt9enable_ifIXoont18rocblas_is_complexIT_E18rocblas_is_complexIT1_EEiE4typeELi0EEEvPS5_llT2_lT0_lSA_b: ; @_ZN9rocsolver6v33100L8set_diagIdidPdTnNSt9enable_ifIXoont18rocblas_is_complexIT_E18rocblas_is_complexIT1_EEiE4typeELi0EEEvPS5_llT2_lT0_lSA_b
; %bb.0:
	s_clause 0x1
	s_load_b32 s4, s[0:1], 0x4c
	s_load_b64 s[2:3], s[0:1], 0x38
	v_bfe_u32 v2, v0, 10, 10
	s_waitcnt lgkmcnt(0)
	s_lshr_b32 s4, s4, 16
	s_delay_alu instid0(VALU_DEP_1) | instid1(SALU_CYCLE_1)
	v_mad_u64_u32 v[0:1], null, s15, s4, v[2:3]
	s_delay_alu instid0(VALU_DEP_1)
	v_cmp_gt_i32_e32 vcc_lo, s2, v0
	s_and_saveexec_b32 s2, vcc_lo
	s_cbranch_execz .LBB40_2
; %bb.1:
	s_clause 0x3
	s_load_b32 s2, s[0:1], 0x28
	s_load_b64 s[12:13], s[0:1], 0x30
	s_load_b256 s[4:11], s[0:1], 0x0
	s_load_b64 s[0:1], s[0:1], 0x20
	s_bitcmp1_b32 s3, 0
	s_cselect_b32 s15, -1, 0
	s_ashr_i32 s16, s14, 31
	s_waitcnt lgkmcnt(0)
	v_mad_u64_u32 v[1:2], null, v0, s2, v[0:1]
	s_mul_i32 s2, s14, s13
	s_mul_hi_u32 s3, s14, s12
	s_mul_i32 s13, s16, s12
	s_add_i32 s3, s3, s2
	s_mul_i32 s2, s14, s12
	s_add_i32 s3, s3, s13
	s_delay_alu instid0(VALU_DEP_1)
	v_ashrrev_i32_e32 v2, 31, v1
	s_lshl_b64 s[2:3], s[2:3], 3
	s_mul_i32 s16, s16, s8
	s_add_u32 s2, s10, s2
	s_addc_u32 s3, s11, s3
	v_lshlrev_b64 v[1:2], 3, v[1:2]
	s_lshl_b64 s[0:1], s[0:1], 3
	s_delay_alu instid0(SALU_CYCLE_1) | instskip(SKIP_1) | instid1(VALU_DEP_1)
	s_add_u32 s0, s2, s0
	s_addc_u32 s1, s3, s1
	v_add_co_u32 v3, vcc_lo, s0, v1
	s_delay_alu instid0(VALU_DEP_2)
	v_add_co_ci_u32_e32 v4, vcc_lo, s1, v2, vcc_lo
	s_mul_i32 s0, s14, s9
	s_mul_hi_u32 s1, s14, s8
	v_ashrrev_i32_e32 v1, 31, v0
	global_load_b64 v[5:6], v[3:4], off
	s_add_i32 s1, s1, s0
	s_mul_i32 s0, s14, s8
	s_add_i32 s1, s1, s16
	v_lshlrev_b64 v[0:1], 3, v[0:1]
	s_lshl_b64 s[0:1], s[0:1], 3
	s_delay_alu instid0(SALU_CYCLE_1) | instskip(SKIP_2) | instid1(SALU_CYCLE_1)
	s_add_u32 s2, s4, s0
	s_addc_u32 s3, s5, s1
	s_lshl_b64 s[0:1], s[6:7], 3
	s_add_u32 s0, s2, s0
	s_addc_u32 s1, s3, s1
	v_add_co_u32 v0, vcc_lo, s0, v0
	v_add_co_ci_u32_e32 v1, vcc_lo, s1, v1, vcc_lo
	s_waitcnt vmcnt(0)
	v_cndmask_b32_e64 v8, v6, 0x3ff00000, s15
	v_cndmask_b32_e64 v7, v5, 0, s15
	global_store_b64 v[0:1], v[5:6], off
	global_store_b64 v[3:4], v[7:8], off
.LBB40_2:
	s_nop 0
	s_sendmsg sendmsg(MSG_DEALLOC_VGPRS)
	s_endpgm
	.section	.rodata,"a",@progbits
	.p2align	6, 0x0
	.amdhsa_kernel _ZN9rocsolver6v33100L8set_diagIdidPdTnNSt9enable_ifIXoont18rocblas_is_complexIT_E18rocblas_is_complexIT1_EEiE4typeELi0EEEvPS5_llT2_lT0_lSA_b
		.amdhsa_group_segment_fixed_size 0
		.amdhsa_private_segment_fixed_size 0
		.amdhsa_kernarg_size 320
		.amdhsa_user_sgpr_count 14
		.amdhsa_user_sgpr_dispatch_ptr 0
		.amdhsa_user_sgpr_queue_ptr 0
		.amdhsa_user_sgpr_kernarg_segment_ptr 1
		.amdhsa_user_sgpr_dispatch_id 0
		.amdhsa_user_sgpr_private_segment_size 0
		.amdhsa_wavefront_size32 1
		.amdhsa_uses_dynamic_stack 0
		.amdhsa_enable_private_segment 0
		.amdhsa_system_sgpr_workgroup_id_x 1
		.amdhsa_system_sgpr_workgroup_id_y 1
		.amdhsa_system_sgpr_workgroup_id_z 0
		.amdhsa_system_sgpr_workgroup_info 0
		.amdhsa_system_vgpr_workitem_id 1
		.amdhsa_next_free_vgpr 9
		.amdhsa_next_free_sgpr 17
		.amdhsa_reserve_vcc 1
		.amdhsa_float_round_mode_32 0
		.amdhsa_float_round_mode_16_64 0
		.amdhsa_float_denorm_mode_32 3
		.amdhsa_float_denorm_mode_16_64 3
		.amdhsa_dx10_clamp 1
		.amdhsa_ieee_mode 1
		.amdhsa_fp16_overflow 0
		.amdhsa_workgroup_processor_mode 1
		.amdhsa_memory_ordered 1
		.amdhsa_forward_progress 0
		.amdhsa_shared_vgpr_count 0
		.amdhsa_exception_fp_ieee_invalid_op 0
		.amdhsa_exception_fp_denorm_src 0
		.amdhsa_exception_fp_ieee_div_zero 0
		.amdhsa_exception_fp_ieee_overflow 0
		.amdhsa_exception_fp_ieee_underflow 0
		.amdhsa_exception_fp_ieee_inexact 0
		.amdhsa_exception_int_div_zero 0
	.end_amdhsa_kernel
	.section	.text._ZN9rocsolver6v33100L8set_diagIdidPdTnNSt9enable_ifIXoont18rocblas_is_complexIT_E18rocblas_is_complexIT1_EEiE4typeELi0EEEvPS5_llT2_lT0_lSA_b,"axG",@progbits,_ZN9rocsolver6v33100L8set_diagIdidPdTnNSt9enable_ifIXoont18rocblas_is_complexIT_E18rocblas_is_complexIT1_EEiE4typeELi0EEEvPS5_llT2_lT0_lSA_b,comdat
.Lfunc_end40:
	.size	_ZN9rocsolver6v33100L8set_diagIdidPdTnNSt9enable_ifIXoont18rocblas_is_complexIT_E18rocblas_is_complexIT1_EEiE4typeELi0EEEvPS5_llT2_lT0_lSA_b, .Lfunc_end40-_ZN9rocsolver6v33100L8set_diagIdidPdTnNSt9enable_ifIXoont18rocblas_is_complexIT_E18rocblas_is_complexIT1_EEiE4typeELi0EEEvPS5_llT2_lT0_lSA_b
                                        ; -- End function
	.section	.AMDGPU.csdata,"",@progbits
; Kernel info:
; codeLenInByte = 344
; NumSgprs: 19
; NumVgprs: 9
; ScratchSize: 0
; MemoryBound: 0
; FloatMode: 240
; IeeeMode: 1
; LDSByteSize: 0 bytes/workgroup (compile time only)
; SGPRBlocks: 2
; VGPRBlocks: 1
; NumSGPRsForWavesPerEU: 19
; NumVGPRsForWavesPerEU: 9
; Occupancy: 16
; WaveLimiterHint : 0
; COMPUTE_PGM_RSRC2:SCRATCH_EN: 0
; COMPUTE_PGM_RSRC2:USER_SGPR: 14
; COMPUTE_PGM_RSRC2:TRAP_HANDLER: 0
; COMPUTE_PGM_RSRC2:TGID_X_EN: 1
; COMPUTE_PGM_RSRC2:TGID_Y_EN: 1
; COMPUTE_PGM_RSRC2:TGID_Z_EN: 0
; COMPUTE_PGM_RSRC2:TIDIG_COMP_CNT: 1
	.section	.text._ZN9rocsolver6v33100L11set_taubetaIdidPdEEvPT_lS4_T2_llPT1_ll,"axG",@progbits,_ZN9rocsolver6v33100L11set_taubetaIdidPdEEvPT_lS4_T2_llPT1_ll,comdat
	.globl	_ZN9rocsolver6v33100L11set_taubetaIdidPdEEvPT_lS4_T2_llPT1_ll ; -- Begin function _ZN9rocsolver6v33100L11set_taubetaIdidPdEEvPT_lS4_T2_llPT1_ll
	.p2align	8
	.type	_ZN9rocsolver6v33100L11set_taubetaIdidPdEEvPT_lS4_T2_llPT1_ll,@function
_ZN9rocsolver6v33100L11set_taubetaIdidPdEEvPT_lS4_T2_llPT1_ll: ; @_ZN9rocsolver6v33100L11set_taubetaIdidPdEEvPT_lS4_T2_llPT1_ll
; %bb.0:
	s_mov_b32 s20, s15
	s_load_b512 s[4:19], s[0:1], 0x0
	s_ashr_i32 s21, s20, 31
	s_mov_b64 s[2:3], 0
	s_waitcnt lgkmcnt(0)
	s_cmp_eq_u64 s[16:17], 0
	s_cbranch_scc1 .LBB41_2
; %bb.1:
	s_load_b64 s[0:1], s[0:1], 0x40
	s_waitcnt lgkmcnt(0)
	s_mul_i32 s1, s20, s1
	s_mul_hi_u32 s2, s20, s0
	s_mul_i32 s3, s21, s0
	s_add_i32 s1, s2, s1
	s_mul_i32 s0, s20, s0
	s_add_i32 s1, s1, s3
	s_delay_alu instid0(SALU_CYCLE_1) | instskip(NEXT) | instid1(SALU_CYCLE_1)
	s_lshl_b64 s[0:1], s[0:1], 3
	s_add_u32 s2, s16, s0
	s_addc_u32 s3, s17, s1
	s_lshl_b64 s[0:1], s[18:19], 3
	s_delay_alu instid0(SALU_CYCLE_1)
	s_add_u32 s2, s2, s0
	s_addc_u32 s3, s3, s1
.LBB41_2:
	s_mul_i32 s0, s20, s15
	s_mul_hi_u32 s1, s20, s14
	s_mul_i32 s15, s21, s14
	s_add_i32 s1, s1, s0
	s_mul_i32 s0, s20, s14
	s_add_i32 s1, s1, s15
	s_mul_i32 s7, s20, s7
	s_lshl_b64 s[0:1], s[0:1], 3
	s_delay_alu instid0(SALU_CYCLE_1) | instskip(SKIP_2) | instid1(SALU_CYCLE_1)
	s_add_u32 s10, s10, s0
	s_addc_u32 s11, s11, s1
	s_lshl_b64 s[0:1], s[12:13], 3
	s_add_u32 s0, s10, s0
	s_mul_hi_u32 s10, s20, s6
	s_addc_u32 s1, s11, s1
	s_add_i32 s7, s10, s7
	s_mul_i32 s10, s21, s6
	s_mul_i32 s6, s20, s6
	s_add_i32 s7, s7, s10
	s_delay_alu instid0(SALU_CYCLE_1) | instskip(NEXT) | instid1(SALU_CYCLE_1)
	s_lshl_b64 s[6:7], s[6:7], 3
	s_add_u32 s4, s4, s6
	s_addc_u32 s5, s5, s7
	s_lshl_b64 s[6:7], s[20:21], 3
	s_delay_alu instid0(SALU_CYCLE_1)
	s_add_u32 s6, s8, s6
	s_addc_u32 s7, s9, s7
	s_cmp_eq_u64 s[2:3], 0
	s_load_b64 s[8:9], s[6:7], 0x0
	s_cselect_b32 s10, -1, 0
	s_cmp_lg_u64 s[2:3], 0
	s_cselect_b32 s11, -1, 0
	s_waitcnt lgkmcnt(0)
	v_cmp_ngt_f64_e64 s12, s[8:9], 0
	s_delay_alu instid0(VALU_DEP_1)
	s_and_b32 vcc_lo, exec_lo, s12
	s_mov_b32 s12, 0
	s_cbranch_vccz .LBB41_5
; %bb.3:
	v_dual_mov_b32 v0, 0 :: v_dual_mov_b32 v1, 0x3ff00000
	s_mov_b32 s14, 0
	s_and_b32 vcc_lo, exec_lo, s11
	global_store_b64 v0, v[0:1], s[6:7]
	v_mov_b32_e32 v1, v0
	global_store_b64 v0, v[0:1], s[4:5]
	s_cbranch_vccz .LBB41_6
; %bb.4:
	global_load_b64 v[0:1], v0, s[0:1]
	s_mov_b32 s13, -1
	s_and_b32 vcc_lo, exec_lo, s14
	s_cbranch_vccnz .LBB41_7
	s_branch .LBB41_8
.LBB41_5:
	s_mov_b32 s14, -1
.LBB41_6:
	s_mov_b32 s13, 0
                                        ; implicit-def: $vgpr0_vgpr1
	s_and_b32 vcc_lo, exec_lo, s14
	s_cbranch_vccz .LBB41_8
.LBB41_7:
	s_load_b64 s[12:13], s[0:1], 0x0
	v_mov_b32_e32 v12, 0
	s_waitcnt vmcnt(0) lgkmcnt(0)
	v_fma_f64 v[0:1], s[12:13], s[12:13], s[8:9]
	s_delay_alu instid0(VALU_DEP_1) | instskip(SKIP_3) | instid1(VALU_DEP_1)
	v_cmp_gt_f64_e32 vcc_lo, 0x10000000, v[0:1]
	v_cndmask_b32_e64 v2, 0, 1, vcc_lo
	s_and_b32 s8, vcc_lo, exec_lo
	s_cselect_b32 s8, 0xffffff80, 0
	v_lshlrev_b32_e32 v2, 8, v2
	s_delay_alu instid0(VALU_DEP_1) | instskip(NEXT) | instid1(VALU_DEP_1)
	v_ldexp_f64 v[0:1], v[0:1], v2
	v_rsq_f64_e32 v[2:3], v[0:1]
	v_cmp_class_f64_e64 vcc_lo, v[0:1], 0x260
	s_waitcnt_depctr 0xfff
	v_mul_f64 v[4:5], v[0:1], v[2:3]
	v_mul_f64 v[2:3], v[2:3], 0.5
	s_delay_alu instid0(VALU_DEP_1) | instskip(NEXT) | instid1(VALU_DEP_1)
	v_fma_f64 v[6:7], -v[2:3], v[4:5], 0.5
	v_fma_f64 v[4:5], v[4:5], v[6:7], v[4:5]
	v_fma_f64 v[2:3], v[2:3], v[6:7], v[2:3]
	s_delay_alu instid0(VALU_DEP_2) | instskip(NEXT) | instid1(VALU_DEP_1)
	v_fma_f64 v[6:7], -v[4:5], v[4:5], v[0:1]
	v_fma_f64 v[4:5], v[6:7], v[2:3], v[4:5]
	s_delay_alu instid0(VALU_DEP_1) | instskip(NEXT) | instid1(VALU_DEP_1)
	v_fma_f64 v[6:7], -v[4:5], v[4:5], v[0:1]
	v_fma_f64 v[2:3], v[6:7], v[2:3], v[4:5]
	s_delay_alu instid0(VALU_DEP_1) | instskip(NEXT) | instid1(VALU_DEP_1)
	v_ldexp_f64 v[2:3], v[2:3], s8
	v_dual_cndmask_b32 v1, v3, v1 :: v_dual_cndmask_b32 v0, v2, v0
	v_cmp_ge_f64_e64 vcc_lo, s[12:13], 0
	s_delay_alu instid0(VALU_DEP_2) | instskip(NEXT) | instid1(VALU_DEP_1)
	v_xor_b32_e32 v2, 0x80000000, v1
	v_cndmask_b32_e32 v1, v1, v2, vcc_lo
	s_delay_alu instid0(VALU_DEP_1) | instskip(SKIP_2) | instid1(VALU_DEP_1)
	v_add_f64 v[2:3], s[12:13], -v[0:1]
	s_mov_b32 s12, s10
	s_mov_b32 s13, s11
	v_div_scale_f64 v[4:5], null, v[2:3], v[2:3], 1.0
	v_div_scale_f64 v[10:11], vcc_lo, 1.0, v[2:3], 1.0
	s_delay_alu instid0(VALU_DEP_2) | instskip(SKIP_2) | instid1(VALU_DEP_1)
	v_rcp_f64_e32 v[6:7], v[4:5]
	s_waitcnt_depctr 0xfff
	v_fma_f64 v[8:9], -v[4:5], v[6:7], 1.0
	v_fma_f64 v[6:7], v[6:7], v[8:9], v[6:7]
	s_delay_alu instid0(VALU_DEP_1) | instskip(NEXT) | instid1(VALU_DEP_1)
	v_fma_f64 v[8:9], -v[4:5], v[6:7], 1.0
	v_fma_f64 v[6:7], v[6:7], v[8:9], v[6:7]
	s_delay_alu instid0(VALU_DEP_1) | instskip(NEXT) | instid1(VALU_DEP_1)
	v_mul_f64 v[8:9], v[10:11], v[6:7]
	v_fma_f64 v[4:5], -v[4:5], v[8:9], v[10:11]
	s_delay_alu instid0(VALU_DEP_1) | instskip(NEXT) | instid1(VALU_DEP_1)
	v_div_fmas_f64 v[4:5], v[4:5], v[6:7], v[8:9]
	v_div_fixup_f64 v[2:3], v[4:5], v[2:3], 1.0
	global_store_b64 v12, v[2:3], s[6:7]
	global_load_b64 v[2:3], v12, s[0:1]
	s_waitcnt vmcnt(0)
	v_add_f64 v[2:3], v[0:1], -v[2:3]
	s_delay_alu instid0(VALU_DEP_1) | instskip(NEXT) | instid1(VALU_DEP_1)
	v_div_scale_f64 v[4:5], null, v[0:1], v[0:1], v[2:3]
	v_rcp_f64_e32 v[6:7], v[4:5]
	s_waitcnt_depctr 0xfff
	v_fma_f64 v[8:9], -v[4:5], v[6:7], 1.0
	s_delay_alu instid0(VALU_DEP_1) | instskip(NEXT) | instid1(VALU_DEP_1)
	v_fma_f64 v[6:7], v[6:7], v[8:9], v[6:7]
	v_fma_f64 v[8:9], -v[4:5], v[6:7], 1.0
	s_delay_alu instid0(VALU_DEP_1) | instskip(SKIP_1) | instid1(VALU_DEP_1)
	v_fma_f64 v[6:7], v[6:7], v[8:9], v[6:7]
	v_div_scale_f64 v[8:9], vcc_lo, v[2:3], v[0:1], v[2:3]
	v_mul_f64 v[10:11], v[8:9], v[6:7]
	s_delay_alu instid0(VALU_DEP_1) | instskip(NEXT) | instid1(VALU_DEP_1)
	v_fma_f64 v[4:5], -v[4:5], v[10:11], v[8:9]
	v_div_fmas_f64 v[4:5], v[4:5], v[6:7], v[10:11]
	s_delay_alu instid0(VALU_DEP_1)
	v_div_fixup_f64 v[2:3], v[4:5], v[0:1], v[2:3]
	global_store_b64 v12, v[2:3], s[4:5]
.LBB41_8:
	s_and_not1_b32 vcc_lo, exec_lo, s13
	s_cbranch_vccz .LBB41_11
; %bb.9:
	s_and_not1_b32 vcc_lo, exec_lo, s12
	s_cbranch_vccz .LBB41_12
; %bb.10:
	s_endpgm
.LBB41_11:
	v_dual_mov_b32 v2, s2 :: v_dual_mov_b32 v3, s3
	s_waitcnt vmcnt(0)
	flat_store_b64 v[2:3], v[0:1]
	v_mov_b32_e32 v0, 0
	v_mov_b32_e32 v1, 0x3ff00000
.LBB41_12:
	v_mov_b32_e32 v2, 0
	s_waitcnt vmcnt(0) lgkmcnt(0)
	global_store_b64 v2, v[0:1], s[0:1]
	s_endpgm
	.section	.rodata,"a",@progbits
	.p2align	6, 0x0
	.amdhsa_kernel _ZN9rocsolver6v33100L11set_taubetaIdidPdEEvPT_lS4_T2_llPT1_ll
		.amdhsa_group_segment_fixed_size 0
		.amdhsa_private_segment_fixed_size 0
		.amdhsa_kernarg_size 72
		.amdhsa_user_sgpr_count 15
		.amdhsa_user_sgpr_dispatch_ptr 0
		.amdhsa_user_sgpr_queue_ptr 0
		.amdhsa_user_sgpr_kernarg_segment_ptr 1
		.amdhsa_user_sgpr_dispatch_id 0
		.amdhsa_user_sgpr_private_segment_size 0
		.amdhsa_wavefront_size32 1
		.amdhsa_uses_dynamic_stack 0
		.amdhsa_enable_private_segment 0
		.amdhsa_system_sgpr_workgroup_id_x 1
		.amdhsa_system_sgpr_workgroup_id_y 0
		.amdhsa_system_sgpr_workgroup_id_z 0
		.amdhsa_system_sgpr_workgroup_info 0
		.amdhsa_system_vgpr_workitem_id 0
		.amdhsa_next_free_vgpr 13
		.amdhsa_next_free_sgpr 22
		.amdhsa_reserve_vcc 1
		.amdhsa_float_round_mode_32 0
		.amdhsa_float_round_mode_16_64 0
		.amdhsa_float_denorm_mode_32 3
		.amdhsa_float_denorm_mode_16_64 3
		.amdhsa_dx10_clamp 1
		.amdhsa_ieee_mode 1
		.amdhsa_fp16_overflow 0
		.amdhsa_workgroup_processor_mode 1
		.amdhsa_memory_ordered 1
		.amdhsa_forward_progress 0
		.amdhsa_shared_vgpr_count 0
		.amdhsa_exception_fp_ieee_invalid_op 0
		.amdhsa_exception_fp_denorm_src 0
		.amdhsa_exception_fp_ieee_div_zero 0
		.amdhsa_exception_fp_ieee_overflow 0
		.amdhsa_exception_fp_ieee_underflow 0
		.amdhsa_exception_fp_ieee_inexact 0
		.amdhsa_exception_int_div_zero 0
	.end_amdhsa_kernel
	.section	.text._ZN9rocsolver6v33100L11set_taubetaIdidPdEEvPT_lS4_T2_llPT1_ll,"axG",@progbits,_ZN9rocsolver6v33100L11set_taubetaIdidPdEEvPT_lS4_T2_llPT1_ll,comdat
.Lfunc_end41:
	.size	_ZN9rocsolver6v33100L11set_taubetaIdidPdEEvPT_lS4_T2_llPT1_ll, .Lfunc_end41-_ZN9rocsolver6v33100L11set_taubetaIdidPdEEvPT_lS4_T2_llPT1_ll
                                        ; -- End function
	.section	.AMDGPU.csdata,"",@progbits
; Kernel info:
; codeLenInByte = 904
; NumSgprs: 24
; NumVgprs: 13
; ScratchSize: 0
; MemoryBound: 0
; FloatMode: 240
; IeeeMode: 1
; LDSByteSize: 0 bytes/workgroup (compile time only)
; SGPRBlocks: 2
; VGPRBlocks: 1
; NumSGPRsForWavesPerEU: 24
; NumVGPRsForWavesPerEU: 13
; Occupancy: 16
; WaveLimiterHint : 0
; COMPUTE_PGM_RSRC2:SCRATCH_EN: 0
; COMPUTE_PGM_RSRC2:USER_SGPR: 15
; COMPUTE_PGM_RSRC2:TRAP_HANDLER: 0
; COMPUTE_PGM_RSRC2:TGID_X_EN: 1
; COMPUTE_PGM_RSRC2:TGID_Y_EN: 0
; COMPUTE_PGM_RSRC2:TGID_Z_EN: 0
; COMPUTE_PGM_RSRC2:TIDIG_COMP_CNT: 0
	.section	.text._ZN9rocsolver6v33100L13conj_in_placeIdiPdTnNSt9enable_ifIXnt18rocblas_is_complexIT_EEiE4typeELi0EEEvT0_S7_T1_lS7_l,"axG",@progbits,_ZN9rocsolver6v33100L13conj_in_placeIdiPdTnNSt9enable_ifIXnt18rocblas_is_complexIT_EEiE4typeELi0EEEvT0_S7_T1_lS7_l,comdat
	.globl	_ZN9rocsolver6v33100L13conj_in_placeIdiPdTnNSt9enable_ifIXnt18rocblas_is_complexIT_EEiE4typeELi0EEEvT0_S7_T1_lS7_l ; -- Begin function _ZN9rocsolver6v33100L13conj_in_placeIdiPdTnNSt9enable_ifIXnt18rocblas_is_complexIT_EEiE4typeELi0EEEvT0_S7_T1_lS7_l
	.p2align	8
	.type	_ZN9rocsolver6v33100L13conj_in_placeIdiPdTnNSt9enable_ifIXnt18rocblas_is_complexIT_EEiE4typeELi0EEEvT0_S7_T1_lS7_l,@function
_ZN9rocsolver6v33100L13conj_in_placeIdiPdTnNSt9enable_ifIXnt18rocblas_is_complexIT_EEiE4typeELi0EEEvT0_S7_T1_lS7_l: ; @_ZN9rocsolver6v33100L13conj_in_placeIdiPdTnNSt9enable_ifIXnt18rocblas_is_complexIT_EEiE4typeELi0EEEvT0_S7_T1_lS7_l
; %bb.0:
	s_endpgm
	.section	.rodata,"a",@progbits
	.p2align	6, 0x0
	.amdhsa_kernel _ZN9rocsolver6v33100L13conj_in_placeIdiPdTnNSt9enable_ifIXnt18rocblas_is_complexIT_EEiE4typeELi0EEEvT0_S7_T1_lS7_l
		.amdhsa_group_segment_fixed_size 0
		.amdhsa_private_segment_fixed_size 0
		.amdhsa_kernarg_size 40
		.amdhsa_user_sgpr_count 15
		.amdhsa_user_sgpr_dispatch_ptr 0
		.amdhsa_user_sgpr_queue_ptr 0
		.amdhsa_user_sgpr_kernarg_segment_ptr 1
		.amdhsa_user_sgpr_dispatch_id 0
		.amdhsa_user_sgpr_private_segment_size 0
		.amdhsa_wavefront_size32 1
		.amdhsa_uses_dynamic_stack 0
		.amdhsa_enable_private_segment 0
		.amdhsa_system_sgpr_workgroup_id_x 1
		.amdhsa_system_sgpr_workgroup_id_y 0
		.amdhsa_system_sgpr_workgroup_id_z 0
		.amdhsa_system_sgpr_workgroup_info 0
		.amdhsa_system_vgpr_workitem_id 0
		.amdhsa_next_free_vgpr 1
		.amdhsa_next_free_sgpr 1
		.amdhsa_reserve_vcc 0
		.amdhsa_float_round_mode_32 0
		.amdhsa_float_round_mode_16_64 0
		.amdhsa_float_denorm_mode_32 3
		.amdhsa_float_denorm_mode_16_64 3
		.amdhsa_dx10_clamp 1
		.amdhsa_ieee_mode 1
		.amdhsa_fp16_overflow 0
		.amdhsa_workgroup_processor_mode 1
		.amdhsa_memory_ordered 1
		.amdhsa_forward_progress 0
		.amdhsa_shared_vgpr_count 0
		.amdhsa_exception_fp_ieee_invalid_op 0
		.amdhsa_exception_fp_denorm_src 0
		.amdhsa_exception_fp_ieee_div_zero 0
		.amdhsa_exception_fp_ieee_overflow 0
		.amdhsa_exception_fp_ieee_underflow 0
		.amdhsa_exception_fp_ieee_inexact 0
		.amdhsa_exception_int_div_zero 0
	.end_amdhsa_kernel
	.section	.text._ZN9rocsolver6v33100L13conj_in_placeIdiPdTnNSt9enable_ifIXnt18rocblas_is_complexIT_EEiE4typeELi0EEEvT0_S7_T1_lS7_l,"axG",@progbits,_ZN9rocsolver6v33100L13conj_in_placeIdiPdTnNSt9enable_ifIXnt18rocblas_is_complexIT_EEiE4typeELi0EEEvT0_S7_T1_lS7_l,comdat
.Lfunc_end42:
	.size	_ZN9rocsolver6v33100L13conj_in_placeIdiPdTnNSt9enable_ifIXnt18rocblas_is_complexIT_EEiE4typeELi0EEEvT0_S7_T1_lS7_l, .Lfunc_end42-_ZN9rocsolver6v33100L13conj_in_placeIdiPdTnNSt9enable_ifIXnt18rocblas_is_complexIT_EEiE4typeELi0EEEvT0_S7_T1_lS7_l
                                        ; -- End function
	.section	.AMDGPU.csdata,"",@progbits
; Kernel info:
; codeLenInByte = 4
; NumSgprs: 0
; NumVgprs: 0
; ScratchSize: 0
; MemoryBound: 0
; FloatMode: 240
; IeeeMode: 1
; LDSByteSize: 0 bytes/workgroup (compile time only)
; SGPRBlocks: 0
; VGPRBlocks: 0
; NumSGPRsForWavesPerEU: 1
; NumVGPRsForWavesPerEU: 1
; Occupancy: 16
; WaveLimiterHint : 0
; COMPUTE_PGM_RSRC2:SCRATCH_EN: 0
; COMPUTE_PGM_RSRC2:USER_SGPR: 15
; COMPUTE_PGM_RSRC2:TRAP_HANDLER: 0
; COMPUTE_PGM_RSRC2:TGID_X_EN: 1
; COMPUTE_PGM_RSRC2:TGID_Y_EN: 0
; COMPUTE_PGM_RSRC2:TGID_Z_EN: 0
; COMPUTE_PGM_RSRC2:TIDIG_COMP_CNT: 0
	.section	.text._ZN9rocsolver6v33100L16larf_left_kernelILi1024EdiPdEEvT1_S3_T2_lS3_lPKT0_lS4_lS3_l,"axG",@progbits,_ZN9rocsolver6v33100L16larf_left_kernelILi1024EdiPdEEvT1_S3_T2_lS3_lPKT0_lS4_lS3_l,comdat
	.globl	_ZN9rocsolver6v33100L16larf_left_kernelILi1024EdiPdEEvT1_S3_T2_lS3_lPKT0_lS4_lS3_l ; -- Begin function _ZN9rocsolver6v33100L16larf_left_kernelILi1024EdiPdEEvT1_S3_T2_lS3_lPKT0_lS4_lS3_l
	.p2align	8
	.type	_ZN9rocsolver6v33100L16larf_left_kernelILi1024EdiPdEEvT1_S3_T2_lS3_lPKT0_lS4_lS3_l,@function
_ZN9rocsolver6v33100L16larf_left_kernelILi1024EdiPdEEvT1_S3_T2_lS3_lPKT0_lS4_lS3_l: ; @_ZN9rocsolver6v33100L16larf_left_kernelILi1024EdiPdEEvT1_S3_T2_lS3_lPKT0_lS4_lS3_l
; %bb.0:
	s_clause 0x4
	s_load_b32 s20, s[0:1], 0x0
	s_load_b64 s[2:3], s[0:1], 0x50
	s_load_b32 s16, s[0:1], 0x48
	s_load_b64 s[12:13], s[0:1], 0x40
	s_load_b256 s[4:11], s[0:1], 0x20
	v_mov_b32_e32 v1, 0
	v_dual_mov_b32 v2, 0 :: v_dual_lshlrev_b32 v5, 3, v0
	s_ashr_i32 s24, s15, 31
	s_waitcnt lgkmcnt(0)
	v_cmp_gt_i32_e32 vcc_lo, s20, v0
	s_mul_i32 s21, s2, s24
	s_mul_hi_u32 s22, s2, s15
	s_mul_i32 s23, s3, s15
	s_mul_i32 s18, s2, s15
	s_mul_hi_i32 s17, s14, s16
	s_mul_i32 s16, s14, s16
	s_and_saveexec_b32 s14, vcc_lo
	s_cbranch_execz .LBB43_6
; %bb.1:
	s_clause 0x1
	s_load_b32 s26, s[0:1], 0x18
	s_load_b128 s[0:3], s[0:1], 0x8
	s_sub_i32 s19, 1, s20
	s_mul_i32 s25, s4, s24
	s_mul_hi_u32 s29, s4, s15
	s_mul_i32 s5, s5, s15
	s_mul_i32 s4, s4, s15
	v_add3_u32 v6, v5, 0, 0x100
	s_delay_alu instid0(VALU_DEP_1)
	v_dual_mov_b32 v4, v0 :: v_dual_mov_b32 v3, v6
	s_waitcnt lgkmcnt(0)
	s_ashr_i32 s27, s26, 31
	v_mad_i64_i32 v[1:2], null, s26, v0, 0
	v_cmp_lt_i64_e64 s28, s[26:27], 1
	s_mul_i32 s19, s19, s26
	s_delay_alu instid0(VALU_DEP_1)
	s_and_b32 s28, s28, exec_lo
	s_cselect_b32 s28, s19, 0
	s_add_i32 s19, s29, s25
	s_ashr_i32 s29, s28, 31
	s_add_i32 s5, s19, s5
	s_lshl_b64 s[28:29], s[28:29], 3
	s_lshl_b64 s[2:3], s[2:3], 3
	;; [unrolled: 1-line block ×3, first 2 shown]
	v_lshlrev_b64 v[1:2], 3, v[1:2]
	s_add_u32 s0, s0, s28
	s_addc_u32 s1, s1, s29
	s_add_u32 s0, s0, s2
	s_addc_u32 s1, s1, s3
	;; [unrolled: 2-line block ×3, first 2 shown]
	v_add_co_u32 v1, s0, s0, v1
	s_delay_alu instid0(VALU_DEP_1)
	v_add_co_ci_u32_e64 v2, s0, s1, v2, s0
	s_mov_b32 s4, 0
	s_lshl_b64 s[2:3], s[26:27], 13
	.p2align	6
.LBB43_2:                               ; =>This Inner Loop Header: Depth=1
	global_load_b64 v[7:8], v[1:2], off
	v_add_nc_u32_e32 v4, 0x400, v4
	v_add_co_u32 v1, s0, v1, s2
	s_delay_alu instid0(VALU_DEP_1) | instskip(NEXT) | instid1(VALU_DEP_3)
	v_add_co_ci_u32_e64 v2, s0, s3, v2, s0
	v_cmp_le_i32_e64 s1, s20, v4
	s_delay_alu instid0(VALU_DEP_1)
	s_or_b32 s4, s1, s4
	s_waitcnt vmcnt(0)
	ds_store_b64 v3, v[7:8]
	v_add_nc_u32_e32 v3, 0x2000, v3
	s_and_not1_b32 exec_lo, exec_lo, s4
	s_cbranch_execnz .LBB43_2
; %bb.3:
	s_or_b32 exec_lo, exec_lo, s4
	s_add_i32 s0, s22, s21
	v_lshlrev_b32_e32 v1, 3, v0
	s_add_i32 s19, s0, s23
	s_lshl_b64 s[0:1], s[16:17], 3
	s_lshl_b64 s[2:3], s[18:19], 3
	v_mov_b32_e32 v7, v0
	s_add_u32 s2, s2, s0
	s_addc_u32 s3, s3, s1
	s_lshl_b64 s[0:1], s[12:13], 3
	s_delay_alu instid0(SALU_CYCLE_1)
	s_add_u32 s0, s2, s0
	s_addc_u32 s1, s3, s1
	s_add_u32 s0, s10, s0
	s_addc_u32 s1, s11, s1
	v_add_co_u32 v3, s0, s0, v1
	v_mov_b32_e32 v1, 0
	v_add_co_ci_u32_e64 v4, null, s1, 0, s0
	v_mov_b32_e32 v2, 0
	s_mov_b32 s2, 0
	.p2align	6
.LBB43_4:                               ; =>This Inner Loop Header: Depth=1
	global_load_b64 v[8:9], v[3:4], off
	ds_load_b64 v[10:11], v6
	v_add_nc_u32_e32 v7, 0x400, v7
	v_add_co_u32 v3, s1, 0x2000, v3
	v_add_nc_u32_e32 v6, 0x2000, v6
	v_add_co_ci_u32_e64 v4, s1, 0, v4, s1
	s_delay_alu instid0(VALU_DEP_4) | instskip(NEXT) | instid1(VALU_DEP_1)
	v_cmp_le_i32_e64 s0, s20, v7
	s_or_b32 s2, s0, s2
	s_waitcnt vmcnt(0) lgkmcnt(0)
	v_mul_f64 v[8:9], v[8:9], v[10:11]
	s_delay_alu instid0(VALU_DEP_1)
	v_add_f64 v[1:2], v[1:2], v[8:9]
	s_and_not1_b32 exec_lo, exec_lo, s2
	s_cbranch_execnz .LBB43_4
; %bb.5:
	s_or_b32 exec_lo, exec_lo, s2
.LBB43_6:
	s_delay_alu instid0(SALU_CYCLE_1) | instskip(SKIP_2) | instid1(VALU_DEP_1)
	s_or_b32 exec_lo, exec_lo, s14
	v_mbcnt_lo_u32_b32 v6, -1, 0
	s_mov_b32 s1, exec_lo
	v_cmp_ne_u32_e64 s0, 31, v6
	s_delay_alu instid0(VALU_DEP_1) | instskip(SKIP_1) | instid1(VALU_DEP_2)
	v_add_co_ci_u32_e64 v3, s0, 0, v6, s0
	v_cmp_gt_u32_e64 s0, 30, v6
	v_lshlrev_b32_e32 v4, 2, v3
	ds_bpermute_b32 v3, v4, v1
	ds_bpermute_b32 v4, v4, v2
	s_waitcnt lgkmcnt(0)
	v_add_f64 v[1:2], v[1:2], v[3:4]
	v_cndmask_b32_e64 v3, 0, 1, s0
	v_cmp_gt_u32_e64 s0, 28, v6
	s_delay_alu instid0(VALU_DEP_2) | instskip(NEXT) | instid1(VALU_DEP_1)
	v_lshlrev_b32_e32 v3, 1, v3
	v_add_lshl_u32 v4, v3, v6, 2
	ds_bpermute_b32 v3, v4, v1
	ds_bpermute_b32 v4, v4, v2
	s_waitcnt lgkmcnt(0)
	v_add_f64 v[1:2], v[1:2], v[3:4]
	v_cndmask_b32_e64 v3, 0, 1, s0
	v_cmp_gt_u32_e64 s0, 24, v6
	s_delay_alu instid0(VALU_DEP_2) | instskip(NEXT) | instid1(VALU_DEP_1)
	v_lshlrev_b32_e32 v3, 2, v3
	v_add_lshl_u32 v4, v3, v6, 2
	;; [unrolled: 9-line block ×3, first 2 shown]
	ds_bpermute_b32 v3, v4, v1
	ds_bpermute_b32 v4, v4, v2
	s_waitcnt lgkmcnt(0)
	v_add_f64 v[1:2], v[1:2], v[3:4]
	v_cndmask_b32_e64 v3, 0, 1, s0
	s_delay_alu instid0(VALU_DEP_1) | instskip(NEXT) | instid1(VALU_DEP_1)
	v_lshlrev_b32_e32 v3, 4, v3
	v_add_lshl_u32 v4, v3, v6, 2
	ds_bpermute_b32 v3, v4, v1
	ds_bpermute_b32 v4, v4, v2
	s_waitcnt lgkmcnt(0)
	v_add_f64 v[1:2], v[1:2], v[3:4]
	v_and_b32_e32 v3, 31, v0
	s_delay_alu instid0(VALU_DEP_1)
	v_cmpx_eq_u32_e32 0, v3
	s_cbranch_execz .LBB43_8
; %bb.7:
	v_lshrrev_b32_e32 v3, 2, v0
	s_delay_alu instid0(VALU_DEP_1)
	v_add_nc_u32_e32 v3, 0, v3
	ds_store_b64 v3, v[1:2]
.LBB43_8:
	s_or_b32 exec_lo, exec_lo, s1
	s_delay_alu instid0(SALU_CYCLE_1)
	s_mov_b32 s1, exec_lo
	s_waitcnt lgkmcnt(0)
	s_barrier
	buffer_gl0_inv
	v_cmpx_eq_u32_e32 0, v0
	s_cbranch_execz .LBB43_10
; %bb.9:
	v_mov_b32_e32 v14, 0
	ds_load_2addr_b64 v[6:9], v14 offset0:1 offset1:2
	ds_load_2addr_b64 v[10:13], v14 offset0:3 offset1:4
	s_waitcnt lgkmcnt(1)
	v_add_f64 v[1:2], v[1:2], v[6:7]
	s_delay_alu instid0(VALU_DEP_1) | instskip(SKIP_1) | instid1(VALU_DEP_1)
	v_add_f64 v[1:2], v[1:2], v[8:9]
	s_waitcnt lgkmcnt(0)
	v_add_f64 v[1:2], v[1:2], v[10:11]
	s_delay_alu instid0(VALU_DEP_1) | instskip(SKIP_4) | instid1(VALU_DEP_1)
	v_add_f64 v[10:11], v[1:2], v[12:13]
	ds_load_2addr_b64 v[1:4], v14 offset0:5 offset1:6
	ds_load_2addr_b64 v[6:9], v14 offset0:7 offset1:8
	s_waitcnt lgkmcnt(1)
	v_add_f64 v[1:2], v[10:11], v[1:2]
	v_add_f64 v[1:2], v[1:2], v[3:4]
	s_waitcnt lgkmcnt(0)
	s_delay_alu instid0(VALU_DEP_1) | instskip(NEXT) | instid1(VALU_DEP_1)
	v_add_f64 v[1:2], v[1:2], v[6:7]
	v_add_f64 v[10:11], v[1:2], v[8:9]
	ds_load_2addr_b64 v[1:4], v14 offset0:9 offset1:10
	ds_load_2addr_b64 v[6:9], v14 offset0:11 offset1:12
	s_waitcnt lgkmcnt(1)
	v_add_f64 v[1:2], v[10:11], v[1:2]
	s_delay_alu instid0(VALU_DEP_1) | instskip(SKIP_1) | instid1(VALU_DEP_1)
	v_add_f64 v[1:2], v[1:2], v[3:4]
	s_waitcnt lgkmcnt(0)
	v_add_f64 v[1:2], v[1:2], v[6:7]
	s_delay_alu instid0(VALU_DEP_1) | instskip(SKIP_4) | instid1(VALU_DEP_1)
	v_add_f64 v[10:11], v[1:2], v[8:9]
	ds_load_2addr_b64 v[1:4], v14 offset0:13 offset1:14
	ds_load_2addr_b64 v[6:9], v14 offset0:15 offset1:16
	s_waitcnt lgkmcnt(1)
	v_add_f64 v[1:2], v[10:11], v[1:2]
	v_add_f64 v[1:2], v[1:2], v[3:4]
	s_waitcnt lgkmcnt(0)
	s_delay_alu instid0(VALU_DEP_1) | instskip(NEXT) | instid1(VALU_DEP_1)
	v_add_f64 v[1:2], v[1:2], v[6:7]
	v_add_f64 v[10:11], v[1:2], v[8:9]
	;; [unrolled: 19-line block ×3, first 2 shown]
	ds_load_2addr_b64 v[1:4], v14 offset0:25 offset1:26
	ds_load_2addr_b64 v[6:9], v14 offset0:27 offset1:28
	s_waitcnt lgkmcnt(1)
	v_add_f64 v[1:2], v[10:11], v[1:2]
	s_delay_alu instid0(VALU_DEP_1) | instskip(SKIP_1) | instid1(VALU_DEP_1)
	v_add_f64 v[1:2], v[1:2], v[3:4]
	s_waitcnt lgkmcnt(0)
	v_add_f64 v[1:2], v[1:2], v[6:7]
	s_delay_alu instid0(VALU_DEP_1) | instskip(SKIP_4) | instid1(VALU_DEP_1)
	v_add_f64 v[6:7], v[1:2], v[8:9]
	ds_load_2addr_b64 v[1:4], v14 offset0:29 offset1:30
	ds_load_b64 v[8:9], v14 offset:248
	s_waitcnt lgkmcnt(1)
	v_add_f64 v[1:2], v[6:7], v[1:2]
	v_add_f64 v[1:2], v[1:2], v[3:4]
	s_waitcnt lgkmcnt(0)
	s_delay_alu instid0(VALU_DEP_1)
	v_add_f64 v[1:2], v[1:2], v[8:9]
	ds_store_b64 v14, v[1:2]
.LBB43_10:
	s_or_b32 exec_lo, exec_lo, s1
	s_waitcnt lgkmcnt(0)
	s_barrier
	buffer_gl0_inv
	s_and_saveexec_b32 s0, vcc_lo
	s_cbranch_execz .LBB43_13
; %bb.11:
	s_mul_i32 s0, s15, s9
	s_mul_hi_u32 s1, s15, s8
	s_mul_i32 s2, s24, s8
	s_add_i32 s1, s1, s0
	s_mul_i32 s0, s15, s8
	s_add_i32 s1, s1, s2
	v_mov_b32_e32 v1, 0
	s_lshl_b64 s[0:1], s[0:1], 3
	v_add3_u32 v6, v5, 0, 0x100
	s_add_u32 s0, s6, s0
	s_addc_u32 s1, s7, s1
	ds_load_b64 v[1:2], v1
	s_load_b64 s[0:1], s[0:1], 0x0
	s_lshl_b64 s[2:3], s[16:17], 3
	s_waitcnt lgkmcnt(0)
	v_mul_f64 v[1:2], v[1:2], -s[0:1]
	s_add_i32 s0, s22, s21
	s_delay_alu instid0(SALU_CYCLE_1) | instskip(NEXT) | instid1(SALU_CYCLE_1)
	s_add_i32 s19, s0, s23
	s_lshl_b64 s[0:1], s[18:19], 3
	s_delay_alu instid0(SALU_CYCLE_1) | instskip(SKIP_2) | instid1(SALU_CYCLE_1)
	s_add_u32 s2, s0, s2
	s_addc_u32 s3, s1, s3
	s_lshl_b64 s[0:1], s[12:13], 3
	s_add_u32 s0, s2, s0
	s_addc_u32 s1, s3, s1
	s_add_u32 s0, s10, s0
	s_addc_u32 s1, s11, s1
	v_add_co_u32 v3, s0, s0, v5
	s_delay_alu instid0(VALU_DEP_1)
	v_add_co_ci_u32_e64 v4, null, s1, 0, s0
	s_mov_b32 s1, 0
	.p2align	6
.LBB43_12:                              ; =>This Inner Loop Header: Depth=1
	global_load_b64 v[7:8], v[3:4], off
	ds_load_b64 v[9:10], v6
	v_add_nc_u32_e32 v0, 0x400, v0
	v_add_nc_u32_e32 v6, 0x2000, v6
	s_delay_alu instid0(VALU_DEP_2)
	v_cmp_le_i32_e32 vcc_lo, s20, v0
	s_or_b32 s1, vcc_lo, s1
	s_waitcnt vmcnt(0) lgkmcnt(0)
	v_fma_f64 v[7:8], v[1:2], v[9:10], v[7:8]
	global_store_b64 v[3:4], v[7:8], off
	v_add_co_u32 v3, s0, 0x2000, v3
	s_delay_alu instid0(VALU_DEP_1)
	v_add_co_ci_u32_e64 v4, s0, 0, v4, s0
	s_and_not1_b32 exec_lo, exec_lo, s1
	s_cbranch_execnz .LBB43_12
.LBB43_13:
	s_nop 0
	s_sendmsg sendmsg(MSG_DEALLOC_VGPRS)
	s_endpgm
	.section	.rodata,"a",@progbits
	.p2align	6, 0x0
	.amdhsa_kernel _ZN9rocsolver6v33100L16larf_left_kernelILi1024EdiPdEEvT1_S3_T2_lS3_lPKT0_lS4_lS3_l
		.amdhsa_group_segment_fixed_size 0
		.amdhsa_private_segment_fixed_size 0
		.amdhsa_kernarg_size 88
		.amdhsa_user_sgpr_count 13
		.amdhsa_user_sgpr_dispatch_ptr 0
		.amdhsa_user_sgpr_queue_ptr 0
		.amdhsa_user_sgpr_kernarg_segment_ptr 1
		.amdhsa_user_sgpr_dispatch_id 0
		.amdhsa_user_sgpr_private_segment_size 0
		.amdhsa_wavefront_size32 1
		.amdhsa_uses_dynamic_stack 0
		.amdhsa_enable_private_segment 0
		.amdhsa_system_sgpr_workgroup_id_x 1
		.amdhsa_system_sgpr_workgroup_id_y 1
		.amdhsa_system_sgpr_workgroup_id_z 1
		.amdhsa_system_sgpr_workgroup_info 0
		.amdhsa_system_vgpr_workitem_id 0
		.amdhsa_next_free_vgpr 15
		.amdhsa_next_free_sgpr 30
		.amdhsa_reserve_vcc 1
		.amdhsa_float_round_mode_32 0
		.amdhsa_float_round_mode_16_64 0
		.amdhsa_float_denorm_mode_32 3
		.amdhsa_float_denorm_mode_16_64 3
		.amdhsa_dx10_clamp 1
		.amdhsa_ieee_mode 1
		.amdhsa_fp16_overflow 0
		.amdhsa_workgroup_processor_mode 1
		.amdhsa_memory_ordered 1
		.amdhsa_forward_progress 0
		.amdhsa_shared_vgpr_count 0
		.amdhsa_exception_fp_ieee_invalid_op 0
		.amdhsa_exception_fp_denorm_src 0
		.amdhsa_exception_fp_ieee_div_zero 0
		.amdhsa_exception_fp_ieee_overflow 0
		.amdhsa_exception_fp_ieee_underflow 0
		.amdhsa_exception_fp_ieee_inexact 0
		.amdhsa_exception_int_div_zero 0
	.end_amdhsa_kernel
	.section	.text._ZN9rocsolver6v33100L16larf_left_kernelILi1024EdiPdEEvT1_S3_T2_lS3_lPKT0_lS4_lS3_l,"axG",@progbits,_ZN9rocsolver6v33100L16larf_left_kernelILi1024EdiPdEEvT1_S3_T2_lS3_lPKT0_lS4_lS3_l,comdat
.Lfunc_end43:
	.size	_ZN9rocsolver6v33100L16larf_left_kernelILi1024EdiPdEEvT1_S3_T2_lS3_lPKT0_lS4_lS3_l, .Lfunc_end43-_ZN9rocsolver6v33100L16larf_left_kernelILi1024EdiPdEEvT1_S3_T2_lS3_lPKT0_lS4_lS3_l
                                        ; -- End function
	.section	.AMDGPU.csdata,"",@progbits
; Kernel info:
; codeLenInByte = 1736
; NumSgprs: 32
; NumVgprs: 15
; ScratchSize: 0
; MemoryBound: 0
; FloatMode: 240
; IeeeMode: 1
; LDSByteSize: 0 bytes/workgroup (compile time only)
; SGPRBlocks: 3
; VGPRBlocks: 1
; NumSGPRsForWavesPerEU: 32
; NumVGPRsForWavesPerEU: 15
; Occupancy: 16
; WaveLimiterHint : 0
; COMPUTE_PGM_RSRC2:SCRATCH_EN: 0
; COMPUTE_PGM_RSRC2:USER_SGPR: 13
; COMPUTE_PGM_RSRC2:TRAP_HANDLER: 0
; COMPUTE_PGM_RSRC2:TGID_X_EN: 1
; COMPUTE_PGM_RSRC2:TGID_Y_EN: 1
; COMPUTE_PGM_RSRC2:TGID_Z_EN: 1
; COMPUTE_PGM_RSRC2:TIDIG_COMP_CNT: 0
	.section	.text._ZN9rocsolver6v33100L17larf_right_kernelILi1024EdiPdEEvT1_S3_T2_lS3_lPKT0_lS4_lS3_l,"axG",@progbits,_ZN9rocsolver6v33100L17larf_right_kernelILi1024EdiPdEEvT1_S3_T2_lS3_lPKT0_lS4_lS3_l,comdat
	.globl	_ZN9rocsolver6v33100L17larf_right_kernelILi1024EdiPdEEvT1_S3_T2_lS3_lPKT0_lS4_lS3_l ; -- Begin function _ZN9rocsolver6v33100L17larf_right_kernelILi1024EdiPdEEvT1_S3_T2_lS3_lPKT0_lS4_lS3_l
	.p2align	8
	.type	_ZN9rocsolver6v33100L17larf_right_kernelILi1024EdiPdEEvT1_S3_T2_lS3_lPKT0_lS4_lS3_l,@function
_ZN9rocsolver6v33100L17larf_right_kernelILi1024EdiPdEEvT1_S3_T2_lS3_lPKT0_lS4_lS3_l: ; @_ZN9rocsolver6v33100L17larf_right_kernelILi1024EdiPdEEvT1_S3_T2_lS3_lPKT0_lS4_lS3_l
; %bb.0:
	s_clause 0x4
	s_load_b32 s24, s[0:1], 0x4
	s_load_b64 s[16:17], s[0:1], 0x50
	s_load_b64 s[20:21], s[0:1], 0x40
	s_load_b32 s12, s[0:1], 0x48
	s_load_b256 s[4:11], s[0:1], 0x20
	v_mov_b32_e32 v1, 0
	v_dual_mov_b32 v2, 0 :: v_dual_lshlrev_b32 v5, 3, v0
	s_mov_b32 s2, s15
	s_ashr_i32 s27, s15, 31
	s_ashr_i32 s15, s14, 31
	s_waitcnt lgkmcnt(0)
	v_cmp_gt_i32_e32 vcc_lo, s24, v0
	s_mul_i32 s3, s16, s27
	s_mul_hi_u32 s26, s16, s2
	s_mul_i32 s25, s17, s2
	s_mul_i32 s22, s16, s2
	s_and_saveexec_b32 s28, vcc_lo
	s_cbranch_execz .LBB44_6
; %bb.1:
	s_clause 0x1
	s_load_b32 s30, s[0:1], 0x18
	s_load_b128 s[16:19], s[0:1], 0x8
	s_sub_i32 s1, 1, s24
	s_mul_i32 s13, s4, s27
	s_mul_hi_u32 s29, s4, s2
	s_mul_i32 s0, s4, s2
	s_mul_i32 s33, s5, s2
	v_add3_u32 v6, v5, 0, 0x100
	s_delay_alu instid0(VALU_DEP_1)
	v_dual_mov_b32 v4, v0 :: v_dual_mov_b32 v3, v6
	s_waitcnt lgkmcnt(0)
	s_ashr_i32 s31, s30, 31
	v_mad_i64_i32 v[1:2], null, s30, v0, 0
	v_cmp_lt_i64_e64 s23, s[30:31], 1
	s_mul_i32 s1, s1, s30
	s_delay_alu instid0(VALU_DEP_1)
	s_and_b32 s4, s23, exec_lo
	s_cselect_b32 s4, s1, 0
	s_add_i32 s1, s29, s13
	s_ashr_i32 s5, s4, 31
	s_add_i32 s1, s1, s33
	s_lshl_b64 s[4:5], s[4:5], 3
	s_lshl_b64 s[18:19], s[18:19], 3
	;; [unrolled: 1-line block ×3, first 2 shown]
	v_lshlrev_b64 v[1:2], 3, v[1:2]
	s_add_u32 s4, s16, s4
	s_addc_u32 s5, s17, s5
	s_add_u32 s4, s4, s18
	s_addc_u32 s5, s5, s19
	;; [unrolled: 2-line block ×3, first 2 shown]
	v_add_co_u32 v1, s0, s0, v1
	s_delay_alu instid0(VALU_DEP_1)
	v_add_co_ci_u32_e64 v2, s0, s1, v2, s0
	s_mov_b32 s13, 0
	s_lshl_b64 s[4:5], s[30:31], 13
	.p2align	6
.LBB44_2:                               ; =>This Inner Loop Header: Depth=1
	global_load_b64 v[7:8], v[1:2], off
	v_add_nc_u32_e32 v4, 0x400, v4
	v_add_co_u32 v1, s0, v1, s4
	s_delay_alu instid0(VALU_DEP_1) | instskip(NEXT) | instid1(VALU_DEP_3)
	v_add_co_ci_u32_e64 v2, s0, s5, v2, s0
	v_cmp_le_i32_e64 s1, s24, v4
	s_delay_alu instid0(VALU_DEP_1)
	s_or_b32 s13, s1, s13
	s_waitcnt vmcnt(0)
	ds_store_b64 v3, v[7:8]
	v_add_nc_u32_e32 v3, 0x2000, v3
	s_and_not1_b32 exec_lo, exec_lo, s13
	s_cbranch_execnz .LBB44_2
; %bb.3:
	s_or_b32 exec_lo, exec_lo, s13
	v_mad_i64_i32 v[1:2], null, s12, v0, 0
	s_add_i32 s4, s26, s3
	s_ashr_i32 s13, s12, 31
	s_add_i32 s23, s4, s25
	s_lshl_b64 s[4:5], s[14:15], 3
	s_lshl_b64 s[0:1], s[20:21], 3
	;; [unrolled: 1-line block ×3, first 2 shown]
	s_delay_alu instid0(VALU_DEP_1)
	v_lshlrev_b64 v[1:2], 3, v[1:2]
	s_add_u32 s4, s10, s4
	s_addc_u32 s5, s11, s5
	s_add_u32 s0, s4, s0
	s_addc_u32 s1, s5, s1
	;; [unrolled: 2-line block ×3, first 2 shown]
	v_add_co_u32 v3, s0, s0, v1
	s_delay_alu instid0(VALU_DEP_1)
	v_add_co_ci_u32_e64 v4, s0, s1, v2, s0
	v_mov_b32_e32 v1, 0
	v_dual_mov_b32 v2, 0 :: v_dual_mov_b32 v7, v0
	s_lshl_b64 s[4:5], s[12:13], 13
	s_mov_b32 s13, 0
	.p2align	6
.LBB44_4:                               ; =>This Inner Loop Header: Depth=1
	global_load_b64 v[8:9], v[3:4], off
	ds_load_b64 v[10:11], v6
	v_add_nc_u32_e32 v7, 0x400, v7
	v_add_co_u32 v3, s1, v3, s4
	v_add_nc_u32_e32 v6, 0x2000, v6
	v_add_co_ci_u32_e64 v4, s1, s5, v4, s1
	s_delay_alu instid0(VALU_DEP_4) | instskip(NEXT) | instid1(VALU_DEP_1)
	v_cmp_le_i32_e64 s0, s24, v7
	s_or_b32 s13, s0, s13
	s_waitcnt vmcnt(0) lgkmcnt(0)
	v_mul_f64 v[8:9], v[8:9], v[10:11]
	s_delay_alu instid0(VALU_DEP_1)
	v_add_f64 v[1:2], v[1:2], v[8:9]
	s_and_not1_b32 exec_lo, exec_lo, s13
	s_cbranch_execnz .LBB44_4
; %bb.5:
	s_or_b32 exec_lo, exec_lo, s13
.LBB44_6:
	s_delay_alu instid0(SALU_CYCLE_1) | instskip(SKIP_2) | instid1(VALU_DEP_1)
	s_or_b32 exec_lo, exec_lo, s28
	v_mbcnt_lo_u32_b32 v6, -1, 0
	s_mov_b32 s1, exec_lo
	v_cmp_ne_u32_e64 s0, 31, v6
	s_delay_alu instid0(VALU_DEP_1) | instskip(SKIP_1) | instid1(VALU_DEP_2)
	v_add_co_ci_u32_e64 v3, s0, 0, v6, s0
	v_cmp_gt_u32_e64 s0, 30, v6
	v_lshlrev_b32_e32 v4, 2, v3
	ds_bpermute_b32 v3, v4, v1
	ds_bpermute_b32 v4, v4, v2
	s_waitcnt lgkmcnt(0)
	v_add_f64 v[1:2], v[1:2], v[3:4]
	v_cndmask_b32_e64 v3, 0, 1, s0
	v_cmp_gt_u32_e64 s0, 28, v6
	s_delay_alu instid0(VALU_DEP_2) | instskip(NEXT) | instid1(VALU_DEP_1)
	v_lshlrev_b32_e32 v3, 1, v3
	v_add_lshl_u32 v4, v3, v6, 2
	ds_bpermute_b32 v3, v4, v1
	ds_bpermute_b32 v4, v4, v2
	s_waitcnt lgkmcnt(0)
	v_add_f64 v[1:2], v[1:2], v[3:4]
	v_cndmask_b32_e64 v3, 0, 1, s0
	v_cmp_gt_u32_e64 s0, 24, v6
	s_delay_alu instid0(VALU_DEP_2) | instskip(NEXT) | instid1(VALU_DEP_1)
	v_lshlrev_b32_e32 v3, 2, v3
	v_add_lshl_u32 v4, v3, v6, 2
	;; [unrolled: 9-line block ×3, first 2 shown]
	ds_bpermute_b32 v3, v4, v1
	ds_bpermute_b32 v4, v4, v2
	s_waitcnt lgkmcnt(0)
	v_add_f64 v[1:2], v[1:2], v[3:4]
	v_cndmask_b32_e64 v3, 0, 1, s0
	s_delay_alu instid0(VALU_DEP_1) | instskip(NEXT) | instid1(VALU_DEP_1)
	v_lshlrev_b32_e32 v3, 4, v3
	v_add_lshl_u32 v4, v3, v6, 2
	ds_bpermute_b32 v3, v4, v1
	ds_bpermute_b32 v4, v4, v2
	s_waitcnt lgkmcnt(0)
	v_add_f64 v[1:2], v[1:2], v[3:4]
	v_and_b32_e32 v3, 31, v0
	s_delay_alu instid0(VALU_DEP_1)
	v_cmpx_eq_u32_e32 0, v3
	s_cbranch_execz .LBB44_8
; %bb.7:
	v_lshrrev_b32_e32 v3, 2, v0
	s_delay_alu instid0(VALU_DEP_1)
	v_add_nc_u32_e32 v3, 0, v3
	ds_store_b64 v3, v[1:2]
.LBB44_8:
	s_or_b32 exec_lo, exec_lo, s1
	s_delay_alu instid0(SALU_CYCLE_1)
	s_mov_b32 s1, exec_lo
	s_waitcnt lgkmcnt(0)
	s_barrier
	buffer_gl0_inv
	v_cmpx_eq_u32_e32 0, v0
	s_cbranch_execz .LBB44_10
; %bb.9:
	v_mov_b32_e32 v14, 0
	ds_load_2addr_b64 v[6:9], v14 offset0:1 offset1:2
	ds_load_2addr_b64 v[10:13], v14 offset0:3 offset1:4
	s_waitcnt lgkmcnt(1)
	v_add_f64 v[1:2], v[1:2], v[6:7]
	s_delay_alu instid0(VALU_DEP_1) | instskip(SKIP_1) | instid1(VALU_DEP_1)
	v_add_f64 v[1:2], v[1:2], v[8:9]
	s_waitcnt lgkmcnt(0)
	v_add_f64 v[1:2], v[1:2], v[10:11]
	s_delay_alu instid0(VALU_DEP_1) | instskip(SKIP_4) | instid1(VALU_DEP_1)
	v_add_f64 v[10:11], v[1:2], v[12:13]
	ds_load_2addr_b64 v[1:4], v14 offset0:5 offset1:6
	ds_load_2addr_b64 v[6:9], v14 offset0:7 offset1:8
	s_waitcnt lgkmcnt(1)
	v_add_f64 v[1:2], v[10:11], v[1:2]
	v_add_f64 v[1:2], v[1:2], v[3:4]
	s_waitcnt lgkmcnt(0)
	s_delay_alu instid0(VALU_DEP_1) | instskip(NEXT) | instid1(VALU_DEP_1)
	v_add_f64 v[1:2], v[1:2], v[6:7]
	v_add_f64 v[10:11], v[1:2], v[8:9]
	ds_load_2addr_b64 v[1:4], v14 offset0:9 offset1:10
	ds_load_2addr_b64 v[6:9], v14 offset0:11 offset1:12
	s_waitcnt lgkmcnt(1)
	v_add_f64 v[1:2], v[10:11], v[1:2]
	s_delay_alu instid0(VALU_DEP_1) | instskip(SKIP_1) | instid1(VALU_DEP_1)
	v_add_f64 v[1:2], v[1:2], v[3:4]
	s_waitcnt lgkmcnt(0)
	v_add_f64 v[1:2], v[1:2], v[6:7]
	s_delay_alu instid0(VALU_DEP_1) | instskip(SKIP_4) | instid1(VALU_DEP_1)
	v_add_f64 v[10:11], v[1:2], v[8:9]
	ds_load_2addr_b64 v[1:4], v14 offset0:13 offset1:14
	ds_load_2addr_b64 v[6:9], v14 offset0:15 offset1:16
	s_waitcnt lgkmcnt(1)
	v_add_f64 v[1:2], v[10:11], v[1:2]
	v_add_f64 v[1:2], v[1:2], v[3:4]
	s_waitcnt lgkmcnt(0)
	s_delay_alu instid0(VALU_DEP_1) | instskip(NEXT) | instid1(VALU_DEP_1)
	v_add_f64 v[1:2], v[1:2], v[6:7]
	v_add_f64 v[10:11], v[1:2], v[8:9]
	;; [unrolled: 19-line block ×3, first 2 shown]
	ds_load_2addr_b64 v[1:4], v14 offset0:25 offset1:26
	ds_load_2addr_b64 v[6:9], v14 offset0:27 offset1:28
	s_waitcnt lgkmcnt(1)
	v_add_f64 v[1:2], v[10:11], v[1:2]
	s_delay_alu instid0(VALU_DEP_1) | instskip(SKIP_1) | instid1(VALU_DEP_1)
	v_add_f64 v[1:2], v[1:2], v[3:4]
	s_waitcnt lgkmcnt(0)
	v_add_f64 v[1:2], v[1:2], v[6:7]
	s_delay_alu instid0(VALU_DEP_1) | instskip(SKIP_4) | instid1(VALU_DEP_1)
	v_add_f64 v[6:7], v[1:2], v[8:9]
	ds_load_2addr_b64 v[1:4], v14 offset0:29 offset1:30
	ds_load_b64 v[8:9], v14 offset:248
	s_waitcnt lgkmcnt(1)
	v_add_f64 v[1:2], v[6:7], v[1:2]
	v_add_f64 v[1:2], v[1:2], v[3:4]
	s_waitcnt lgkmcnt(0)
	s_delay_alu instid0(VALU_DEP_1)
	v_add_f64 v[1:2], v[1:2], v[8:9]
	ds_store_b64 v14, v[1:2]
.LBB44_10:
	s_or_b32 exec_lo, exec_lo, s1
	s_waitcnt lgkmcnt(0)
	s_barrier
	buffer_gl0_inv
	s_and_saveexec_b32 s0, vcc_lo
	s_cbranch_execz .LBB44_13
; %bb.11:
	s_mul_i32 s0, s2, s9
	s_mul_hi_u32 s1, s2, s8
	s_mul_i32 s4, s27, s8
	s_add_i32 s1, s1, s0
	s_mul_i32 s0, s2, s8
	s_add_i32 s1, s1, s4
	v_mov_b32_e32 v1, 0
	s_lshl_b64 s[0:1], s[0:1], 3
	v_mad_i64_i32 v[3:4], null, s12, v0, 0
	s_add_u32 s0, s6, s0
	s_addc_u32 s1, s7, s1
	ds_load_b64 v[1:2], v1
	s_load_b64 s[0:1], s[0:1], 0x0
	s_ashr_i32 s13, s12, 31
	s_lshl_b64 s[4:5], s[20:21], 3
	v_lshlrev_b64 v[3:4], 3, v[3:4]
	v_add3_u32 v5, v5, 0, 0x100
	s_waitcnt lgkmcnt(0)
	v_mul_f64 v[1:2], v[1:2], -s[0:1]
	s_add_i32 s0, s26, s3
	s_lshl_b64 s[2:3], s[14:15], 3
	s_add_i32 s23, s0, s25
	s_delay_alu instid0(SALU_CYCLE_1)
	s_lshl_b64 s[0:1], s[22:23], 3
	s_add_u32 s2, s10, s2
	s_addc_u32 s3, s11, s3
	s_add_u32 s2, s2, s4
	s_addc_u32 s3, s3, s5
	;; [unrolled: 2-line block ×3, first 2 shown]
	v_add_co_u32 v3, vcc_lo, s0, v3
	v_add_co_ci_u32_e32 v4, vcc_lo, s1, v4, vcc_lo
	s_mov_b32 s1, 0
	s_lshl_b64 s[2:3], s[12:13], 13
	.p2align	6
.LBB44_12:                              ; =>This Inner Loop Header: Depth=1
	global_load_b64 v[6:7], v[3:4], off
	ds_load_b64 v[8:9], v5
	v_add_nc_u32_e32 v0, 0x400, v0
	v_add_nc_u32_e32 v5, 0x2000, v5
	s_delay_alu instid0(VALU_DEP_2)
	v_cmp_le_i32_e32 vcc_lo, s24, v0
	s_or_b32 s1, vcc_lo, s1
	s_waitcnt vmcnt(0) lgkmcnt(0)
	v_fma_f64 v[6:7], v[1:2], v[8:9], v[6:7]
	global_store_b64 v[3:4], v[6:7], off
	v_add_co_u32 v3, s0, v3, s2
	s_delay_alu instid0(VALU_DEP_1)
	v_add_co_ci_u32_e64 v4, s0, s3, v4, s0
	s_and_not1_b32 exec_lo, exec_lo, s1
	s_cbranch_execnz .LBB44_12
.LBB44_13:
	s_nop 0
	s_sendmsg sendmsg(MSG_DEALLOC_VGPRS)
	s_endpgm
	.section	.rodata,"a",@progbits
	.p2align	6, 0x0
	.amdhsa_kernel _ZN9rocsolver6v33100L17larf_right_kernelILi1024EdiPdEEvT1_S3_T2_lS3_lPKT0_lS4_lS3_l
		.amdhsa_group_segment_fixed_size 0
		.amdhsa_private_segment_fixed_size 0
		.amdhsa_kernarg_size 88
		.amdhsa_user_sgpr_count 13
		.amdhsa_user_sgpr_dispatch_ptr 0
		.amdhsa_user_sgpr_queue_ptr 0
		.amdhsa_user_sgpr_kernarg_segment_ptr 1
		.amdhsa_user_sgpr_dispatch_id 0
		.amdhsa_user_sgpr_private_segment_size 0
		.amdhsa_wavefront_size32 1
		.amdhsa_uses_dynamic_stack 0
		.amdhsa_enable_private_segment 0
		.amdhsa_system_sgpr_workgroup_id_x 1
		.amdhsa_system_sgpr_workgroup_id_y 1
		.amdhsa_system_sgpr_workgroup_id_z 1
		.amdhsa_system_sgpr_workgroup_info 0
		.amdhsa_system_vgpr_workitem_id 0
		.amdhsa_next_free_vgpr 15
		.amdhsa_next_free_sgpr 34
		.amdhsa_reserve_vcc 1
		.amdhsa_float_round_mode_32 0
		.amdhsa_float_round_mode_16_64 0
		.amdhsa_float_denorm_mode_32 3
		.amdhsa_float_denorm_mode_16_64 3
		.amdhsa_dx10_clamp 1
		.amdhsa_ieee_mode 1
		.amdhsa_fp16_overflow 0
		.amdhsa_workgroup_processor_mode 1
		.amdhsa_memory_ordered 1
		.amdhsa_forward_progress 0
		.amdhsa_shared_vgpr_count 0
		.amdhsa_exception_fp_ieee_invalid_op 0
		.amdhsa_exception_fp_denorm_src 0
		.amdhsa_exception_fp_ieee_div_zero 0
		.amdhsa_exception_fp_ieee_overflow 0
		.amdhsa_exception_fp_ieee_underflow 0
		.amdhsa_exception_fp_ieee_inexact 0
		.amdhsa_exception_int_div_zero 0
	.end_amdhsa_kernel
	.section	.text._ZN9rocsolver6v33100L17larf_right_kernelILi1024EdiPdEEvT1_S3_T2_lS3_lPKT0_lS4_lS3_l,"axG",@progbits,_ZN9rocsolver6v33100L17larf_right_kernelILi1024EdiPdEEvT1_S3_T2_lS3_lPKT0_lS4_lS3_l,comdat
.Lfunc_end44:
	.size	_ZN9rocsolver6v33100L17larf_right_kernelILi1024EdiPdEEvT1_S3_T2_lS3_lPKT0_lS4_lS3_l, .Lfunc_end44-_ZN9rocsolver6v33100L17larf_right_kernelILi1024EdiPdEEvT1_S3_T2_lS3_lPKT0_lS4_lS3_l
                                        ; -- End function
	.section	.AMDGPU.csdata,"",@progbits
; Kernel info:
; codeLenInByte = 1764
; NumSgprs: 36
; NumVgprs: 15
; ScratchSize: 0
; MemoryBound: 0
; FloatMode: 240
; IeeeMode: 1
; LDSByteSize: 0 bytes/workgroup (compile time only)
; SGPRBlocks: 4
; VGPRBlocks: 1
; NumSGPRsForWavesPerEU: 36
; NumVGPRsForWavesPerEU: 15
; Occupancy: 16
; WaveLimiterHint : 0
; COMPUTE_PGM_RSRC2:SCRATCH_EN: 0
; COMPUTE_PGM_RSRC2:USER_SGPR: 13
; COMPUTE_PGM_RSRC2:TRAP_HANDLER: 0
; COMPUTE_PGM_RSRC2:TGID_X_EN: 1
; COMPUTE_PGM_RSRC2:TGID_Y_EN: 1
; COMPUTE_PGM_RSRC2:TGID_Z_EN: 1
; COMPUTE_PGM_RSRC2:TIDIG_COMP_CNT: 0
	.section	.text._ZN9rocsolver6v33100L12restore_diagIdidPdEEvPT1_llT2_lT0_lS6_,"axG",@progbits,_ZN9rocsolver6v33100L12restore_diagIdidPdEEvPT1_llT2_lT0_lS6_,comdat
	.globl	_ZN9rocsolver6v33100L12restore_diagIdidPdEEvPT1_llT2_lT0_lS6_ ; -- Begin function _ZN9rocsolver6v33100L12restore_diagIdidPdEEvPT1_llT2_lT0_lS6_
	.p2align	8
	.type	_ZN9rocsolver6v33100L12restore_diagIdidPdEEvPT1_llT2_lT0_lS6_,@function
_ZN9rocsolver6v33100L12restore_diagIdidPdEEvPT1_llT2_lT0_lS6_: ; @_ZN9rocsolver6v33100L12restore_diagIdidPdEEvPT1_llT2_lT0_lS6_
; %bb.0:
	s_clause 0x1
	s_load_b32 s2, s[0:1], 0x4c
	s_load_b32 s3, s[0:1], 0x38
	v_bfe_u32 v2, v0, 10, 10
	s_waitcnt lgkmcnt(0)
	s_lshr_b32 s2, s2, 16
	s_delay_alu instid0(VALU_DEP_1) | instid1(SALU_CYCLE_1)
	v_mad_u64_u32 v[0:1], null, s15, s2, v[2:3]
	s_mov_b32 s2, exec_lo
	s_delay_alu instid0(VALU_DEP_1)
	v_cmpx_gt_i32_e64 s3, v0
	s_cbranch_execz .LBB45_2
; %bb.1:
	s_clause 0x3
	s_load_b64 s[2:3], s[0:1], 0x30
	s_load_b256 s[4:11], s[0:1], 0x0
	s_load_b32 s12, s[0:1], 0x28
	s_load_b64 s[0:1], s[0:1], 0x20
	s_ashr_i32 s13, s14, 31
	s_waitcnt lgkmcnt(0)
	s_mul_i32 s3, s14, s3
	s_mul_hi_u32 s15, s14, s2
	s_mul_i32 s16, s13, s2
	s_add_i32 s3, s15, s3
	s_mul_i32 s2, s14, s2
	s_add_i32 s3, s3, s16
	s_mul_i32 s9, s14, s9
	s_lshl_b64 s[2:3], s[2:3], 3
	s_mul_hi_u32 s15, s14, s8
	s_add_u32 s2, s10, s2
	s_addc_u32 s3, s11, s3
	s_lshl_b64 s[0:1], s[0:1], 3
	s_mul_i32 s13, s13, s8
	s_add_u32 s2, s2, s0
	v_mad_u64_u32 v[2:3], null, v0, s12, v[0:1]
	v_ashrrev_i32_e32 v1, 31, v0
	s_addc_u32 s3, s3, s1
	s_add_i32 s1, s15, s9
	s_mul_i32 s0, s14, s8
	s_add_i32 s1, s1, s13
	v_lshlrev_b64 v[0:1], 3, v[0:1]
	s_lshl_b64 s[0:1], s[0:1], 3
	v_ashrrev_i32_e32 v3, 31, v2
	s_add_u32 s4, s4, s0
	s_addc_u32 s5, s5, s1
	s_lshl_b64 s[0:1], s[6:7], 3
	s_delay_alu instid0(SALU_CYCLE_1)
	s_add_u32 s0, s4, s0
	s_addc_u32 s1, s5, s1
	v_add_co_u32 v0, vcc_lo, s0, v0
	v_add_co_ci_u32_e32 v1, vcc_lo, s1, v1, vcc_lo
	v_lshlrev_b64 v[2:3], 3, v[2:3]
	global_load_b64 v[0:1], v[0:1], off
	v_add_co_u32 v2, vcc_lo, s2, v2
	v_add_co_ci_u32_e32 v3, vcc_lo, s3, v3, vcc_lo
	s_waitcnt vmcnt(0)
	global_store_b64 v[2:3], v[0:1], off
.LBB45_2:
	s_nop 0
	s_sendmsg sendmsg(MSG_DEALLOC_VGPRS)
	s_endpgm
	.section	.rodata,"a",@progbits
	.p2align	6, 0x0
	.amdhsa_kernel _ZN9rocsolver6v33100L12restore_diagIdidPdEEvPT1_llT2_lT0_lS6_
		.amdhsa_group_segment_fixed_size 0
		.amdhsa_private_segment_fixed_size 0
		.amdhsa_kernarg_size 320
		.amdhsa_user_sgpr_count 14
		.amdhsa_user_sgpr_dispatch_ptr 0
		.amdhsa_user_sgpr_queue_ptr 0
		.amdhsa_user_sgpr_kernarg_segment_ptr 1
		.amdhsa_user_sgpr_dispatch_id 0
		.amdhsa_user_sgpr_private_segment_size 0
		.amdhsa_wavefront_size32 1
		.amdhsa_uses_dynamic_stack 0
		.amdhsa_enable_private_segment 0
		.amdhsa_system_sgpr_workgroup_id_x 1
		.amdhsa_system_sgpr_workgroup_id_y 1
		.amdhsa_system_sgpr_workgroup_id_z 0
		.amdhsa_system_sgpr_workgroup_info 0
		.amdhsa_system_vgpr_workitem_id 1
		.amdhsa_next_free_vgpr 4
		.amdhsa_next_free_sgpr 17
		.amdhsa_reserve_vcc 1
		.amdhsa_float_round_mode_32 0
		.amdhsa_float_round_mode_16_64 0
		.amdhsa_float_denorm_mode_32 3
		.amdhsa_float_denorm_mode_16_64 3
		.amdhsa_dx10_clamp 1
		.amdhsa_ieee_mode 1
		.amdhsa_fp16_overflow 0
		.amdhsa_workgroup_processor_mode 1
		.amdhsa_memory_ordered 1
		.amdhsa_forward_progress 0
		.amdhsa_shared_vgpr_count 0
		.amdhsa_exception_fp_ieee_invalid_op 0
		.amdhsa_exception_fp_denorm_src 0
		.amdhsa_exception_fp_ieee_div_zero 0
		.amdhsa_exception_fp_ieee_overflow 0
		.amdhsa_exception_fp_ieee_underflow 0
		.amdhsa_exception_fp_ieee_inexact 0
		.amdhsa_exception_int_div_zero 0
	.end_amdhsa_kernel
	.section	.text._ZN9rocsolver6v33100L12restore_diagIdidPdEEvPT1_llT2_lT0_lS6_,"axG",@progbits,_ZN9rocsolver6v33100L12restore_diagIdidPdEEvPT1_llT2_lT0_lS6_,comdat
.Lfunc_end45:
	.size	_ZN9rocsolver6v33100L12restore_diagIdidPdEEvPT1_llT2_lT0_lS6_, .Lfunc_end45-_ZN9rocsolver6v33100L12restore_diagIdidPdEEvPT1_llT2_lT0_lS6_
                                        ; -- End function
	.section	.AMDGPU.csdata,"",@progbits
; Kernel info:
; codeLenInByte = 300
; NumSgprs: 19
; NumVgprs: 4
; ScratchSize: 0
; MemoryBound: 0
; FloatMode: 240
; IeeeMode: 1
; LDSByteSize: 0 bytes/workgroup (compile time only)
; SGPRBlocks: 2
; VGPRBlocks: 0
; NumSGPRsForWavesPerEU: 19
; NumVGPRsForWavesPerEU: 4
; Occupancy: 16
; WaveLimiterHint : 0
; COMPUTE_PGM_RSRC2:SCRATCH_EN: 0
; COMPUTE_PGM_RSRC2:USER_SGPR: 14
; COMPUTE_PGM_RSRC2:TRAP_HANDLER: 0
; COMPUTE_PGM_RSRC2:TGID_X_EN: 1
; COMPUTE_PGM_RSRC2:TGID_Y_EN: 1
; COMPUTE_PGM_RSRC2:TGID_Z_EN: 0
; COMPUTE_PGM_RSRC2:TIDIG_COMP_CNT: 1
	.section	.text._ZN9rocsolver6v33100L14set_triangularIdPdTnNSt9enable_ifIXnt18rocblas_is_complexIT_EEiE4typeELi0EEEviiT0_iilPS4_lS8_il15rocblas_direct_15rocblas_storev_b,"axG",@progbits,_ZN9rocsolver6v33100L14set_triangularIdPdTnNSt9enable_ifIXnt18rocblas_is_complexIT_EEiE4typeELi0EEEviiT0_iilPS4_lS8_il15rocblas_direct_15rocblas_storev_b,comdat
	.globl	_ZN9rocsolver6v33100L14set_triangularIdPdTnNSt9enable_ifIXnt18rocblas_is_complexIT_EEiE4typeELi0EEEviiT0_iilPS4_lS8_il15rocblas_direct_15rocblas_storev_b ; -- Begin function _ZN9rocsolver6v33100L14set_triangularIdPdTnNSt9enable_ifIXnt18rocblas_is_complexIT_EEiE4typeELi0EEEviiT0_iilPS4_lS8_il15rocblas_direct_15rocblas_storev_b
	.p2align	8
	.type	_ZN9rocsolver6v33100L14set_triangularIdPdTnNSt9enable_ifIXnt18rocblas_is_complexIT_EEiE4typeELi0EEEviiT0_iilPS4_lS8_il15rocblas_direct_15rocblas_storev_b,@function
_ZN9rocsolver6v33100L14set_triangularIdPdTnNSt9enable_ifIXnt18rocblas_is_complexIT_EEiE4typeELi0EEEviiT0_iilPS4_lS8_il15rocblas_direct_15rocblas_storev_b: ; @_ZN9rocsolver6v33100L14set_triangularIdPdTnNSt9enable_ifIXnt18rocblas_is_complexIT_EEiE4typeELi0EEEviiT0_iilPS4_lS8_il15rocblas_direct_15rocblas_storev_b
; %bb.0:
	s_clause 0x1
	s_load_b32 s2, s[0:1], 0x64
	s_load_b64 s[16:17], s[0:1], 0x0
	v_and_b32_e32 v2, 0x3ff, v0
	v_bfe_u32 v4, v0, 10, 10
	s_waitcnt lgkmcnt(0)
	s_lshr_b32 s3, s2, 16
	s_and_b32 s2, s2, 0xffff
	s_delay_alu instid0(SALU_CYCLE_1) | instskip(SKIP_2) | instid1(VALU_DEP_1)
	v_mad_u64_u32 v[0:1], null, s13, s2, v[2:3]
	v_mad_u64_u32 v[2:3], null, s14, s3, v[4:5]
	s_mov_b32 s2, exec_lo
	v_max_u32_e32 v1, v0, v2
	s_delay_alu instid0(VALU_DEP_1)
	v_cmpx_gt_u32_e64 s17, v1
	s_cbranch_execz .LBB46_36
; %bb.1:
	s_clause 0x2
	s_load_b256 s[4:11], s[0:1], 0x18
	s_load_b64 s[2:3], s[0:1], 0x40
	s_load_b32 s12, s[0:1], 0x38
	s_waitcnt lgkmcnt(0)
	s_mul_i32 s9, s15, s9
	s_mul_hi_u32 s13, s15, s8
	s_mul_i32 s8, s15, s8
	s_add_i32 s9, s13, s9
	s_mul_i32 s3, s15, s3
	s_lshl_b64 s[8:9], s[8:9], 3
	s_mul_hi_u32 s18, s15, s2
	s_add_u32 s13, s6, s8
	s_mul_i32 s2, s15, s2
	s_addc_u32 s14, s7, s9
	s_add_i32 s3, s18, s3
	s_delay_alu instid0(SALU_CYCLE_1) | instskip(NEXT) | instid1(SALU_CYCLE_1)
	s_lshl_b64 s[2:3], s[2:3], 3
	s_add_u32 s6, s10, s2
	s_addc_u32 s7, s11, s3
	s_mov_b32 s2, exec_lo
	v_cmpx_ne_u32_e64 v2, v0
	s_xor_b32 s18, exec_lo, s2
	s_cbranch_execz .LBB46_34
; %bb.2:
	s_clause 0x1
	s_load_b128 s[8:11], s[0:1], 0x8
	s_load_b128 s[0:3], s[0:1], 0x48
	s_waitcnt lgkmcnt(0)
	s_mul_i32 s3, s15, s5
	s_mul_hi_u32 s5, s15, s4
	s_mul_i32 s4, s15, s4
	s_add_i32 s5, s5, s3
	v_mov_b32_e32 v1, 0
	s_lshl_b64 s[4:5], s[4:5], 3
	s_ashr_i32 s21, s10, 31
	s_mov_b32 s20, s10
	s_add_u32 s3, s8, s4
	s_addc_u32 s8, s9, s5
	s_lshl_b64 s[4:5], s[20:21], 3
	s_delay_alu instid0(SALU_CYCLE_1) | instskip(SKIP_3) | instid1(SALU_CYCLE_1)
	s_add_u32 s3, s3, s4
	s_addc_u32 s4, s8, s5
	s_bitcmp1_b32 s2, 0
	s_cselect_b32 s2, -1, 0
	s_xor_b32 s2, s2, -1
	s_cmpk_lg_i32 s0, 0xab
	s_mov_b32 s0, -1
	s_cbranch_scc0 .LBB46_18
; %bb.3:
	s_mov_b32 s0, exec_lo
	v_cmpx_le_u32_e64 v2, v0
	s_xor_b32 s0, exec_lo, s0
	s_cbranch_execz .LBB46_5
; %bb.4:
	v_mad_u64_u32 v[4:5], null, v0, s12, 0
	s_ashr_i32 s5, s12, 31
	s_delay_alu instid0(VALU_DEP_1) | instskip(NEXT) | instid1(VALU_DEP_1)
	v_mov_b32_e32 v3, v5
	v_mad_u64_u32 v[5:6], null, v0, s5, v[3:4]
	v_mov_b32_e32 v3, 0
	s_delay_alu instid0(VALU_DEP_1) | instskip(NEXT) | instid1(VALU_DEP_3)
	v_lshlrev_b64 v[6:7], 3, v[2:3]
	v_lshlrev_b64 v[4:5], 3, v[4:5]
	s_delay_alu instid0(VALU_DEP_1) | instskip(NEXT) | instid1(VALU_DEP_2)
	v_add_co_u32 v8, vcc_lo, s6, v4
	v_add_co_ci_u32_e32 v5, vcc_lo, s7, v5, vcc_lo
	v_mov_b32_e32 v4, v3
	s_delay_alu instid0(VALU_DEP_3) | instskip(NEXT) | instid1(VALU_DEP_3)
	v_add_co_u32 v6, vcc_lo, v8, v6
	v_add_co_ci_u32_e32 v7, vcc_lo, v5, v7, vcc_lo
	v_mov_b32_e32 v5, v3
	global_store_b64 v[6:7], v[4:5], off
.LBB46_5:
	s_and_not1_saveexec_b32 s0, s0
	s_cbranch_execz .LBB46_17
; %bb.6:
	v_lshlrev_b64 v[3:4], 3, v[0:1]
	s_cmpk_lg_i32 s1, 0xb5
	s_mov_b32 s5, -1
	s_delay_alu instid0(VALU_DEP_1) | instskip(NEXT) | instid1(VALU_DEP_2)
	v_add_co_u32 v3, vcc_lo, s13, v3
	v_add_co_ci_u32_e32 v4, vcc_lo, s14, v4, vcc_lo
	global_load_b64 v[4:5], v[3:4], off
	s_cbranch_scc0 .LBB46_12
; %bb.7:
	v_mov_b32_e32 v3, 0
	s_and_not1_b32 vcc_lo, exec_lo, s2
	s_delay_alu instid0(VALU_DEP_1)
	v_lshlrev_b64 v[6:7], 3, v[2:3]
	s_cbranch_vccnz .LBB46_9
; %bb.8:
	s_sub_i32 s5, s16, s17
	s_delay_alu instid0(SALU_CYCLE_1) | instskip(SKIP_1) | instid1(VALU_DEP_1)
	v_add_nc_u32_e32 v11, s5, v0
	s_ashr_i32 s5, s11, 31
	v_mad_u64_u32 v[8:9], null, v11, s11, 0
	s_delay_alu instid0(VALU_DEP_1) | instskip(SKIP_1) | instid1(VALU_DEP_1)
	v_mov_b32_e32 v3, v9
	s_waitcnt vmcnt(0)
	v_mad_u64_u32 v[9:10], null, v11, s5, v[3:4]
	v_mad_u64_u32 v[10:11], null, v0, s12, 0
	s_ashr_i32 s5, s12, 31
	s_delay_alu instid0(VALU_DEP_2) | instskip(NEXT) | instid1(VALU_DEP_1)
	v_lshlrev_b64 v[8:9], 3, v[8:9]
	v_add_co_u32 v3, vcc_lo, s3, v8
	s_delay_alu instid0(VALU_DEP_2) | instskip(NEXT) | instid1(VALU_DEP_2)
	v_add_co_ci_u32_e32 v9, vcc_lo, s4, v9, vcc_lo
	v_add_co_u32 v8, vcc_lo, v3, v6
	s_delay_alu instid0(VALU_DEP_2) | instskip(SKIP_4) | instid1(VALU_DEP_1)
	v_add_co_ci_u32_e32 v9, vcc_lo, v9, v7, vcc_lo
	v_mov_b32_e32 v3, v11
	global_load_b64 v[8:9], v[8:9], off
	v_mad_u64_u32 v[11:12], null, v0, s5, v[3:4]
	s_mov_b32 s5, 0
	v_lshlrev_b64 v[10:11], 3, v[10:11]
	s_delay_alu instid0(VALU_DEP_1) | instskip(NEXT) | instid1(VALU_DEP_2)
	v_add_co_u32 v3, vcc_lo, s6, v10
	v_add_co_ci_u32_e32 v11, vcc_lo, s7, v11, vcc_lo
	s_delay_alu instid0(VALU_DEP_2) | instskip(NEXT) | instid1(VALU_DEP_2)
	v_add_co_u32 v10, vcc_lo, v3, v6
	v_add_co_ci_u32_e32 v11, vcc_lo, v11, v7, vcc_lo
	s_waitcnt vmcnt(0)
	v_mul_f64 v[8:9], v[8:9], -v[4:5]
	global_store_b64 v[10:11], v[8:9], off
.LBB46_9:
	s_and_not1_b32 vcc_lo, exec_lo, s5
	s_cbranch_vccnz .LBB46_11
; %bb.10:
	v_mad_u64_u32 v[8:9], null, v0, s12, 0
	s_sub_i32 s5, s16, s17
	s_delay_alu instid0(SALU_CYCLE_1) | instskip(SKIP_1) | instid1(VALU_DEP_2)
	v_add_nc_u32_e32 v14, s5, v0
	s_ashr_i32 s5, s12, 31
	v_mov_b32_e32 v3, v9
	s_delay_alu instid0(VALU_DEP_2) | instskip(NEXT) | instid1(VALU_DEP_1)
	v_mad_u64_u32 v[10:11], null, v14, s11, 0
	v_mov_b32_e32 v9, v11
	s_waitcnt vmcnt(0)
	s_delay_alu instid0(VALU_DEP_3)
	v_mad_u64_u32 v[11:12], null, v0, s5, v[3:4]
	s_ashr_i32 s5, s11, 31
	s_delay_alu instid0(VALU_DEP_2) | instid1(SALU_CYCLE_1)
	v_mad_u64_u32 v[12:13], null, v14, s5, v[9:10]
	s_delay_alu instid0(VALU_DEP_2) | instskip(NEXT) | instid1(VALU_DEP_2)
	v_mov_b32_e32 v9, v11
	v_mov_b32_e32 v11, v12
	s_delay_alu instid0(VALU_DEP_2) | instskip(NEXT) | instid1(VALU_DEP_2)
	v_lshlrev_b64 v[8:9], 3, v[8:9]
	v_lshlrev_b64 v[10:11], 3, v[10:11]
	s_delay_alu instid0(VALU_DEP_2) | instskip(NEXT) | instid1(VALU_DEP_3)
	v_add_co_u32 v3, vcc_lo, s6, v8
	v_add_co_ci_u32_e32 v9, vcc_lo, s7, v9, vcc_lo
	s_delay_alu instid0(VALU_DEP_3) | instskip(NEXT) | instid1(VALU_DEP_4)
	v_add_co_u32 v10, vcc_lo, s3, v10
	v_add_co_ci_u32_e32 v11, vcc_lo, s4, v11, vcc_lo
	s_delay_alu instid0(VALU_DEP_4) | instskip(NEXT) | instid1(VALU_DEP_4)
	v_add_co_u32 v8, vcc_lo, v3, v6
	v_add_co_ci_u32_e32 v9, vcc_lo, v9, v7, vcc_lo
	s_delay_alu instid0(VALU_DEP_4) | instskip(NEXT) | instid1(VALU_DEP_4)
	v_add_co_u32 v6, vcc_lo, v10, v6
	v_add_co_ci_u32_e32 v7, vcc_lo, v11, v7, vcc_lo
	global_load_b64 v[10:11], v[8:9], off
	global_load_b64 v[6:7], v[6:7], off
	s_waitcnt vmcnt(0)
	v_add_f64 v[6:7], v[10:11], v[6:7]
	s_delay_alu instid0(VALU_DEP_1)
	v_mul_f64 v[6:7], v[6:7], -v[4:5]
	global_store_b64 v[8:9], v[6:7], off
.LBB46_11:
	s_mov_b32 s5, 0
.LBB46_12:
	s_delay_alu instid0(SALU_CYCLE_1)
	s_and_not1_b32 vcc_lo, exec_lo, s5
	s_cbranch_vccnz .LBB46_17
; %bb.13:
	s_and_not1_b32 vcc_lo, exec_lo, s2
	s_mov_b32 s5, -1
	s_cbranch_vccnz .LBB46_15
; %bb.14:
	v_mad_u64_u32 v[6:7], null, v2, s11, 0
	s_ashr_i32 s5, s11, 31
	v_mov_b32_e32 v9, 0
	s_delay_alu instid0(VALU_DEP_2) | instskip(SKIP_1) | instid1(VALU_DEP_1)
	v_mov_b32_e32 v3, v7
	s_waitcnt vmcnt(0)
	v_mad_u64_u32 v[7:8], null, v2, s5, v[3:4]
	s_sub_i32 s5, s16, s17
	s_delay_alu instid0(SALU_CYCLE_1) | instskip(SKIP_1) | instid1(VALU_DEP_2)
	v_add_nc_u32_e32 v8, s5, v0
	s_ashr_i32 s5, s12, 31
	v_lshlrev_b64 v[6:7], 3, v[6:7]
	s_delay_alu instid0(VALU_DEP_2) | instskip(NEXT) | instid1(VALU_DEP_2)
	v_lshlrev_b64 v[10:11], 3, v[8:9]
	v_add_co_u32 v3, vcc_lo, s3, v6
	s_delay_alu instid0(VALU_DEP_3) | instskip(NEXT) | instid1(VALU_DEP_2)
	v_add_co_ci_u32_e32 v7, vcc_lo, s4, v7, vcc_lo
	v_add_co_u32 v6, vcc_lo, v3, v10
	s_delay_alu instid0(VALU_DEP_2) | instskip(SKIP_3) | instid1(VALU_DEP_1)
	v_add_co_ci_u32_e32 v7, vcc_lo, v7, v11, vcc_lo
	v_mad_u64_u32 v[10:11], null, v0, s12, 0
	global_load_b64 v[6:7], v[6:7], off
	v_mov_b32_e32 v3, v11
	v_mad_u64_u32 v[11:12], null, v0, s5, v[3:4]
	v_mov_b32_e32 v3, v9
	s_mov_b32 s5, 0
	s_delay_alu instid0(VALU_DEP_2) | instskip(NEXT) | instid1(VALU_DEP_2)
	v_lshlrev_b64 v[8:9], 3, v[10:11]
	v_lshlrev_b64 v[10:11], 3, v[2:3]
	s_delay_alu instid0(VALU_DEP_2) | instskip(NEXT) | instid1(VALU_DEP_3)
	v_add_co_u32 v3, vcc_lo, s6, v8
	v_add_co_ci_u32_e32 v9, vcc_lo, s7, v9, vcc_lo
	s_delay_alu instid0(VALU_DEP_2) | instskip(NEXT) | instid1(VALU_DEP_2)
	v_add_co_u32 v8, vcc_lo, v3, v10
	v_add_co_ci_u32_e32 v9, vcc_lo, v9, v11, vcc_lo
	s_waitcnt vmcnt(0)
	v_mul_f64 v[6:7], v[6:7], -v[4:5]
	global_store_b64 v[8:9], v[6:7], off
.LBB46_15:
	s_and_not1_b32 vcc_lo, exec_lo, s5
	s_cbranch_vccnz .LBB46_17
; %bb.16:
	v_mad_u64_u32 v[6:7], null, v0, s12, 0
	v_mad_u64_u32 v[8:9], null, v2, s11, 0
	s_ashr_i32 s5, s12, 31
	s_delay_alu instid0(VALU_DEP_2) | instskip(NEXT) | instid1(VALU_DEP_2)
	v_mov_b32_e32 v3, v7
	v_mov_b32_e32 v7, v9
	s_waitcnt vmcnt(0)
	s_delay_alu instid0(VALU_DEP_2) | instskip(SKIP_2) | instid1(VALU_DEP_1)
	v_mad_u64_u32 v[9:10], null, v0, s5, v[3:4]
	v_mov_b32_e32 v3, 0
	s_ashr_i32 s5, s11, 31
	v_mov_b32_e32 v12, v3
	v_mad_u64_u32 v[10:11], null, v2, s5, v[7:8]
	s_delay_alu instid0(VALU_DEP_4) | instskip(SKIP_3) | instid1(VALU_DEP_3)
	v_mov_b32_e32 v7, v9
	s_sub_i32 s5, s16, s17
	v_lshlrev_b64 v[13:14], 3, v[2:3]
	v_add_nc_u32_e32 v11, s5, v0
	v_lshlrev_b64 v[6:7], 3, v[6:7]
	v_mov_b32_e32 v9, v10
	s_delay_alu instid0(VALU_DEP_3) | instskip(NEXT) | instid1(VALU_DEP_2)
	v_lshlrev_b64 v[10:11], 3, v[11:12]
	v_lshlrev_b64 v[8:9], 3, v[8:9]
	s_delay_alu instid0(VALU_DEP_4) | instskip(SKIP_1) | instid1(VALU_DEP_3)
	v_add_co_u32 v3, vcc_lo, s6, v6
	v_add_co_ci_u32_e32 v7, vcc_lo, s7, v7, vcc_lo
	v_add_co_u32 v8, vcc_lo, s3, v8
	s_delay_alu instid0(VALU_DEP_4) | instskip(NEXT) | instid1(VALU_DEP_4)
	v_add_co_ci_u32_e32 v9, vcc_lo, s4, v9, vcc_lo
	v_add_co_u32 v6, vcc_lo, v3, v13
	s_delay_alu instid0(VALU_DEP_4) | instskip(NEXT) | instid1(VALU_DEP_4)
	v_add_co_ci_u32_e32 v7, vcc_lo, v7, v14, vcc_lo
	v_add_co_u32 v8, vcc_lo, v8, v10
	s_delay_alu instid0(VALU_DEP_4) | instskip(SKIP_4) | instid1(VALU_DEP_1)
	v_add_co_ci_u32_e32 v9, vcc_lo, v9, v11, vcc_lo
	global_load_b64 v[10:11], v[6:7], off
	global_load_b64 v[8:9], v[8:9], off
	s_waitcnt vmcnt(0)
	v_add_f64 v[8:9], v[10:11], v[8:9]
	v_mul_f64 v[3:4], v[8:9], -v[4:5]
	global_store_b64 v[6:7], v[3:4], off
.LBB46_17:
	s_or_b32 exec_lo, exec_lo, s0
	s_mov_b32 s0, 0
.LBB46_18:
	s_delay_alu instid0(SALU_CYCLE_1)
	s_and_not1_b32 vcc_lo, exec_lo, s0
	s_cbranch_vccnz .LBB46_34
; %bb.19:
	s_mov_b32 s0, exec_lo
	v_cmpx_ge_u32_e64 v2, v0
	s_xor_b32 s0, exec_lo, s0
	s_cbranch_execz .LBB46_21
; %bb.20:
	s_waitcnt vmcnt(0)
	v_mad_u64_u32 v[4:5], null, v0, s12, 0
	v_mov_b32_e32 v3, 0
	s_ashr_i32 s5, s12, 31
	s_delay_alu instid0(VALU_DEP_2) | instskip(NEXT) | instid1(VALU_DEP_1)
	v_mov_b32_e32 v1, v5
	v_mad_u64_u32 v[5:6], null, v0, s5, v[1:2]
	s_delay_alu instid0(VALU_DEP_1) | instskip(SKIP_2) | instid1(VALU_DEP_3)
	v_lshlrev_b64 v[0:1], 3, v[4:5]
	v_lshlrev_b64 v[4:5], 3, v[2:3]
	v_mov_b32_e32 v2, v3
	v_add_co_u32 v0, vcc_lo, s6, v0
	s_delay_alu instid0(VALU_DEP_4) | instskip(NEXT) | instid1(VALU_DEP_2)
	v_add_co_ci_u32_e32 v1, vcc_lo, s7, v1, vcc_lo
	v_add_co_u32 v0, vcc_lo, v0, v4
	s_delay_alu instid0(VALU_DEP_2)
	v_add_co_ci_u32_e32 v1, vcc_lo, v1, v5, vcc_lo
	global_store_b64 v[0:1], v[2:3], off
                                        ; implicit-def: $vgpr0_vgpr1
                                        ; implicit-def: $vgpr2_vgpr3
.LBB46_21:
	s_and_not1_saveexec_b32 s0, s0
	s_cbranch_execz .LBB46_33
; %bb.22:
	v_lshlrev_b64 v[6:7], 3, v[0:1]
	v_cndmask_b32_e64 v1, 0, 1, s2
	s_cmpk_lg_i32 s1, 0xb5
	s_mov_b32 s1, -1
	s_delay_alu instid0(VALU_DEP_2)
	v_add_co_u32 v3, vcc_lo, s13, v6
	s_waitcnt vmcnt(0)
	v_add_co_ci_u32_e32 v4, vcc_lo, s14, v7, vcc_lo
	v_cmp_ne_u32_e32 vcc_lo, 1, v1
	global_load_b64 v[4:5], v[3:4], off
	v_mov_b32_e32 v3, 0
	s_cbranch_scc0 .LBB46_28
; %bb.23:
	s_and_b32 vcc_lo, exec_lo, vcc_lo
	s_cbranch_vccnz .LBB46_25
; %bb.24:
	v_mad_u64_u32 v[8:9], null, v0, s11, 0
	s_ashr_i32 s1, s11, 31
	v_mad_u64_u32 v[12:13], null, v0, s12, 0
	s_delay_alu instid0(VALU_DEP_2) | instskip(NEXT) | instid1(VALU_DEP_1)
	v_mov_b32_e32 v1, v9
	v_mad_u64_u32 v[9:10], null, v0, s1, v[1:2]
	v_lshlrev_b64 v[10:11], 3, v[2:3]
	s_ashr_i32 s1, s12, 31
	s_delay_alu instid0(VALU_DEP_2) | instskip(NEXT) | instid1(VALU_DEP_1)
	v_lshlrev_b64 v[8:9], 3, v[8:9]
	v_add_co_u32 v1, vcc_lo, s3, v8
	s_delay_alu instid0(VALU_DEP_2) | instskip(NEXT) | instid1(VALU_DEP_2)
	v_add_co_ci_u32_e32 v9, vcc_lo, s4, v9, vcc_lo
	v_add_co_u32 v8, vcc_lo, v1, v10
	s_delay_alu instid0(VALU_DEP_2) | instskip(SKIP_4) | instid1(VALU_DEP_1)
	v_add_co_ci_u32_e32 v9, vcc_lo, v9, v11, vcc_lo
	v_mov_b32_e32 v1, v13
	global_load_b64 v[8:9], v[8:9], off
	v_mad_u64_u32 v[13:14], null, v0, s1, v[1:2]
	s_mov_b32 s1, 0
	v_lshlrev_b64 v[12:13], 3, v[12:13]
	s_delay_alu instid0(VALU_DEP_1) | instskip(NEXT) | instid1(VALU_DEP_2)
	v_add_co_u32 v1, vcc_lo, s6, v12
	v_add_co_ci_u32_e32 v12, vcc_lo, s7, v13, vcc_lo
	s_delay_alu instid0(VALU_DEP_2) | instskip(NEXT) | instid1(VALU_DEP_2)
	v_add_co_u32 v10, vcc_lo, v1, v10
	v_add_co_ci_u32_e32 v11, vcc_lo, v12, v11, vcc_lo
	s_waitcnt vmcnt(0)
	v_mul_f64 v[8:9], v[8:9], -v[4:5]
	global_store_b64 v[10:11], v[8:9], off
.LBB46_25:
	s_and_not1_b32 vcc_lo, exec_lo, s1
	s_cbranch_vccnz .LBB46_27
; %bb.26:
	v_mad_u64_u32 v[8:9], null, v0, s12, 0
	v_mad_u64_u32 v[10:11], null, v0, s11, 0
	s_ashr_i32 s1, s12, 31
	s_delay_alu instid0(VALU_DEP_2) | instskip(NEXT) | instid1(VALU_DEP_2)
	v_mov_b32_e32 v1, v9
	v_mov_b32_e32 v9, v11
	s_delay_alu instid0(VALU_DEP_2)
	v_mad_u64_u32 v[11:12], null, v0, s1, v[1:2]
	s_ashr_i32 s1, s11, 31
	s_delay_alu instid0(VALU_DEP_2) | instid1(SALU_CYCLE_1)
	v_mad_u64_u32 v[12:13], null, v0, s1, v[9:10]
	s_delay_alu instid0(VALU_DEP_2) | instskip(NEXT) | instid1(VALU_DEP_2)
	v_mov_b32_e32 v9, v11
	v_mov_b32_e32 v11, v12
	s_delay_alu instid0(VALU_DEP_2) | instskip(SKIP_1) | instid1(VALU_DEP_3)
	v_lshlrev_b64 v[8:9], 3, v[8:9]
	v_lshlrev_b64 v[12:13], 3, v[2:3]
	;; [unrolled: 1-line block ×3, first 2 shown]
	s_delay_alu instid0(VALU_DEP_3) | instskip(NEXT) | instid1(VALU_DEP_4)
	v_add_co_u32 v1, vcc_lo, s6, v8
	v_add_co_ci_u32_e32 v9, vcc_lo, s7, v9, vcc_lo
	s_delay_alu instid0(VALU_DEP_3) | instskip(NEXT) | instid1(VALU_DEP_4)
	v_add_co_u32 v10, vcc_lo, s3, v10
	v_add_co_ci_u32_e32 v11, vcc_lo, s4, v11, vcc_lo
	s_delay_alu instid0(VALU_DEP_4) | instskip(NEXT) | instid1(VALU_DEP_4)
	v_add_co_u32 v8, vcc_lo, v1, v12
	v_add_co_ci_u32_e32 v9, vcc_lo, v9, v13, vcc_lo
	s_delay_alu instid0(VALU_DEP_4) | instskip(NEXT) | instid1(VALU_DEP_4)
	v_add_co_u32 v10, vcc_lo, v10, v12
	v_add_co_ci_u32_e32 v11, vcc_lo, v11, v13, vcc_lo
	global_load_b64 v[12:13], v[8:9], off
	global_load_b64 v[10:11], v[10:11], off
	s_waitcnt vmcnt(0)
	v_add_f64 v[10:11], v[12:13], v[10:11]
	s_delay_alu instid0(VALU_DEP_1)
	v_mul_f64 v[10:11], v[10:11], -v[4:5]
	global_store_b64 v[8:9], v[10:11], off
.LBB46_27:
	s_mov_b32 s1, 0
.LBB46_28:
	s_delay_alu instid0(SALU_CYCLE_1)
	s_and_not1_b32 vcc_lo, exec_lo, s1
	s_cbranch_vccnz .LBB46_33
; %bb.29:
	s_delay_alu instid0(VALU_DEP_1)
	v_lshlrev_b64 v[8:9], 3, v[2:3]
	s_and_not1_b32 vcc_lo, exec_lo, s2
	s_mov_b32 s1, -1
	s_cbranch_vccnz .LBB46_31
; %bb.30:
	v_mad_u64_u32 v[10:11], null, v2, s11, 0
	s_ashr_i32 s1, s11, 31
	s_delay_alu instid0(VALU_DEP_1) | instskip(NEXT) | instid1(VALU_DEP_1)
	v_mov_b32_e32 v1, v11
	v_mad_u64_u32 v[11:12], null, v2, s1, v[1:2]
	v_mad_u64_u32 v[12:13], null, v0, s12, 0
	s_ashr_i32 s1, s12, 31
	s_delay_alu instid0(VALU_DEP_2) | instskip(NEXT) | instid1(VALU_DEP_1)
	v_lshlrev_b64 v[10:11], 3, v[10:11]
	v_add_co_u32 v1, vcc_lo, s3, v10
	s_delay_alu instid0(VALU_DEP_2) | instskip(NEXT) | instid1(VALU_DEP_2)
	v_add_co_ci_u32_e32 v3, vcc_lo, s4, v11, vcc_lo
	v_add_co_u32 v10, vcc_lo, v1, v6
	s_delay_alu instid0(VALU_DEP_2) | instskip(SKIP_4) | instid1(VALU_DEP_1)
	v_add_co_ci_u32_e32 v11, vcc_lo, v3, v7, vcc_lo
	v_mov_b32_e32 v1, v13
	global_load_b64 v[10:11], v[10:11], off
	v_mad_u64_u32 v[13:14], null, v0, s1, v[1:2]
	s_mov_b32 s1, 0
	v_lshlrev_b64 v[12:13], 3, v[12:13]
	s_delay_alu instid0(VALU_DEP_1) | instskip(NEXT) | instid1(VALU_DEP_2)
	v_add_co_u32 v1, vcc_lo, s6, v12
	v_add_co_ci_u32_e32 v3, vcc_lo, s7, v13, vcc_lo
	s_delay_alu instid0(VALU_DEP_2) | instskip(NEXT) | instid1(VALU_DEP_2)
	v_add_co_u32 v12, vcc_lo, v1, v8
	v_add_co_ci_u32_e32 v13, vcc_lo, v3, v9, vcc_lo
	s_waitcnt vmcnt(0)
	v_mul_f64 v[10:11], v[10:11], -v[4:5]
	global_store_b64 v[12:13], v[10:11], off
.LBB46_31:
	s_and_not1_b32 vcc_lo, exec_lo, s1
	s_cbranch_vccnz .LBB46_33
; %bb.32:
	v_mad_u64_u32 v[10:11], null, v0, s12, 0
	v_mad_u64_u32 v[12:13], null, v2, s11, 0
	s_ashr_i32 s1, s12, 31
	s_delay_alu instid0(VALU_DEP_2) | instskip(NEXT) | instid1(VALU_DEP_2)
	v_mov_b32_e32 v1, v11
	v_mov_b32_e32 v3, v13
	s_delay_alu instid0(VALU_DEP_2) | instskip(SKIP_2) | instid1(VALU_DEP_2)
	v_mad_u64_u32 v[13:14], null, v0, s1, v[1:2]
	s_ashr_i32 s1, s11, 31
	s_waitcnt vmcnt(0)
	v_mad_u64_u32 v[0:1], null, v2, s1, v[3:4]
	s_delay_alu instid0(VALU_DEP_2) | instskip(NEXT) | instid1(VALU_DEP_2)
	v_mov_b32_e32 v11, v13
	v_mov_b32_e32 v13, v0
	s_delay_alu instid0(VALU_DEP_2) | instskip(NEXT) | instid1(VALU_DEP_2)
	v_lshlrev_b64 v[0:1], 3, v[10:11]
	v_lshlrev_b64 v[2:3], 3, v[12:13]
	s_delay_alu instid0(VALU_DEP_2) | instskip(NEXT) | instid1(VALU_DEP_3)
	v_add_co_u32 v0, vcc_lo, s6, v0
	v_add_co_ci_u32_e32 v1, vcc_lo, s7, v1, vcc_lo
	s_delay_alu instid0(VALU_DEP_3) | instskip(NEXT) | instid1(VALU_DEP_4)
	v_add_co_u32 v2, vcc_lo, s3, v2
	v_add_co_ci_u32_e32 v3, vcc_lo, s4, v3, vcc_lo
	s_delay_alu instid0(VALU_DEP_4) | instskip(NEXT) | instid1(VALU_DEP_4)
	v_add_co_u32 v0, vcc_lo, v0, v8
	v_add_co_ci_u32_e32 v1, vcc_lo, v1, v9, vcc_lo
	s_delay_alu instid0(VALU_DEP_4) | instskip(NEXT) | instid1(VALU_DEP_4)
	v_add_co_u32 v2, vcc_lo, v2, v6
	v_add_co_ci_u32_e32 v3, vcc_lo, v3, v7, vcc_lo
	global_load_b64 v[6:7], v[0:1], off
	global_load_b64 v[2:3], v[2:3], off
	s_waitcnt vmcnt(0)
	v_add_f64 v[2:3], v[6:7], v[2:3]
	s_delay_alu instid0(VALU_DEP_1)
	v_mul_f64 v[2:3], v[2:3], -v[4:5]
	global_store_b64 v[0:1], v[2:3], off
.LBB46_33:
	s_or_b32 exec_lo, exec_lo, s0
                                        ; implicit-def: $vgpr0_vgpr1
.LBB46_34:
	s_and_not1_saveexec_b32 s0, s18
	s_cbranch_execz .LBB46_36
; %bb.35:
	s_waitcnt vmcnt(0)
	v_mad_u64_u32 v[5:6], null, v0, s12, 0
	s_ashr_i32 s0, s12, 31
	s_delay_alu instid0(VALU_DEP_1) | instid1(SALU_CYCLE_1)
	v_mad_u64_u32 v[7:8], null, v0, s0, v[6:7]
	s_delay_alu instid0(VALU_DEP_1) | instskip(NEXT) | instid1(VALU_DEP_1)
	v_dual_mov_b32 v1, 0 :: v_dual_mov_b32 v6, v7
	v_lshlrev_b64 v[1:2], 3, v[0:1]
	s_delay_alu instid0(VALU_DEP_2) | instskip(NEXT) | instid1(VALU_DEP_2)
	v_lshlrev_b64 v[5:6], 3, v[5:6]
	v_add_co_u32 v3, vcc_lo, s13, v1
	s_delay_alu instid0(VALU_DEP_3) | instskip(NEXT) | instid1(VALU_DEP_3)
	v_add_co_ci_u32_e32 v4, vcc_lo, s14, v2, vcc_lo
	v_add_co_u32 v0, vcc_lo, s6, v5
	s_delay_alu instid0(VALU_DEP_4)
	v_add_co_ci_u32_e32 v5, vcc_lo, s7, v6, vcc_lo
	global_load_b64 v[3:4], v[3:4], off
	v_add_co_u32 v0, vcc_lo, v0, v1
	v_add_co_ci_u32_e32 v1, vcc_lo, v5, v2, vcc_lo
	s_waitcnt vmcnt(0)
	global_store_b64 v[0:1], v[3:4], off
.LBB46_36:
	s_nop 0
	s_sendmsg sendmsg(MSG_DEALLOC_VGPRS)
	s_endpgm
	.section	.rodata,"a",@progbits
	.p2align	6, 0x0
	.amdhsa_kernel _ZN9rocsolver6v33100L14set_triangularIdPdTnNSt9enable_ifIXnt18rocblas_is_complexIT_EEiE4typeELi0EEEviiT0_iilPS4_lS8_il15rocblas_direct_15rocblas_storev_b
		.amdhsa_group_segment_fixed_size 0
		.amdhsa_private_segment_fixed_size 0
		.amdhsa_kernarg_size 344
		.amdhsa_user_sgpr_count 13
		.amdhsa_user_sgpr_dispatch_ptr 0
		.amdhsa_user_sgpr_queue_ptr 0
		.amdhsa_user_sgpr_kernarg_segment_ptr 1
		.amdhsa_user_sgpr_dispatch_id 0
		.amdhsa_user_sgpr_private_segment_size 0
		.amdhsa_wavefront_size32 1
		.amdhsa_uses_dynamic_stack 0
		.amdhsa_enable_private_segment 0
		.amdhsa_system_sgpr_workgroup_id_x 1
		.amdhsa_system_sgpr_workgroup_id_y 1
		.amdhsa_system_sgpr_workgroup_id_z 1
		.amdhsa_system_sgpr_workgroup_info 0
		.amdhsa_system_vgpr_workitem_id 1
		.amdhsa_next_free_vgpr 15
		.amdhsa_next_free_sgpr 22
		.amdhsa_reserve_vcc 1
		.amdhsa_float_round_mode_32 0
		.amdhsa_float_round_mode_16_64 0
		.amdhsa_float_denorm_mode_32 3
		.amdhsa_float_denorm_mode_16_64 3
		.amdhsa_dx10_clamp 1
		.amdhsa_ieee_mode 1
		.amdhsa_fp16_overflow 0
		.amdhsa_workgroup_processor_mode 1
		.amdhsa_memory_ordered 1
		.amdhsa_forward_progress 0
		.amdhsa_shared_vgpr_count 0
		.amdhsa_exception_fp_ieee_invalid_op 0
		.amdhsa_exception_fp_denorm_src 0
		.amdhsa_exception_fp_ieee_div_zero 0
		.amdhsa_exception_fp_ieee_overflow 0
		.amdhsa_exception_fp_ieee_underflow 0
		.amdhsa_exception_fp_ieee_inexact 0
		.amdhsa_exception_int_div_zero 0
	.end_amdhsa_kernel
	.section	.text._ZN9rocsolver6v33100L14set_triangularIdPdTnNSt9enable_ifIXnt18rocblas_is_complexIT_EEiE4typeELi0EEEviiT0_iilPS4_lS8_il15rocblas_direct_15rocblas_storev_b,"axG",@progbits,_ZN9rocsolver6v33100L14set_triangularIdPdTnNSt9enable_ifIXnt18rocblas_is_complexIT_EEiE4typeELi0EEEviiT0_iilPS4_lS8_il15rocblas_direct_15rocblas_storev_b,comdat
.Lfunc_end46:
	.size	_ZN9rocsolver6v33100L14set_triangularIdPdTnNSt9enable_ifIXnt18rocblas_is_complexIT_EEiE4typeELi0EEEviiT0_iilPS4_lS8_il15rocblas_direct_15rocblas_storev_b, .Lfunc_end46-_ZN9rocsolver6v33100L14set_triangularIdPdTnNSt9enable_ifIXnt18rocblas_is_complexIT_EEiE4typeELi0EEEviiT0_iilPS4_lS8_il15rocblas_direct_15rocblas_storev_b
                                        ; -- End function
	.section	.AMDGPU.csdata,"",@progbits
; Kernel info:
; codeLenInByte = 2584
; NumSgprs: 24
; NumVgprs: 15
; ScratchSize: 0
; MemoryBound: 0
; FloatMode: 240
; IeeeMode: 1
; LDSByteSize: 0 bytes/workgroup (compile time only)
; SGPRBlocks: 2
; VGPRBlocks: 1
; NumSGPRsForWavesPerEU: 24
; NumVGPRsForWavesPerEU: 15
; Occupancy: 16
; WaveLimiterHint : 0
; COMPUTE_PGM_RSRC2:SCRATCH_EN: 0
; COMPUTE_PGM_RSRC2:USER_SGPR: 13
; COMPUTE_PGM_RSRC2:TRAP_HANDLER: 0
; COMPUTE_PGM_RSRC2:TGID_X_EN: 1
; COMPUTE_PGM_RSRC2:TGID_Y_EN: 1
; COMPUTE_PGM_RSRC2:TGID_Z_EN: 1
; COMPUTE_PGM_RSRC2:TIDIG_COMP_CNT: 1
	.section	.text._ZN9rocsolver6v33100L7set_tauIdEEviPT_l,"axG",@progbits,_ZN9rocsolver6v33100L7set_tauIdEEviPT_l,comdat
	.globl	_ZN9rocsolver6v33100L7set_tauIdEEviPT_l ; -- Begin function _ZN9rocsolver6v33100L7set_tauIdEEviPT_l
	.p2align	8
	.type	_ZN9rocsolver6v33100L7set_tauIdEEviPT_l,@function
_ZN9rocsolver6v33100L7set_tauIdEEviPT_l: ; @_ZN9rocsolver6v33100L7set_tauIdEEviPT_l
; %bb.0:
	s_clause 0x1
	s_load_b32 s2, s[0:1], 0x24
	s_load_b32 s3, s[0:1], 0x0
	s_waitcnt lgkmcnt(0)
	s_and_b32 s2, s2, 0xffff
	s_delay_alu instid0(SALU_CYCLE_1) | instskip(SKIP_1) | instid1(VALU_DEP_1)
	v_mad_u64_u32 v[1:2], null, s14, s2, v[0:1]
	s_mov_b32 s2, exec_lo
	v_cmpx_gt_u32_e64 s3, v1
	s_cbranch_execz .LBB47_2
; %bb.1:
	s_load_b128 s[0:3], s[0:1], 0x8
	v_mov_b32_e32 v2, 0
	s_delay_alu instid0(VALU_DEP_1)
	v_lshlrev_b64 v[0:1], 3, v[1:2]
	s_waitcnt lgkmcnt(0)
	s_mul_i32 s3, s15, s3
	s_mul_hi_u32 s4, s15, s2
	s_mul_i32 s2, s15, s2
	s_add_i32 s3, s4, s3
	s_delay_alu instid0(SALU_CYCLE_1) | instskip(NEXT) | instid1(SALU_CYCLE_1)
	s_lshl_b64 s[2:3], s[2:3], 3
	s_add_u32 s0, s0, s2
	s_addc_u32 s1, s1, s3
	v_add_co_u32 v0, vcc_lo, s0, v0
	v_add_co_ci_u32_e32 v1, vcc_lo, s1, v1, vcc_lo
	global_load_b64 v[2:3], v[0:1], off
	s_waitcnt vmcnt(0)
	v_xor_b32_e32 v3, 0x80000000, v3
	global_store_b64 v[0:1], v[2:3], off
.LBB47_2:
	s_nop 0
	s_sendmsg sendmsg(MSG_DEALLOC_VGPRS)
	s_endpgm
	.section	.rodata,"a",@progbits
	.p2align	6, 0x0
	.amdhsa_kernel _ZN9rocsolver6v33100L7set_tauIdEEviPT_l
		.amdhsa_group_segment_fixed_size 0
		.amdhsa_private_segment_fixed_size 0
		.amdhsa_kernarg_size 280
		.amdhsa_user_sgpr_count 14
		.amdhsa_user_sgpr_dispatch_ptr 0
		.amdhsa_user_sgpr_queue_ptr 0
		.amdhsa_user_sgpr_kernarg_segment_ptr 1
		.amdhsa_user_sgpr_dispatch_id 0
		.amdhsa_user_sgpr_private_segment_size 0
		.amdhsa_wavefront_size32 1
		.amdhsa_uses_dynamic_stack 0
		.amdhsa_enable_private_segment 0
		.amdhsa_system_sgpr_workgroup_id_x 1
		.amdhsa_system_sgpr_workgroup_id_y 1
		.amdhsa_system_sgpr_workgroup_id_z 0
		.amdhsa_system_sgpr_workgroup_info 0
		.amdhsa_system_vgpr_workitem_id 0
		.amdhsa_next_free_vgpr 4
		.amdhsa_next_free_sgpr 16
		.amdhsa_reserve_vcc 1
		.amdhsa_float_round_mode_32 0
		.amdhsa_float_round_mode_16_64 0
		.amdhsa_float_denorm_mode_32 3
		.amdhsa_float_denorm_mode_16_64 3
		.amdhsa_dx10_clamp 1
		.amdhsa_ieee_mode 1
		.amdhsa_fp16_overflow 0
		.amdhsa_workgroup_processor_mode 1
		.amdhsa_memory_ordered 1
		.amdhsa_forward_progress 0
		.amdhsa_shared_vgpr_count 0
		.amdhsa_exception_fp_ieee_invalid_op 0
		.amdhsa_exception_fp_denorm_src 0
		.amdhsa_exception_fp_ieee_div_zero 0
		.amdhsa_exception_fp_ieee_overflow 0
		.amdhsa_exception_fp_ieee_underflow 0
		.amdhsa_exception_fp_ieee_inexact 0
		.amdhsa_exception_int_div_zero 0
	.end_amdhsa_kernel
	.section	.text._ZN9rocsolver6v33100L7set_tauIdEEviPT_l,"axG",@progbits,_ZN9rocsolver6v33100L7set_tauIdEEviPT_l,comdat
.Lfunc_end47:
	.size	_ZN9rocsolver6v33100L7set_tauIdEEviPT_l, .Lfunc_end47-_ZN9rocsolver6v33100L7set_tauIdEEviPT_l
                                        ; -- End function
	.section	.AMDGPU.csdata,"",@progbits
; Kernel info:
; codeLenInByte = 172
; NumSgprs: 18
; NumVgprs: 4
; ScratchSize: 0
; MemoryBound: 0
; FloatMode: 240
; IeeeMode: 1
; LDSByteSize: 0 bytes/workgroup (compile time only)
; SGPRBlocks: 2
; VGPRBlocks: 0
; NumSGPRsForWavesPerEU: 18
; NumVGPRsForWavesPerEU: 4
; Occupancy: 16
; WaveLimiterHint : 0
; COMPUTE_PGM_RSRC2:SCRATCH_EN: 0
; COMPUTE_PGM_RSRC2:USER_SGPR: 14
; COMPUTE_PGM_RSRC2:TRAP_HANDLER: 0
; COMPUTE_PGM_RSRC2:TGID_X_EN: 1
; COMPUTE_PGM_RSRC2:TGID_Y_EN: 1
; COMPUTE_PGM_RSRC2:TGID_Z_EN: 0
; COMPUTE_PGM_RSRC2:TIDIG_COMP_CNT: 0
	.section	.text._ZN9rocsolver6v33100L20larft_kernel_forwardIdPdEEv15rocblas_storev_iiT0_iilPT_lS6_il,"axG",@progbits,_ZN9rocsolver6v33100L20larft_kernel_forwardIdPdEEv15rocblas_storev_iiT0_iilPT_lS6_il,comdat
	.globl	_ZN9rocsolver6v33100L20larft_kernel_forwardIdPdEEv15rocblas_storev_iiT0_iilPT_lS6_il ; -- Begin function _ZN9rocsolver6v33100L20larft_kernel_forwardIdPdEEv15rocblas_storev_iiT0_iilPT_lS6_il
	.p2align	8
	.type	_ZN9rocsolver6v33100L20larft_kernel_forwardIdPdEEv15rocblas_storev_iiT0_iilPT_lS6_il,@function
_ZN9rocsolver6v33100L20larft_kernel_forwardIdPdEEv15rocblas_storev_iiT0_iilPT_lS6_il: ; @_ZN9rocsolver6v33100L20larft_kernel_forwardIdPdEEv15rocblas_storev_iiT0_iilPT_lS6_il
; %bb.0:
	s_clause 0x4
	s_load_b64 s[20:21], s[0:1], 0x48
	s_load_b128 s[16:19], s[0:1], 0x0
	s_load_b32 s13, s[0:1], 0x5c
	s_load_b256 s[4:11], s[0:1], 0x20
	s_load_b32 s3, s[0:1], 0x40
	s_ashr_i32 s12, s15, 31
	v_lshlrev_b32_e32 v8, 3, v0
	s_waitcnt lgkmcnt(0)
	s_mul_i32 s2, s15, s21
	s_mul_hi_u32 s14, s15, s20
	s_mul_i32 s19, s12, s20
	s_add_i32 s2, s14, s2
	s_mul_i32 s20, s15, s20
	s_add_i32 s21, s2, s19
	v_cmp_gt_i32_e64 s2, s18, v0
	s_lshl_b64 s[20:21], s[20:21], 3
	s_and_b32 s19, s13, 0xffff
	s_add_u32 s24, s10, s20
	s_addc_u32 s25, s11, s21
	s_and_saveexec_b32 s10, s2
	s_cbranch_execz .LBB48_5
; %bb.1:
	v_add_nc_u32_e32 v1, 8, v8
	s_lshl_b32 s13, s18, 3
	v_mov_b32_e32 v5, v0
	s_add_i32 s14, s13, 8
	s_add_i32 s20, s3, 1
	v_mul_lo_u32 v3, s18, v1
	v_mad_u64_u32 v[1:2], null, v0, s3, v[0:1]
	s_mov_b32 s11, 0
	s_mul_i32 s14, s14, s19
	s_mul_i32 s20, s20, s19
	s_delay_alu instid0(VALU_DEP_2)
	v_add3_u32 v4, v3, v8, 0
	.p2align	6
.LBB48_2:                               ; =>This Loop Header: Depth=1
                                        ;     Child Loop BB48_3 Depth 2
	s_delay_alu instid0(VALU_DEP_2) | instskip(NEXT) | instid1(VALU_DEP_2)
	v_mov_b32_e32 v2, v1
	v_dual_mov_b32 v6, v4 :: v_dual_mov_b32 v7, v5
	s_mov_b32 s21, 0
	.p2align	6
.LBB48_3:                               ;   Parent Loop BB48_2 Depth=1
                                        ; =>  This Inner Loop Header: Depth=2
	s_delay_alu instid0(VALU_DEP_2) | instskip(NEXT) | instid1(VALU_DEP_2)
	v_ashrrev_i32_e32 v3, 31, v2
	v_add_nc_u32_e32 v7, 1, v7
	s_delay_alu instid0(VALU_DEP_2) | instskip(SKIP_1) | instid1(VALU_DEP_2)
	v_lshlrev_b64 v[9:10], 3, v[2:3]
	v_add_nc_u32_e32 v2, s3, v2
	v_add_co_u32 v9, vcc_lo, s24, v9
	s_delay_alu instid0(VALU_DEP_3)
	v_add_co_ci_u32_e32 v10, vcc_lo, s25, v10, vcc_lo
	v_cmp_le_i32_e32 vcc_lo, s18, v7
	global_load_b64 v[9:10], v[9:10], off
	s_or_b32 s21, vcc_lo, s21
	s_waitcnt vmcnt(0)
	ds_store_b64 v6, v[9:10]
	v_add_nc_u32_e32 v6, s13, v6
	s_and_not1_b32 exec_lo, exec_lo, s21
	s_cbranch_execnz .LBB48_3
; %bb.4:                                ;   in Loop: Header=BB48_2 Depth=1
	s_or_b32 exec_lo, exec_lo, s21
	v_add_nc_u32_e32 v5, s19, v5
	v_add_nc_u32_e32 v4, s14, v4
	;; [unrolled: 1-line block ×3, first 2 shown]
	s_delay_alu instid0(VALU_DEP_3) | instskip(SKIP_1) | instid1(SALU_CYCLE_1)
	v_cmp_le_i32_e32 vcc_lo, s18, v5
	s_or_b32 s11, vcc_lo, s11
	s_and_not1_b32 exec_lo, exec_lo, s11
	s_cbranch_execnz .LBB48_2
.LBB48_5:
	s_or_b32 exec_lo, exec_lo, s10
	s_cmp_lt_i32 s18, 2
	s_waitcnt lgkmcnt(0)
	s_barrier
	buffer_gl0_inv
	s_cbranch_scc1 .LBB48_30
; %bb.6:
	s_load_b128 s[20:23], s[0:1], 0x10
	s_mul_i32 s1, s15, s9
	s_mul_hi_u32 s10, s15, s8
	s_mul_i32 s11, s12, s8
	s_add_i32 s1, s10, s1
	s_mul_i32 s0, s15, s8
	s_add_i32 s1, s1, s11
	s_mul_i32 s11, s5, s15
	s_lshl_b64 s[0:1], s[0:1], 3
	s_mul_i32 s12, s4, s12
	s_mul_hi_u32 s10, s4, s15
	v_add_nc_u32_e32 v3, 8, v8
	v_add_nc_u32_e32 v11, 0, v8
	s_mov_b32 s9, 0
	s_mov_b32 s8, 1
	s_delay_alu instid0(VALU_DEP_2)
	v_mul_lo_u32 v3, s18, v3
	s_waitcnt lgkmcnt(0)
	s_ashr_i32 s5, s22, 31
	s_add_u32 s26, s6, s0
	s_addc_u32 s27, s7, s1
	s_lshl_b32 s28, s18, 3
	s_mul_i32 s0, s4, s15
	s_add_i32 s29, s28, 0
	s_cmpk_lg_i32 s16, 0xb5
	s_mov_b32 s4, s22
	s_cselect_b32 s16, -1, 0
	s_add_i32 s1, s10, s12
	s_mov_b32 s6, s23
	s_add_i32 s1, s1, s11
	v_mul_lo_u32 v9, v0, s23
	s_lshl_b64 s[0:1], s[0:1], 3
	v_add3_u32 v10, v3, v8, 0
	s_add_u32 s22, s0, 8
	s_addc_u32 s30, s1, 0
	s_lshl_b64 s[10:11], s[4:5], 3
	v_add_co_u32 v1, s4, s0, v8
	s_add_u32 s31, s20, s10
	s_addc_u32 s33, s21, s11
	s_ashr_i32 s7, s23, 31
	v_add_co_ci_u32_e64 v2, null, s1, 0, s4
	s_lshl_b32 s4, s23, 1
	s_lshl_b32 s34, s19, 3
	s_lshl_b64 s[6:7], s[6:7], 3
	s_add_u32 s0, s0, s10
	s_addc_u32 s1, s1, s11
	s_add_u32 s0, s0, s20
	s_addc_u32 s1, s1, s21
	;; [unrolled: 2-line block ×3, first 2 shown]
	s_add_i32 s36, s28, 8
	s_mul_i32 s35, s23, s19
	s_mul_i32 s36, s36, s19
	s_mov_b32 s10, s23
	s_branch .LBB48_8
.LBB48_7:                               ;   in Loop: Header=BB48_8 Depth=1
	s_or_b32 exec_lo, exec_lo, s0
	s_add_i32 s8, s8, 1
	s_add_u32 s22, s22, 8
	s_addc_u32 s30, s30, 0
	s_add_i32 s4, s4, s23
	s_add_u32 s20, s20, 8
	s_addc_u32 s21, s21, 0
	s_add_i32 s10, s10, s23
	s_cmp_eq_u32 s8, s18
	s_waitcnt lgkmcnt(0)
	s_barrier
	buffer_gl0_inv
	s_cbranch_scc1 .LBB48_30
.LBB48_8:                               ; =>This Loop Header: Depth=1
                                        ;     Child Loop BB48_12 Depth 2
                                        ;       Child Loop BB48_14 Depth 3
                                        ;     Child Loop BB48_21 Depth 2
                                        ;       Child Loop BB48_23 Depth 3
	;; [unrolled: 2-line block ×3, first 2 shown]
	s_mul_i32 s0, s8, s18
	s_not_b32 s38, s8
	s_lshl_b32 s0, s0, 3
	s_add_i32 s38, s38, s17
	s_add_i32 s37, s29, s0
	v_cmp_gt_u32_e64 s0, s8, v0
	s_and_b32 vcc_lo, exec_lo, s16
	s_mov_b32 s1, -1
	s_cbranch_vccz .LBB48_16
; %bb.9:                                ;   in Loop: Header=BB48_8 Depth=1
	s_delay_alu instid0(VALU_DEP_1)
	s_and_saveexec_b32 s11, s0
	s_cbranch_execz .LBB48_15
; %bb.10:                               ;   in Loop: Header=BB48_8 Depth=1
	s_ashr_i32 s5, s4, 31
	v_dual_mov_b32 v4, v2 :: v_dual_mov_b32 v3, v1
	s_lshl_b64 s[0:1], s[4:5], 3
	v_mov_b32_e32 v7, v0
	s_add_u32 s12, s31, s0
	s_addc_u32 s13, s33, s1
	s_cmp_gt_i32 s38, 0
	s_mov_b32 s39, 0
	s_cselect_b32 s5, -1, 0
	s_lshl_b64 s[0:1], s[8:9], 3
	s_delay_alu instid0(SALU_CYCLE_1)
	s_add_u32 s0, s26, s0
	s_addc_u32 s1, s27, s1
	s_load_b64 s[14:15], s[0:1], 0x0
	s_set_inst_prefetch_distance 0x1
	s_branch .LBB48_12
	.p2align	6
.LBB48_11:                              ;   in Loop: Header=BB48_12 Depth=2
	v_lshlrev_b32_e32 v14, 3, v7
	v_add_nc_u32_e32 v7, s19, v7
	v_add_co_u32 v3, s0, v3, s34
	s_delay_alu instid0(VALU_DEP_1) | instskip(NEXT) | instid1(VALU_DEP_4)
	v_add_co_ci_u32_e64 v4, s0, 0, v4, s0
	v_add_nc_u32_e32 v12, s37, v14
	s_delay_alu instid0(VALU_DEP_4)
	v_cmp_le_u32_e32 vcc_lo, s8, v7
	ds_load_b64 v[12:13], v12
	s_or_b32 s39, vcc_lo, s39
	s_waitcnt lgkmcnt(0)
	v_fma_f64 v[5:6], v[5:6], s[14:15], v[12:13]
	v_add_nc_u32_e32 v12, 0, v14
	ds_store_b64 v12, v[5:6]
	s_and_not1_b32 exec_lo, exec_lo, s39
	s_cbranch_execz .LBB48_15
.LBB48_12:                              ;   Parent Loop BB48_8 Depth=1
                                        ; =>  This Loop Header: Depth=2
                                        ;       Child Loop BB48_14 Depth 3
	v_mov_b32_e32 v5, 0
	v_mov_b32_e32 v6, 0
	s_and_not1_b32 vcc_lo, exec_lo, s5
	s_cbranch_vccnz .LBB48_11
; %bb.13:                               ;   in Loop: Header=BB48_12 Depth=2
	s_mov_b32 s40, 0
	s_mov_b64 s[0:1], s[12:13]
	.p2align	6
.LBB48_14:                              ;   Parent Loop BB48_8 Depth=1
                                        ;     Parent Loop BB48_12 Depth=2
                                        ; =>    This Inner Loop Header: Depth=3
	s_delay_alu instid0(SALU_CYCLE_1)
	v_add_co_u32 v12, vcc_lo, s0, v3
	v_add_co_ci_u32_e32 v13, vcc_lo, s1, v4, vcc_lo
	s_add_u32 s42, s0, s22
	s_addc_u32 s43, s1, s30
	s_add_i32 s40, s40, 1
	global_load_b64 v[12:13], v[12:13], off
	s_load_b64 s[42:43], s[42:43], 0x0
	s_add_u32 s0, s0, s6
	s_addc_u32 s1, s1, s7
	s_cmp_ge_i32 s40, s38
	s_waitcnt vmcnt(0) lgkmcnt(0)
	v_fma_f64 v[5:6], v[12:13], s[42:43], v[5:6]
	s_cbranch_scc0 .LBB48_14
	s_branch .LBB48_11
.LBB48_15:                              ;   in Loop: Header=BB48_8 Depth=1
	s_set_inst_prefetch_distance 0x2
	s_or_b32 exec_lo, exec_lo, s11
	s_mov_b32 s1, 0
.LBB48_16:                              ;   in Loop: Header=BB48_8 Depth=1
	s_delay_alu instid0(SALU_CYCLE_1)
	s_and_not1_b32 vcc_lo, exec_lo, s1
	s_cbranch_vccnz .LBB48_25
; %bb.17:                               ;   in Loop: Header=BB48_8 Depth=1
	s_mov_b32 s5, exec_lo
	v_cmpx_gt_u32_e64 s8, v0
	s_cbranch_execz .LBB48_24
; %bb.18:                               ;   in Loop: Header=BB48_8 Depth=1
	s_ashr_i32 s11, s10, 31
	v_dual_mov_b32 v3, v9 :: v_dual_mov_b32 v12, v0
	s_lshl_b64 s[0:1], s[10:11], 3
	s_mov_b32 s39, 0
	s_add_u32 s0, s20, s0
	s_addc_u32 s1, s21, s1
	s_cmp_gt_i32 s38, 0
	s_cselect_b32 s11, -1, 0
	s_lshl_b64 s[12:13], s[8:9], 3
	s_delay_alu instid0(SALU_CYCLE_1)
	s_add_u32 s12, s26, s12
	s_addc_u32 s13, s27, s13
	s_load_b64 s[12:13], s[12:13], 0x0
	s_set_inst_prefetch_distance 0x1
	s_branch .LBB48_21
	.p2align	6
.LBB48_19:                              ;   in Loop: Header=BB48_21 Depth=2
	v_mov_b32_e32 v4, 0
	v_mov_b32_e32 v5, 0
.LBB48_20:                              ;   in Loop: Header=BB48_21 Depth=2
	v_lshlrev_b32_e32 v13, 3, v12
	v_add_nc_u32_e32 v12, s19, v12
	v_add_nc_u32_e32 v3, s35, v3
	s_delay_alu instid0(VALU_DEP_3) | instskip(NEXT) | instid1(VALU_DEP_3)
	v_add_nc_u32_e32 v6, s37, v13
	v_cmp_le_u32_e32 vcc_lo, s8, v12
	ds_load_b64 v[6:7], v6
	s_or_b32 s39, vcc_lo, s39
	s_waitcnt lgkmcnt(0)
	v_fma_f64 v[4:5], v[4:5], s[12:13], v[6:7]
	v_add_nc_u32_e32 v6, 0, v13
	ds_store_b64 v6, v[4:5]
	s_and_not1_b32 exec_lo, exec_lo, s39
	s_cbranch_execz .LBB48_24
.LBB48_21:                              ;   Parent Loop BB48_8 Depth=1
                                        ; =>  This Loop Header: Depth=2
                                        ;       Child Loop BB48_23 Depth 3
	s_and_not1_b32 vcc_lo, exec_lo, s11
	s_cbranch_vccnz .LBB48_19
; %bb.22:                               ;   in Loop: Header=BB48_21 Depth=2
	v_ashrrev_i32_e32 v4, 31, v3
	s_mov_b32 s40, 0
	s_mov_b64 s[14:15], s[0:1]
	s_delay_alu instid0(VALU_DEP_1) | instskip(SKIP_2) | instid1(VALU_DEP_3)
	v_lshlrev_b64 v[6:7], 3, v[3:4]
	v_mov_b32_e32 v4, 0
	v_mov_b32_e32 v5, 0
	v_add_co_u32 v6, vcc_lo, s20, v6
	s_delay_alu instid0(VALU_DEP_4)
	v_add_co_ci_u32_e32 v7, vcc_lo, s21, v7, vcc_lo
.LBB48_23:                              ;   Parent Loop BB48_8 Depth=1
                                        ;     Parent Loop BB48_21 Depth=2
                                        ; =>    This Inner Loop Header: Depth=3
	global_load_b64 v[13:14], v[6:7], off
	s_load_b64 s[42:43], s[14:15], 0x0
	v_add_co_u32 v6, vcc_lo, v6, 8
	s_add_i32 s40, s40, 1
	v_add_co_ci_u32_e32 v7, vcc_lo, 0, v7, vcc_lo
	s_add_u32 s14, s14, 8
	s_addc_u32 s15, s15, 0
	s_cmp_ge_i32 s40, s38
	s_waitcnt vmcnt(0) lgkmcnt(0)
	v_fma_f64 v[4:5], v[13:14], s[42:43], v[4:5]
	s_cbranch_scc0 .LBB48_23
	s_branch .LBB48_20
.LBB48_24:                              ;   in Loop: Header=BB48_8 Depth=1
	s_set_inst_prefetch_distance 0x2
	s_or_b32 exec_lo, exec_lo, s5
.LBB48_25:                              ;   in Loop: Header=BB48_8 Depth=1
	s_delay_alu instid0(SALU_CYCLE_1)
	s_mov_b32 s0, exec_lo
	s_waitcnt lgkmcnt(0)
	s_barrier
	buffer_gl0_inv
	v_cmpx_gt_u32_e64 s8, v0
	s_cbranch_execz .LBB48_7
; %bb.26:                               ;   in Loop: Header=BB48_8 Depth=1
	v_dual_mov_b32 v5, v11 :: v_dual_mov_b32 v6, v10
	v_mov_b32_e32 v7, v0
	s_mov_b32 s1, 0
	.p2align	6
.LBB48_27:                              ;   Parent Loop BB48_8 Depth=1
                                        ; =>  This Loop Header: Depth=2
                                        ;       Child Loop BB48_28 Depth 3
	s_delay_alu instid0(VALU_DEP_2) | instskip(NEXT) | instid1(VALU_DEP_3)
	v_dual_mov_b32 v3, 0 :: v_dual_mov_b32 v12, v5
	v_dual_mov_b32 v4, 0 :: v_dual_mov_b32 v13, v6
	s_delay_alu instid0(VALU_DEP_3)
	v_mov_b32_e32 v14, v7
	s_mov_b32 s5, 0
.LBB48_28:                              ;   Parent Loop BB48_8 Depth=1
                                        ;     Parent Loop BB48_27 Depth=2
                                        ; =>    This Inner Loop Header: Depth=3
	ds_load_b64 v[15:16], v13
	ds_load_b64 v[17:18], v12
	v_add_nc_u32_e32 v14, 1, v14
	v_add_nc_u32_e32 v13, s28, v13
	;; [unrolled: 1-line block ×3, first 2 shown]
	s_delay_alu instid0(VALU_DEP_3)
	v_cmp_le_u32_e32 vcc_lo, s8, v14
	s_or_b32 s5, vcc_lo, s5
	s_waitcnt lgkmcnt(0)
	v_fma_f64 v[3:4], v[15:16], v[17:18], v[3:4]
	s_and_not1_b32 exec_lo, exec_lo, s5
	s_cbranch_execnz .LBB48_28
; %bb.29:                               ;   in Loop: Header=BB48_27 Depth=2
	s_or_b32 exec_lo, exec_lo, s5
	v_lshl_add_u32 v12, v7, 3, s37
	v_add_nc_u32_e32 v7, s19, v7
	v_add_nc_u32_e32 v6, s36, v6
	;; [unrolled: 1-line block ×3, first 2 shown]
	ds_store_b64 v12, v[3:4]
	v_cmp_le_u32_e32 vcc_lo, s8, v7
	s_or_b32 s1, vcc_lo, s1
	s_delay_alu instid0(SALU_CYCLE_1)
	s_and_not1_b32 exec_lo, exec_lo, s1
	s_cbranch_execnz .LBB48_27
	s_branch .LBB48_7
.LBB48_30:
	s_and_saveexec_b32 s0, s2
	s_cbranch_execz .LBB48_35
; %bb.31:
	v_add_nc_u32_e32 v1, 8, v8
	s_lshl_b32 s2, s18, 3
	s_add_i32 s1, s3, 1
	s_add_i32 s5, s2, 8
	s_mul_i32 s1, s1, s19
	v_mul_lo_u32 v3, s18, v1
	v_mad_u64_u32 v[1:2], null, v0, s3, v[0:1]
	s_mov_b32 s4, 0
	s_mul_i32 s5, s5, s19
	s_delay_alu instid0(VALU_DEP_2)
	v_add3_u32 v4, v3, v8, 0
	.p2align	6
.LBB48_32:                              ; =>This Loop Header: Depth=1
                                        ;     Child Loop BB48_33 Depth 2
	s_delay_alu instid0(VALU_DEP_1)
	v_dual_mov_b32 v5, v4 :: v_dual_mov_b32 v2, v1
	v_mov_b32_e32 v6, v0
	s_mov_b32 s6, 0
	.p2align	6
.LBB48_33:                              ;   Parent Loop BB48_32 Depth=1
                                        ; =>  This Inner Loop Header: Depth=2
	ds_load_b64 v[7:8], v5
	v_ashrrev_i32_e32 v3, 31, v2
	v_add_nc_u32_e32 v6, 1, v6
	v_add_nc_u32_e32 v5, s2, v5
	s_delay_alu instid0(VALU_DEP_3) | instskip(NEXT) | instid1(VALU_DEP_3)
	v_lshlrev_b64 v[9:10], 3, v[2:3]
	v_cmp_le_i32_e32 vcc_lo, s18, v6
	v_add_nc_u32_e32 v2, s3, v2
	s_or_b32 s6, vcc_lo, s6
	s_delay_alu instid0(VALU_DEP_3) | instskip(NEXT) | instid1(VALU_DEP_1)
	v_add_co_u32 v9, s0, s24, v9
	v_add_co_ci_u32_e64 v10, s0, s25, v10, s0
	s_waitcnt lgkmcnt(0)
	global_store_b64 v[9:10], v[7:8], off
	s_and_not1_b32 exec_lo, exec_lo, s6
	s_cbranch_execnz .LBB48_33
; %bb.34:                               ;   in Loop: Header=BB48_32 Depth=1
	s_or_b32 exec_lo, exec_lo, s6
	v_add_nc_u32_e32 v0, s19, v0
	v_add_nc_u32_e32 v1, s1, v1
	;; [unrolled: 1-line block ×3, first 2 shown]
	s_delay_alu instid0(VALU_DEP_3) | instskip(SKIP_1) | instid1(SALU_CYCLE_1)
	v_cmp_le_i32_e32 vcc_lo, s18, v0
	s_or_b32 s4, vcc_lo, s4
	s_and_not1_b32 exec_lo, exec_lo, s4
	s_cbranch_execnz .LBB48_32
.LBB48_35:
	s_nop 0
	s_sendmsg sendmsg(MSG_DEALLOC_VGPRS)
	s_endpgm
	.section	.rodata,"a",@progbits
	.p2align	6, 0x0
	.amdhsa_kernel _ZN9rocsolver6v33100L20larft_kernel_forwardIdPdEEv15rocblas_storev_iiT0_iilPT_lS6_il
		.amdhsa_group_segment_fixed_size 0
		.amdhsa_private_segment_fixed_size 0
		.amdhsa_kernarg_size 336
		.amdhsa_user_sgpr_count 14
		.amdhsa_user_sgpr_dispatch_ptr 0
		.amdhsa_user_sgpr_queue_ptr 0
		.amdhsa_user_sgpr_kernarg_segment_ptr 1
		.amdhsa_user_sgpr_dispatch_id 0
		.amdhsa_user_sgpr_private_segment_size 0
		.amdhsa_wavefront_size32 1
		.amdhsa_uses_dynamic_stack 0
		.amdhsa_enable_private_segment 0
		.amdhsa_system_sgpr_workgroup_id_x 1
		.amdhsa_system_sgpr_workgroup_id_y 1
		.amdhsa_system_sgpr_workgroup_id_z 0
		.amdhsa_system_sgpr_workgroup_info 0
		.amdhsa_system_vgpr_workitem_id 0
		.amdhsa_next_free_vgpr 19
		.amdhsa_next_free_sgpr 44
		.amdhsa_reserve_vcc 1
		.amdhsa_float_round_mode_32 0
		.amdhsa_float_round_mode_16_64 0
		.amdhsa_float_denorm_mode_32 3
		.amdhsa_float_denorm_mode_16_64 3
		.amdhsa_dx10_clamp 1
		.amdhsa_ieee_mode 1
		.amdhsa_fp16_overflow 0
		.amdhsa_workgroup_processor_mode 1
		.amdhsa_memory_ordered 1
		.amdhsa_forward_progress 0
		.amdhsa_shared_vgpr_count 0
		.amdhsa_exception_fp_ieee_invalid_op 0
		.amdhsa_exception_fp_denorm_src 0
		.amdhsa_exception_fp_ieee_div_zero 0
		.amdhsa_exception_fp_ieee_overflow 0
		.amdhsa_exception_fp_ieee_underflow 0
		.amdhsa_exception_fp_ieee_inexact 0
		.amdhsa_exception_int_div_zero 0
	.end_amdhsa_kernel
	.section	.text._ZN9rocsolver6v33100L20larft_kernel_forwardIdPdEEv15rocblas_storev_iiT0_iilPT_lS6_il,"axG",@progbits,_ZN9rocsolver6v33100L20larft_kernel_forwardIdPdEEv15rocblas_storev_iiT0_iilPT_lS6_il,comdat
.Lfunc_end48:
	.size	_ZN9rocsolver6v33100L20larft_kernel_forwardIdPdEEv15rocblas_storev_iiT0_iilPT_lS6_il, .Lfunc_end48-_ZN9rocsolver6v33100L20larft_kernel_forwardIdPdEEv15rocblas_storev_iiT0_iilPT_lS6_il
                                        ; -- End function
	.section	.AMDGPU.csdata,"",@progbits
; Kernel info:
; codeLenInByte = 1680
; NumSgprs: 46
; NumVgprs: 19
; ScratchSize: 0
; MemoryBound: 0
; FloatMode: 240
; IeeeMode: 1
; LDSByteSize: 0 bytes/workgroup (compile time only)
; SGPRBlocks: 5
; VGPRBlocks: 2
; NumSGPRsForWavesPerEU: 46
; NumVGPRsForWavesPerEU: 19
; Occupancy: 16
; WaveLimiterHint : 0
; COMPUTE_PGM_RSRC2:SCRATCH_EN: 0
; COMPUTE_PGM_RSRC2:USER_SGPR: 14
; COMPUTE_PGM_RSRC2:TRAP_HANDLER: 0
; COMPUTE_PGM_RSRC2:TGID_X_EN: 1
; COMPUTE_PGM_RSRC2:TGID_Y_EN: 1
; COMPUTE_PGM_RSRC2:TGID_Z_EN: 0
; COMPUTE_PGM_RSRC2:TIDIG_COMP_CNT: 0
	.section	.text._ZN9rocsolver6v33100L21larft_kernel_backwardIdPdEEv15rocblas_storev_iiT0_iilPT_lS6_il,"axG",@progbits,_ZN9rocsolver6v33100L21larft_kernel_backwardIdPdEEv15rocblas_storev_iiT0_iilPT_lS6_il,comdat
	.globl	_ZN9rocsolver6v33100L21larft_kernel_backwardIdPdEEv15rocblas_storev_iiT0_iilPT_lS6_il ; -- Begin function _ZN9rocsolver6v33100L21larft_kernel_backwardIdPdEEv15rocblas_storev_iiT0_iilPT_lS6_il
	.p2align	8
	.type	_ZN9rocsolver6v33100L21larft_kernel_backwardIdPdEEv15rocblas_storev_iiT0_iilPT_lS6_il,@function
_ZN9rocsolver6v33100L21larft_kernel_backwardIdPdEEv15rocblas_storev_iiT0_iilPT_lS6_il: ; @_ZN9rocsolver6v33100L21larft_kernel_backwardIdPdEEv15rocblas_storev_iiT0_iilPT_lS6_il
; %bb.0:
	s_clause 0x4
	s_load_b64 s[20:21], s[0:1], 0x48
	s_load_b128 s[16:19], s[0:1], 0x0
	s_load_b32 s13, s[0:1], 0x5c
	s_load_b256 s[4:11], s[0:1], 0x20
	s_load_b32 s3, s[0:1], 0x40
	s_ashr_i32 s12, s15, 31
	v_add_nc_u32_e32 v8, 1, v0
	v_lshlrev_b32_e32 v9, 3, v0
	s_waitcnt lgkmcnt(0)
	s_mul_i32 s2, s15, s21
	s_mul_hi_u32 s14, s15, s20
	s_mul_i32 s19, s12, s20
	s_add_i32 s2, s14, s2
	s_mul_i32 s20, s15, s20
	s_add_i32 s21, s2, s19
	v_cmp_gt_i32_e64 s2, s18, v0
	s_lshl_b64 s[20:21], s[20:21], 3
	s_and_b32 s19, s13, 0xffff
	s_add_u32 s24, s10, s20
	s_addc_u32 s25, s11, s21
	s_and_saveexec_b32 s10, s2
	s_cbranch_execz .LBB49_5
; %bb.1:
	s_lshl_b32 s11, s18, 3
	v_add_nc_u32_e32 v3, 1, v0
	v_add3_u32 v4, 0, s11, v9
	v_mov_b32_e32 v5, v0
	s_mov_b32 s13, 0
	s_lshl_b32 s14, s19, 3
	.p2align	6
.LBB49_2:                               ; =>This Loop Header: Depth=1
                                        ;     Child Loop BB49_3 Depth 2
	s_delay_alu instid0(VALU_DEP_1)
	v_dual_mov_b32 v1, v5 :: v_dual_mov_b32 v6, v4
	s_mov_b32 s20, 0
	s_mov_b32 s21, 0
	.p2align	6
.LBB49_3:                               ;   Parent Loop BB49_2 Depth=1
                                        ; =>  This Inner Loop Header: Depth=2
	s_delay_alu instid0(VALU_DEP_1) | instskip(SKIP_1) | instid1(VALU_DEP_1)
	v_ashrrev_i32_e32 v2, 31, v1
	s_add_i32 s21, s21, 1
	v_lshlrev_b64 v[10:11], 3, v[1:2]
	v_add_nc_u32_e32 v1, s3, v1
	s_delay_alu instid0(VALU_DEP_2) | instskip(NEXT) | instid1(VALU_DEP_3)
	v_add_co_u32 v10, vcc_lo, s24, v10
	v_add_co_ci_u32_e32 v11, vcc_lo, s25, v11, vcc_lo
	v_cmp_eq_u32_e32 vcc_lo, s21, v3
	global_load_b64 v[10:11], v[10:11], off
	s_or_b32 s20, vcc_lo, s20
	s_waitcnt vmcnt(0)
	ds_store_b64 v6, v[10:11]
	v_add_nc_u32_e32 v6, s11, v6
	s_and_not1_b32 exec_lo, exec_lo, s20
	s_cbranch_execnz .LBB49_3
; %bb.4:                                ;   in Loop: Header=BB49_2 Depth=1
	s_or_b32 exec_lo, exec_lo, s20
	v_add_nc_u32_e32 v5, s19, v5
	v_add_nc_u32_e32 v3, s19, v3
	;; [unrolled: 1-line block ×3, first 2 shown]
	s_delay_alu instid0(VALU_DEP_3) | instskip(SKIP_1) | instid1(SALU_CYCLE_1)
	v_cmp_le_i32_e32 vcc_lo, s18, v5
	s_or_b32 s13, vcc_lo, s13
	s_and_not1_b32 exec_lo, exec_lo, s13
	s_cbranch_execnz .LBB49_2
.LBB49_5:
	s_or_b32 exec_lo, exec_lo, s10
	s_cmp_lt_i32 s18, 2
	s_waitcnt lgkmcnt(0)
	s_barrier
	buffer_gl0_inv
	s_cbranch_scc1 .LBB49_30
; %bb.6:
	s_load_b128 s[20:23], s[0:1], 0x10
	s_mul_i32 s1, s15, s9
	s_mul_hi_u32 s9, s15, s8
	s_mul_i32 s10, s12, s8
	s_add_i32 s1, s9, s1
	s_mul_i32 s0, s15, s8
	s_add_i32 s1, s1, s10
	s_mul_i32 s10, s5, s15
	s_lshl_b64 s[0:1], s[0:1], 3
	s_mul_i32 s8, s4, s12
	s_mul_hi_u32 s9, s4, s15
	s_waitcnt lgkmcnt(0)
	s_ashr_i32 s5, s22, 31
	s_add_u32 s26, s6, s0
	s_addc_u32 s27, s7, s1
	s_lshl_b32 s28, s18, 3
	s_add_i32 s6, s18, -2
	s_sub_i32 s17, s17, s18
	s_add_i32 s29, s28, 0
	s_cmpk_lg_i32 s16, 0xb5
	s_mul_i32 s0, s4, s15
	s_cselect_b32 s16, -1, 0
	s_add_i32 s1, s9, s8
	s_mov_b32 s4, s22
	s_add_i32 s1, s1, s10
	s_lshl_b64 s[4:5], s[4:5], 3
	s_lshl_b64 s[0:1], s[0:1], 3
	s_mov_b32 s7, 0
	s_add_u32 s8, s0, s4
	s_addc_u32 s9, s1, s5
	s_lshl_b64 s[0:1], s[6:7], 3
	s_mov_b32 s4, s23
	s_add_u32 s5, s8, s0
	s_addc_u32 s10, s9, s1
	s_add_u32 s22, s20, s5
	s_addc_u32 s30, s21, s10
	s_ashr_i32 s5, s23, 31
	v_mul_lo_u32 v10, v0, s23
	s_lshl_b64 s[4:5], s[4:5], 3
	s_add_u32 s20, s20, s8
	s_addc_u32 s21, s21, s9
	s_add_u32 s0, s20, s0
	s_addc_u32 s1, s21, s1
	v_add_co_u32 v1, s0, s0, v9
	s_add_i32 s9, s28, 8
	v_add_co_ci_u32_e64 v2, null, s1, 0, s0
	s_mul_i32 s0, s18, s9
	s_delay_alu instid0(VALU_DEP_2) | instskip(SKIP_1) | instid1(VALU_DEP_2)
	v_add_co_u32 v1, vcc_lo, v1, 8
	s_add_i32 s0, s0, 0
	v_add_co_ci_u32_e32 v2, vcc_lo, 0, v2, vcc_lo
	v_add3_u32 v11, s0, v9, -8
	s_add_i32 s8, s18, -1
	s_lshl_b32 s31, s19, 3
	s_mul_i32 s8, s23, s8
	s_mul_i32 s33, s23, s19
	;; [unrolled: 1-line block ×3, first 2 shown]
	s_xor_b32 s34, s28, -8
	s_branch .LBB49_8
.LBB49_7:                               ;   in Loop: Header=BB49_8 Depth=1
	s_or_b32 exec_lo, exec_lo, s0
	v_add_co_u32 v1, vcc_lo, v1, -8
	s_add_i32 s0, s6, -1
	v_add_co_ci_u32_e32 v2, vcc_lo, -1, v2, vcc_lo
	v_add_nc_u32_e32 v11, s34, v11
	s_add_u32 s22, s22, -8
	s_addc_u32 s30, s30, -1
	s_sub_i32 s8, s8, s23
	s_sub_i32 s10, s10, s23
	s_cmp_lt_i32 s6, 1
	s_mov_b32 s6, s0
	s_waitcnt lgkmcnt(0)
	s_barrier
	buffer_gl0_inv
	s_cbranch_scc1 .LBB49_30
.LBB49_8:                               ; =>This Loop Header: Depth=1
                                        ;     Child Loop BB49_12 Depth 2
                                        ;       Child Loop BB49_14 Depth 3
                                        ;     Child Loop BB49_21 Depth 2
                                        ;       Child Loop BB49_23 Depth 3
	;; [unrolled: 2-line block ×3, first 2 shown]
	s_not_b32 s35, s6
	s_lshl_b32 s0, s6, 3
	s_mul_i32 s1, s6, s18
	s_add_i32 s35, s35, s18
	s_add_i32 s36, s29, s0
	s_lshl_b32 s0, s1, 3
	s_add_i32 s37, s6, s17
	s_add_i32 s36, s36, s0
	v_cmp_gt_i32_e64 s0, s35, v0
	s_and_b32 vcc_lo, exec_lo, s16
	s_mov_b32 s1, -1
	s_cbranch_vccz .LBB49_16
; %bb.9:                                ;   in Loop: Header=BB49_8 Depth=1
	s_delay_alu instid0(VALU_DEP_1)
	s_and_saveexec_b32 s9, s0
	s_cbranch_execz .LBB49_15
; %bb.10:                               ;   in Loop: Header=BB49_8 Depth=1
	s_cmp_gt_i32 s37, 0
	v_dual_mov_b32 v4, v2 :: v_dual_mov_b32 v3, v1
	s_cselect_b32 s11, -1, 0
	s_lshl_b64 s[0:1], s[6:7], 3
	v_mov_b32_e32 v7, v0
	s_add_u32 s0, s26, s0
	s_addc_u32 s1, s27, s1
	s_mov_b32 s14, 0
	s_load_b64 s[12:13], s[0:1], 0x0
	s_add_i32 s15, s36, 8
	s_set_inst_prefetch_distance 0x1
	s_branch .LBB49_12
	.p2align	6
.LBB49_11:                              ;   in Loop: Header=BB49_12 Depth=2
	v_lshlrev_b32_e32 v14, 3, v7
	v_add_nc_u32_e32 v7, s19, v7
	v_add_co_u32 v3, s0, v3, s31
	s_delay_alu instid0(VALU_DEP_1) | instskip(NEXT) | instid1(VALU_DEP_4)
	v_add_co_ci_u32_e64 v4, s0, 0, v4, s0
	v_add_nc_u32_e32 v12, s15, v14
	s_delay_alu instid0(VALU_DEP_4)
	v_cmp_le_i32_e32 vcc_lo, s35, v7
	ds_load_b64 v[12:13], v12
	s_or_b32 s14, vcc_lo, s14
	s_waitcnt lgkmcnt(0)
	v_fma_f64 v[5:6], v[5:6], s[12:13], v[12:13]
	v_add_nc_u32_e32 v12, 0, v14
	ds_store_b64 v12, v[5:6]
	s_and_not1_b32 exec_lo, exec_lo, s14
	s_cbranch_execz .LBB49_15
.LBB49_12:                              ;   Parent Loop BB49_8 Depth=1
                                        ; =>  This Loop Header: Depth=2
                                        ;       Child Loop BB49_14 Depth 3
	v_mov_b32_e32 v5, 0
	v_mov_b32_e32 v6, 0
	s_and_not1_b32 vcc_lo, exec_lo, s11
	s_cbranch_vccnz .LBB49_11
; %bb.13:                               ;   in Loop: Header=BB49_12 Depth=2
	s_mov_b32 s38, 0
	s_mov_b64 s[0:1], 0
	.p2align	6
.LBB49_14:                              ;   Parent Loop BB49_8 Depth=1
                                        ;     Parent Loop BB49_12 Depth=2
                                        ; =>    This Inner Loop Header: Depth=3
	s_delay_alu instid0(SALU_CYCLE_1)
	v_add_co_u32 v12, vcc_lo, v3, s0
	v_add_co_ci_u32_e32 v13, vcc_lo, s1, v4, vcc_lo
	s_add_u32 s40, s22, s0
	s_addc_u32 s41, s30, s1
	s_add_i32 s38, s38, 1
	global_load_b64 v[12:13], v[12:13], off
	s_load_b64 s[40:41], s[40:41], 0x0
	s_add_u32 s0, s0, s4
	s_addc_u32 s1, s1, s5
	s_cmp_ge_i32 s38, s37
	s_waitcnt vmcnt(0) lgkmcnt(0)
	v_fma_f64 v[5:6], v[12:13], s[40:41], v[5:6]
	s_cbranch_scc0 .LBB49_14
	s_branch .LBB49_11
.LBB49_15:                              ;   in Loop: Header=BB49_8 Depth=1
	s_set_inst_prefetch_distance 0x2
	s_or_b32 exec_lo, exec_lo, s9
	s_mov_b32 s1, 0
.LBB49_16:                              ;   in Loop: Header=BB49_8 Depth=1
	s_delay_alu instid0(SALU_CYCLE_1)
	s_and_not1_b32 vcc_lo, exec_lo, s1
	s_cbranch_vccnz .LBB49_25
; %bb.17:                               ;   in Loop: Header=BB49_8 Depth=1
	s_mov_b32 s38, exec_lo
	v_cmpx_gt_i32_e64 s35, v0
	s_cbranch_execz .LBB49_24
; %bb.18:                               ;   in Loop: Header=BB49_8 Depth=1
	s_ashr_i32 s11, s10, 31
	s_ashr_i32 s9, s8, 31
	s_lshl_b64 s[0:1], s[10:11], 3
	s_lshl_b64 s[14:15], s[8:9], 3
	s_add_u32 s0, s20, s0
	s_addc_u32 s1, s21, s1
	s_cmp_gt_i32 s37, 0
	v_dual_mov_b32 v3, v10 :: v_dual_mov_b32 v12, v0
	s_cselect_b32 s9, -1, 0
	s_lshl_b64 s[12:13], s[6:7], 3
	s_mov_b32 s11, 0
	s_add_u32 s12, s26, s12
	s_addc_u32 s13, s27, s13
	s_add_i32 s39, s36, 8
	s_load_b64 s[12:13], s[12:13], 0x0
	s_add_u32 s40, s20, s14
	s_addc_u32 s41, s21, s15
	s_set_inst_prefetch_distance 0x1
	s_branch .LBB49_21
	.p2align	6
.LBB49_19:                              ;   in Loop: Header=BB49_21 Depth=2
	v_mov_b32_e32 v4, 0
	v_mov_b32_e32 v5, 0
.LBB49_20:                              ;   in Loop: Header=BB49_21 Depth=2
	v_lshlrev_b32_e32 v13, 3, v12
	v_add_nc_u32_e32 v12, s19, v12
	v_add_nc_u32_e32 v3, s33, v3
	s_delay_alu instid0(VALU_DEP_3) | instskip(NEXT) | instid1(VALU_DEP_3)
	v_add_nc_u32_e32 v6, s39, v13
	v_cmp_le_i32_e32 vcc_lo, s35, v12
	ds_load_b64 v[6:7], v6
	s_or_b32 s11, vcc_lo, s11
	s_waitcnt lgkmcnt(0)
	v_fma_f64 v[4:5], v[4:5], s[12:13], v[6:7]
	v_add_nc_u32_e32 v6, 0, v13
	ds_store_b64 v6, v[4:5]
	s_and_not1_b32 exec_lo, exec_lo, s11
	s_cbranch_execz .LBB49_24
.LBB49_21:                              ;   Parent Loop BB49_8 Depth=1
                                        ; =>  This Loop Header: Depth=2
                                        ;       Child Loop BB49_23 Depth 3
	s_and_not1_b32 vcc_lo, exec_lo, s9
	s_cbranch_vccnz .LBB49_19
; %bb.22:                               ;   in Loop: Header=BB49_21 Depth=2
	v_ashrrev_i32_e32 v4, 31, v3
	s_mov_b32 s42, 0
	s_mov_b64 s[14:15], s[0:1]
	s_delay_alu instid0(VALU_DEP_1) | instskip(SKIP_2) | instid1(VALU_DEP_3)
	v_lshlrev_b64 v[6:7], 3, v[3:4]
	v_mov_b32_e32 v4, 0
	v_mov_b32_e32 v5, 0
	v_add_co_u32 v6, vcc_lo, s40, v6
	s_delay_alu instid0(VALU_DEP_4)
	v_add_co_ci_u32_e32 v7, vcc_lo, s41, v7, vcc_lo
.LBB49_23:                              ;   Parent Loop BB49_8 Depth=1
                                        ;     Parent Loop BB49_21 Depth=2
                                        ; =>    This Inner Loop Header: Depth=3
	global_load_b64 v[13:14], v[6:7], off
	s_load_b64 s[44:45], s[14:15], 0x0
	v_add_co_u32 v6, vcc_lo, v6, 8
	s_add_i32 s42, s42, 1
	v_add_co_ci_u32_e32 v7, vcc_lo, 0, v7, vcc_lo
	s_add_u32 s14, s14, 8
	s_addc_u32 s15, s15, 0
	s_cmp_ge_i32 s42, s37
	s_waitcnt vmcnt(0) lgkmcnt(0)
	v_fma_f64 v[4:5], v[13:14], s[44:45], v[4:5]
	s_cbranch_scc0 .LBB49_23
	s_branch .LBB49_20
.LBB49_24:                              ;   in Loop: Header=BB49_8 Depth=1
	s_set_inst_prefetch_distance 0x2
	s_or_b32 exec_lo, exec_lo, s38
.LBB49_25:                              ;   in Loop: Header=BB49_8 Depth=1
	s_delay_alu instid0(SALU_CYCLE_1)
	s_mov_b32 s0, exec_lo
	s_waitcnt lgkmcnt(0)
	s_barrier
	buffer_gl0_inv
	v_cmpx_gt_i32_e64 s35, v0
	s_cbranch_execz .LBB49_7
; %bb.26:                               ;   in Loop: Header=BB49_8 Depth=1
	v_dual_mov_b32 v5, v11 :: v_dual_mov_b32 v6, v0
	s_add_i32 s36, s36, 8
	s_mov_b32 s1, 0
	.p2align	6
.LBB49_27:                              ;   Parent Loop BB49_8 Depth=1
                                        ; =>  This Loop Header: Depth=2
                                        ;       Child Loop BB49_28 Depth 3
	v_mov_b32_e32 v3, 0
	s_delay_alu instid0(VALU_DEP_2)
	v_dual_mov_b32 v4, 0 :: v_dual_mov_b32 v7, v5
	s_mov_b32 s11, -1
	s_mov_b32 s9, 0
	s_mov_b32 s12, 0
.LBB49_28:                              ;   Parent Loop BB49_8 Depth=1
                                        ;     Parent Loop BB49_27 Depth=2
                                        ; =>    This Inner Loop Header: Depth=3
	s_delay_alu instid0(SALU_CYCLE_1)
	v_mov_b32_e32 v14, s12
	s_add_i32 s11, s11, 1
	s_add_i32 s12, s12, 8
	v_cmp_eq_u32_e32 vcc_lo, s11, v6
	ds_load_b64 v[12:13], v7
	ds_load_b64 v[14:15], v14
	v_add_nc_u32_e32 v7, s28, v7
	s_or_b32 s9, vcc_lo, s9
	s_waitcnt lgkmcnt(0)
	v_fma_f64 v[3:4], v[12:13], v[14:15], v[3:4]
	s_and_not1_b32 exec_lo, exec_lo, s9
	s_cbranch_execnz .LBB49_28
; %bb.29:                               ;   in Loop: Header=BB49_27 Depth=2
	s_or_b32 exec_lo, exec_lo, s9
	v_lshl_add_u32 v7, v6, 3, s36
	v_add_nc_u32_e32 v6, s19, v6
	v_add_nc_u32_e32 v5, s31, v5
	ds_store_b64 v7, v[3:4]
	v_cmp_le_i32_e32 vcc_lo, s35, v6
	s_or_b32 s1, vcc_lo, s1
	s_delay_alu instid0(SALU_CYCLE_1)
	s_and_not1_b32 exec_lo, exec_lo, s1
	s_cbranch_execnz .LBB49_27
	s_branch .LBB49_7
.LBB49_30:
	s_and_saveexec_b32 s0, s2
	s_cbranch_execz .LBB49_35
; %bb.31:
	s_lshl_b32 s1, s18, 3
	s_mov_b32 s2, 0
	v_add3_u32 v3, 0, s1, v9
	s_lshl_b32 s4, s19, 3
	.p2align	6
.LBB49_32:                              ; =>This Loop Header: Depth=1
                                        ;     Child Loop BB49_33 Depth 2
	s_delay_alu instid0(VALU_DEP_1)
	v_dual_mov_b32 v4, v3 :: v_dual_mov_b32 v1, v0
	s_mov_b32 s5, 0
	s_mov_b32 s6, 0
	.p2align	6
.LBB49_33:                              ;   Parent Loop BB49_32 Depth=1
                                        ; =>  This Inner Loop Header: Depth=2
	ds_load_b64 v[5:6], v4
	v_ashrrev_i32_e32 v2, 31, v1
	s_add_i32 s6, s6, 1
	v_add_nc_u32_e32 v4, s1, v4
	v_cmp_eq_u32_e32 vcc_lo, s6, v8
	s_delay_alu instid0(VALU_DEP_3) | instskip(SKIP_2) | instid1(VALU_DEP_2)
	v_lshlrev_b64 v[9:10], 3, v[1:2]
	v_add_nc_u32_e32 v1, s3, v1
	s_or_b32 s5, vcc_lo, s5
	v_add_co_u32 v9, s0, s24, v9
	s_delay_alu instid0(VALU_DEP_1)
	v_add_co_ci_u32_e64 v10, s0, s25, v10, s0
	s_waitcnt lgkmcnt(0)
	global_store_b64 v[9:10], v[5:6], off
	s_and_not1_b32 exec_lo, exec_lo, s5
	s_cbranch_execnz .LBB49_33
; %bb.34:                               ;   in Loop: Header=BB49_32 Depth=1
	s_or_b32 exec_lo, exec_lo, s5
	v_add_nc_u32_e32 v0, s19, v0
	v_add_nc_u32_e32 v8, s19, v8
	;; [unrolled: 1-line block ×3, first 2 shown]
	s_delay_alu instid0(VALU_DEP_3) | instskip(SKIP_1) | instid1(SALU_CYCLE_1)
	v_cmp_le_i32_e32 vcc_lo, s18, v0
	s_or_b32 s2, vcc_lo, s2
	s_and_not1_b32 exec_lo, exec_lo, s2
	s_cbranch_execnz .LBB49_32
.LBB49_35:
	s_nop 0
	s_sendmsg sendmsg(MSG_DEALLOC_VGPRS)
	s_endpgm
	.section	.rodata,"a",@progbits
	.p2align	6, 0x0
	.amdhsa_kernel _ZN9rocsolver6v33100L21larft_kernel_backwardIdPdEEv15rocblas_storev_iiT0_iilPT_lS6_il
		.amdhsa_group_segment_fixed_size 0
		.amdhsa_private_segment_fixed_size 0
		.amdhsa_kernarg_size 336
		.amdhsa_user_sgpr_count 14
		.amdhsa_user_sgpr_dispatch_ptr 0
		.amdhsa_user_sgpr_queue_ptr 0
		.amdhsa_user_sgpr_kernarg_segment_ptr 1
		.amdhsa_user_sgpr_dispatch_id 0
		.amdhsa_user_sgpr_private_segment_size 0
		.amdhsa_wavefront_size32 1
		.amdhsa_uses_dynamic_stack 0
		.amdhsa_enable_private_segment 0
		.amdhsa_system_sgpr_workgroup_id_x 1
		.amdhsa_system_sgpr_workgroup_id_y 1
		.amdhsa_system_sgpr_workgroup_id_z 0
		.amdhsa_system_sgpr_workgroup_info 0
		.amdhsa_system_vgpr_workitem_id 0
		.amdhsa_next_free_vgpr 16
		.amdhsa_next_free_sgpr 46
		.amdhsa_reserve_vcc 1
		.amdhsa_float_round_mode_32 0
		.amdhsa_float_round_mode_16_64 0
		.amdhsa_float_denorm_mode_32 3
		.amdhsa_float_denorm_mode_16_64 3
		.amdhsa_dx10_clamp 1
		.amdhsa_ieee_mode 1
		.amdhsa_fp16_overflow 0
		.amdhsa_workgroup_processor_mode 1
		.amdhsa_memory_ordered 1
		.amdhsa_forward_progress 0
		.amdhsa_shared_vgpr_count 0
		.amdhsa_exception_fp_ieee_invalid_op 0
		.amdhsa_exception_fp_denorm_src 0
		.amdhsa_exception_fp_ieee_div_zero 0
		.amdhsa_exception_fp_ieee_overflow 0
		.amdhsa_exception_fp_ieee_underflow 0
		.amdhsa_exception_fp_ieee_inexact 0
		.amdhsa_exception_int_div_zero 0
	.end_amdhsa_kernel
	.section	.text._ZN9rocsolver6v33100L21larft_kernel_backwardIdPdEEv15rocblas_storev_iiT0_iilPT_lS6_il,"axG",@progbits,_ZN9rocsolver6v33100L21larft_kernel_backwardIdPdEEv15rocblas_storev_iiT0_iilPT_lS6_il,comdat
.Lfunc_end49:
	.size	_ZN9rocsolver6v33100L21larft_kernel_backwardIdPdEEv15rocblas_storev_iiT0_iilPT_lS6_il, .Lfunc_end49-_ZN9rocsolver6v33100L21larft_kernel_backwardIdPdEEv15rocblas_storev_iiT0_iilPT_lS6_il
                                        ; -- End function
	.section	.AMDGPU.csdata,"",@progbits
; Kernel info:
; codeLenInByte = 1648
; NumSgprs: 48
; NumVgprs: 16
; ScratchSize: 0
; MemoryBound: 0
; FloatMode: 240
; IeeeMode: 1
; LDSByteSize: 0 bytes/workgroup (compile time only)
; SGPRBlocks: 5
; VGPRBlocks: 1
; NumSGPRsForWavesPerEU: 48
; NumVGPRsForWavesPerEU: 16
; Occupancy: 16
; WaveLimiterHint : 0
; COMPUTE_PGM_RSRC2:SCRATCH_EN: 0
; COMPUTE_PGM_RSRC2:USER_SGPR: 14
; COMPUTE_PGM_RSRC2:TRAP_HANDLER: 0
; COMPUTE_PGM_RSRC2:TGID_X_EN: 1
; COMPUTE_PGM_RSRC2:TGID_Y_EN: 1
; COMPUTE_PGM_RSRC2:TGID_Z_EN: 0
; COMPUTE_PGM_RSRC2:TIDIG_COMP_CNT: 0
	.section	.text._ZN9rocsolver6v33100L9copymatA1IdPdEEviiT0_iilPT_,"axG",@progbits,_ZN9rocsolver6v33100L9copymatA1IdPdEEviiT0_iilPT_,comdat
	.globl	_ZN9rocsolver6v33100L9copymatA1IdPdEEviiT0_iilPT_ ; -- Begin function _ZN9rocsolver6v33100L9copymatA1IdPdEEviiT0_iilPT_
	.p2align	8
	.type	_ZN9rocsolver6v33100L9copymatA1IdPdEEviiT0_iilPT_,@function
_ZN9rocsolver6v33100L9copymatA1IdPdEEviiT0_iilPT_: ; @_ZN9rocsolver6v33100L9copymatA1IdPdEEviiT0_iilPT_
; %bb.0:
	s_clause 0x1
	s_load_b32 s2, s[0:1], 0x34
	s_load_b64 s[8:9], s[0:1], 0x0
	v_bfe_u32 v2, v0, 10, 10
	v_and_b32_e32 v3, 0x3ff, v0
	s_waitcnt lgkmcnt(0)
	s_lshr_b32 s3, s2, 16
	s_and_b32 s2, s2, 0xffff
	s_delay_alu instid0(VALU_DEP_1) | instskip(SKIP_1) | instid1(VALU_DEP_2)
	v_mad_u64_u32 v[0:1], null, s14, s3, v[2:3]
	v_mad_u64_u32 v[1:2], null, s13, s2, v[3:4]
	v_cmp_gt_u32_e32 vcc_lo, s8, v0
	s_delay_alu instid0(VALU_DEP_2) | instskip(NEXT) | instid1(VALU_DEP_1)
	v_cmp_gt_u32_e64 s2, s9, v1
	s_and_b32 s2, s2, vcc_lo
	s_delay_alu instid0(SALU_CYCLE_1)
	s_and_saveexec_b32 s3, s2
	s_cbranch_execz .LBB50_2
; %bb.1:
	s_load_b256 s[0:7], s[0:1], 0x8
	s_ashr_i32 s10, s8, 31
	s_ashr_i32 s11, s9, 31
	s_mul_hi_u32 s12, s8, s15
	s_mul_i32 s13, s8, s15
	s_mul_i32 s10, s10, s15
	;; [unrolled: 1-line block ×3, first 2 shown]
	s_mul_hi_u32 s14, s13, s9
	s_add_i32 s10, s12, s10
	s_add_i32 s11, s14, s11
	s_mul_i32 s12, s10, s9
	s_mul_i32 s10, s13, s9
	s_add_i32 s11, s11, s12
	v_mad_u64_u32 v[6:7], null, v1, s8, v[0:1]
	s_lshl_b64 s[10:11], s[10:11], 3
	s_waitcnt lgkmcnt(0)
	v_mad_u64_u32 v[2:3], null, v1, s3, v[0:1]
	s_add_u32 s9, s6, s10
	s_mul_i32 s5, s15, s5
	s_mul_hi_u32 s10, s15, s4
	v_mov_b32_e32 v3, 0
	s_mul_i32 s4, s15, s4
	s_addc_u32 s3, s7, s11
	s_add_i32 s5, s10, s5
	s_mov_b32 s6, s2
	s_lshl_b64 s[4:5], s[4:5], 3
	s_ashr_i32 s7, s2, 31
	v_lshlrev_b64 v[4:5], 3, v[2:3]
	s_add_u32 s2, s0, s4
	s_addc_u32 s4, s1, s5
	s_lshl_b64 s[0:1], s[6:7], 3
	v_mov_b32_e32 v7, v3
	s_add_u32 s0, s2, s0
	s_addc_u32 s1, s4, s1
	v_add_co_u32 v4, vcc_lo, s0, v4
	v_add_co_ci_u32_e32 v5, vcc_lo, s1, v5, vcc_lo
	v_lshlrev_b64 v[0:1], 3, v[6:7]
	global_load_b64 v[4:5], v[4:5], off
	v_add_co_u32 v0, vcc_lo, s9, v0
	v_add_co_ci_u32_e32 v1, vcc_lo, s3, v1, vcc_lo
	s_waitcnt vmcnt(0)
	global_store_b64 v[0:1], v[4:5], off
.LBB50_2:
	s_nop 0
	s_sendmsg sendmsg(MSG_DEALLOC_VGPRS)
	s_endpgm
	.section	.rodata,"a",@progbits
	.p2align	6, 0x0
	.amdhsa_kernel _ZN9rocsolver6v33100L9copymatA1IdPdEEviiT0_iilPT_
		.amdhsa_group_segment_fixed_size 0
		.amdhsa_private_segment_fixed_size 0
		.amdhsa_kernarg_size 296
		.amdhsa_user_sgpr_count 13
		.amdhsa_user_sgpr_dispatch_ptr 0
		.amdhsa_user_sgpr_queue_ptr 0
		.amdhsa_user_sgpr_kernarg_segment_ptr 1
		.amdhsa_user_sgpr_dispatch_id 0
		.amdhsa_user_sgpr_private_segment_size 0
		.amdhsa_wavefront_size32 1
		.amdhsa_uses_dynamic_stack 0
		.amdhsa_enable_private_segment 0
		.amdhsa_system_sgpr_workgroup_id_x 1
		.amdhsa_system_sgpr_workgroup_id_y 1
		.amdhsa_system_sgpr_workgroup_id_z 1
		.amdhsa_system_sgpr_workgroup_info 0
		.amdhsa_system_vgpr_workitem_id 1
		.amdhsa_next_free_vgpr 8
		.amdhsa_next_free_sgpr 16
		.amdhsa_reserve_vcc 1
		.amdhsa_float_round_mode_32 0
		.amdhsa_float_round_mode_16_64 0
		.amdhsa_float_denorm_mode_32 3
		.amdhsa_float_denorm_mode_16_64 3
		.amdhsa_dx10_clamp 1
		.amdhsa_ieee_mode 1
		.amdhsa_fp16_overflow 0
		.amdhsa_workgroup_processor_mode 1
		.amdhsa_memory_ordered 1
		.amdhsa_forward_progress 0
		.amdhsa_shared_vgpr_count 0
		.amdhsa_exception_fp_ieee_invalid_op 0
		.amdhsa_exception_fp_denorm_src 0
		.amdhsa_exception_fp_ieee_div_zero 0
		.amdhsa_exception_fp_ieee_overflow 0
		.amdhsa_exception_fp_ieee_underflow 0
		.amdhsa_exception_fp_ieee_inexact 0
		.amdhsa_exception_int_div_zero 0
	.end_amdhsa_kernel
	.section	.text._ZN9rocsolver6v33100L9copymatA1IdPdEEviiT0_iilPT_,"axG",@progbits,_ZN9rocsolver6v33100L9copymatA1IdPdEEviiT0_iilPT_,comdat
.Lfunc_end50:
	.size	_ZN9rocsolver6v33100L9copymatA1IdPdEEviiT0_iilPT_, .Lfunc_end50-_ZN9rocsolver6v33100L9copymatA1IdPdEEviiT0_iilPT_
                                        ; -- End function
	.section	.AMDGPU.csdata,"",@progbits
; Kernel info:
; codeLenInByte = 320
; NumSgprs: 18
; NumVgprs: 8
; ScratchSize: 0
; MemoryBound: 0
; FloatMode: 240
; IeeeMode: 1
; LDSByteSize: 0 bytes/workgroup (compile time only)
; SGPRBlocks: 2
; VGPRBlocks: 0
; NumSGPRsForWavesPerEU: 18
; NumVGPRsForWavesPerEU: 8
; Occupancy: 16
; WaveLimiterHint : 0
; COMPUTE_PGM_RSRC2:SCRATCH_EN: 0
; COMPUTE_PGM_RSRC2:USER_SGPR: 13
; COMPUTE_PGM_RSRC2:TRAP_HANDLER: 0
; COMPUTE_PGM_RSRC2:TGID_X_EN: 1
; COMPUTE_PGM_RSRC2:TGID_Y_EN: 1
; COMPUTE_PGM_RSRC2:TGID_Z_EN: 1
; COMPUTE_PGM_RSRC2:TIDIG_COMP_CNT: 1
	.section	.text._ZN9rocsolver6v33100L8addmatA1IdPdEEviiT0_iilPT_,"axG",@progbits,_ZN9rocsolver6v33100L8addmatA1IdPdEEviiT0_iilPT_,comdat
	.globl	_ZN9rocsolver6v33100L8addmatA1IdPdEEviiT0_iilPT_ ; -- Begin function _ZN9rocsolver6v33100L8addmatA1IdPdEEviiT0_iilPT_
	.p2align	8
	.type	_ZN9rocsolver6v33100L8addmatA1IdPdEEviiT0_iilPT_,@function
_ZN9rocsolver6v33100L8addmatA1IdPdEEviiT0_iilPT_: ; @_ZN9rocsolver6v33100L8addmatA1IdPdEEviiT0_iilPT_
; %bb.0:
	s_clause 0x1
	s_load_b32 s2, s[0:1], 0x34
	s_load_b64 s[8:9], s[0:1], 0x0
	v_bfe_u32 v2, v0, 10, 10
	v_and_b32_e32 v3, 0x3ff, v0
	s_waitcnt lgkmcnt(0)
	s_lshr_b32 s3, s2, 16
	s_and_b32 s2, s2, 0xffff
	s_delay_alu instid0(VALU_DEP_1) | instskip(SKIP_1) | instid1(VALU_DEP_2)
	v_mad_u64_u32 v[0:1], null, s14, s3, v[2:3]
	v_mad_u64_u32 v[1:2], null, s13, s2, v[3:4]
	v_cmp_gt_u32_e32 vcc_lo, s8, v0
	s_delay_alu instid0(VALU_DEP_2) | instskip(NEXT) | instid1(VALU_DEP_1)
	v_cmp_gt_u32_e64 s2, s9, v1
	s_and_b32 s2, s2, vcc_lo
	s_delay_alu instid0(SALU_CYCLE_1)
	s_and_saveexec_b32 s3, s2
	s_cbranch_execz .LBB51_2
; %bb.1:
	s_load_b256 s[0:7], s[0:1], 0x8
	s_ashr_i32 s10, s8, 31
	s_ashr_i32 s11, s9, 31
	s_mul_hi_u32 s12, s8, s15
	s_mul_i32 s13, s8, s15
	s_mul_i32 s10, s10, s15
	;; [unrolled: 1-line block ×3, first 2 shown]
	s_mul_hi_u32 s14, s13, s9
	s_add_i32 s10, s12, s10
	s_add_i32 s11, s14, s11
	s_mul_i32 s12, s10, s9
	v_mad_u64_u32 v[2:3], null, v1, s8, v[0:1]
	v_mov_b32_e32 v3, 0
	s_mul_i32 s10, s13, s9
	s_add_i32 s11, s11, s12
	s_delay_alu instid0(SALU_CYCLE_1)
	s_lshl_b64 s[8:9], s[10:11], 3
	s_waitcnt lgkmcnt(0)
	v_mad_u64_u32 v[4:5], null, v1, s3, v[0:1]
	s_add_u32 s8, s6, s8
	s_mul_i32 s5, s15, s5
	s_mul_hi_u32 s6, s15, s4
	v_mov_b32_e32 v5, v3
	s_mul_i32 s4, s15, s4
	s_addc_u32 s9, s7, s9
	s_add_i32 s5, s6, s5
	v_lshlrev_b64 v[0:1], 3, v[2:3]
	s_lshl_b64 s[4:5], s[4:5], 3
	s_mov_b32 s6, s2
	s_ashr_i32 s7, s2, 31
	v_lshlrev_b64 v[2:3], 3, v[4:5]
	s_add_u32 s2, s0, s4
	s_addc_u32 s3, s1, s5
	s_lshl_b64 s[0:1], s[6:7], 3
	v_add_co_u32 v0, vcc_lo, s8, v0
	s_add_u32 s0, s2, s0
	v_add_co_ci_u32_e32 v1, vcc_lo, s9, v1, vcc_lo
	s_addc_u32 s1, s3, s1
	v_add_co_u32 v2, vcc_lo, s0, v2
	v_add_co_ci_u32_e32 v3, vcc_lo, s1, v3, vcc_lo
	global_load_b64 v[0:1], v[0:1], off
	global_load_b64 v[4:5], v[2:3], off
	s_waitcnt vmcnt(0)
	v_add_f64 v[0:1], v[4:5], -v[0:1]
	global_store_b64 v[2:3], v[0:1], off
.LBB51_2:
	s_nop 0
	s_sendmsg sendmsg(MSG_DEALLOC_VGPRS)
	s_endpgm
	.section	.rodata,"a",@progbits
	.p2align	6, 0x0
	.amdhsa_kernel _ZN9rocsolver6v33100L8addmatA1IdPdEEviiT0_iilPT_
		.amdhsa_group_segment_fixed_size 0
		.amdhsa_private_segment_fixed_size 0
		.amdhsa_kernarg_size 296
		.amdhsa_user_sgpr_count 13
		.amdhsa_user_sgpr_dispatch_ptr 0
		.amdhsa_user_sgpr_queue_ptr 0
		.amdhsa_user_sgpr_kernarg_segment_ptr 1
		.amdhsa_user_sgpr_dispatch_id 0
		.amdhsa_user_sgpr_private_segment_size 0
		.amdhsa_wavefront_size32 1
		.amdhsa_uses_dynamic_stack 0
		.amdhsa_enable_private_segment 0
		.amdhsa_system_sgpr_workgroup_id_x 1
		.amdhsa_system_sgpr_workgroup_id_y 1
		.amdhsa_system_sgpr_workgroup_id_z 1
		.amdhsa_system_sgpr_workgroup_info 0
		.amdhsa_system_vgpr_workitem_id 1
		.amdhsa_next_free_vgpr 6
		.amdhsa_next_free_sgpr 16
		.amdhsa_reserve_vcc 1
		.amdhsa_float_round_mode_32 0
		.amdhsa_float_round_mode_16_64 0
		.amdhsa_float_denorm_mode_32 3
		.amdhsa_float_denorm_mode_16_64 3
		.amdhsa_dx10_clamp 1
		.amdhsa_ieee_mode 1
		.amdhsa_fp16_overflow 0
		.amdhsa_workgroup_processor_mode 1
		.amdhsa_memory_ordered 1
		.amdhsa_forward_progress 0
		.amdhsa_shared_vgpr_count 0
		.amdhsa_exception_fp_ieee_invalid_op 0
		.amdhsa_exception_fp_denorm_src 0
		.amdhsa_exception_fp_ieee_div_zero 0
		.amdhsa_exception_fp_ieee_overflow 0
		.amdhsa_exception_fp_ieee_underflow 0
		.amdhsa_exception_fp_ieee_inexact 0
		.amdhsa_exception_int_div_zero 0
	.end_amdhsa_kernel
	.section	.text._ZN9rocsolver6v33100L8addmatA1IdPdEEviiT0_iilPT_,"axG",@progbits,_ZN9rocsolver6v33100L8addmatA1IdPdEEviiT0_iilPT_,comdat
.Lfunc_end51:
	.size	_ZN9rocsolver6v33100L8addmatA1IdPdEEviiT0_iilPT_, .Lfunc_end51-_ZN9rocsolver6v33100L8addmatA1IdPdEEviiT0_iilPT_
                                        ; -- End function
	.section	.AMDGPU.csdata,"",@progbits
; Kernel info:
; codeLenInByte = 340
; NumSgprs: 18
; NumVgprs: 6
; ScratchSize: 0
; MemoryBound: 0
; FloatMode: 240
; IeeeMode: 1
; LDSByteSize: 0 bytes/workgroup (compile time only)
; SGPRBlocks: 2
; VGPRBlocks: 0
; NumSGPRsForWavesPerEU: 18
; NumVGPRsForWavesPerEU: 6
; Occupancy: 16
; WaveLimiterHint : 0
; COMPUTE_PGM_RSRC2:SCRATCH_EN: 0
; COMPUTE_PGM_RSRC2:USER_SGPR: 13
; COMPUTE_PGM_RSRC2:TRAP_HANDLER: 0
; COMPUTE_PGM_RSRC2:TGID_X_EN: 1
; COMPUTE_PGM_RSRC2:TGID_Y_EN: 1
; COMPUTE_PGM_RSRC2:TGID_Z_EN: 1
; COMPUTE_PGM_RSRC2:TIDIG_COMP_CNT: 1
	.section	.text._ZN9rocsolver6v33100L8set_zeroIdPdEEviiT0_iil13rocblas_fill_,"axG",@progbits,_ZN9rocsolver6v33100L8set_zeroIdPdEEviiT0_iil13rocblas_fill_,comdat
	.globl	_ZN9rocsolver6v33100L8set_zeroIdPdEEviiT0_iil13rocblas_fill_ ; -- Begin function _ZN9rocsolver6v33100L8set_zeroIdPdEEviiT0_iil13rocblas_fill_
	.p2align	8
	.type	_ZN9rocsolver6v33100L8set_zeroIdPdEEviiT0_iil13rocblas_fill_,@function
_ZN9rocsolver6v33100L8set_zeroIdPdEEviiT0_iil13rocblas_fill_: ; @_ZN9rocsolver6v33100L8set_zeroIdPdEEviiT0_iil13rocblas_fill_
; %bb.0:
	s_clause 0x1
	s_load_b32 s4, s[0:1], 0x34
	s_load_b64 s[2:3], s[0:1], 0x0
	v_and_b32_e32 v2, 0x3ff, v0
	v_bfe_u32 v3, v0, 10, 10
	s_waitcnt lgkmcnt(0)
	s_lshr_b32 s5, s4, 16
	s_and_b32 s4, s4, 0xffff
	s_delay_alu instid0(VALU_DEP_1) | instid1(SALU_CYCLE_1)
	v_mad_u64_u32 v[0:1], null, s13, s4, v[2:3]
	v_mad_u64_u32 v[1:2], null, s14, s5, v[3:4]
	s_delay_alu instid0(VALU_DEP_2) | instskip(NEXT) | instid1(VALU_DEP_2)
	v_cmp_gt_u32_e32 vcc_lo, s2, v0
	v_cmp_gt_u32_e64 s2, s3, v1
	s_delay_alu instid0(VALU_DEP_1) | instskip(NEXT) | instid1(SALU_CYCLE_1)
	s_and_b32 s2, vcc_lo, s2
	s_and_saveexec_b32 s3, s2
	s_cbranch_execz .LBB52_12
; %bb.1:
	s_load_b32 s3, s[0:1], 0x20
	s_waitcnt lgkmcnt(0)
	s_cmpk_lt_i32 s3, 0x7a
	s_cbranch_scc1 .LBB52_4
; %bb.2:
	s_cmpk_gt_i32 s3, 0x7a
	s_cbranch_scc0 .LBB52_5
; %bb.3:
	s_cmpk_eq_i32 s3, 0x7b
	s_cselect_b32 s2, -1, 0
	s_cbranch_execz .LBB52_6
	s_branch .LBB52_7
.LBB52_4:
	s_mov_b32 s2, 0
	s_cbranch_execnz .LBB52_8
	s_branch .LBB52_10
.LBB52_5:
	s_mov_b32 s2, 0
.LBB52_6:
	v_cmp_gt_u32_e32 vcc_lo, v1, v0
	s_and_not1_b32 s2, s2, exec_lo
	s_and_b32 s4, vcc_lo, exec_lo
	s_delay_alu instid0(SALU_CYCLE_1)
	s_or_b32 s2, s2, s4
.LBB52_7:
	s_branch .LBB52_10
.LBB52_8:
	s_cmpk_eq_i32 s3, 0x79
	s_cbranch_scc0 .LBB52_10
; %bb.9:
	v_cmp_gt_u32_e32 vcc_lo, v0, v1
	s_and_not1_b32 s2, s2, exec_lo
	s_and_b32 s3, vcc_lo, exec_lo
	s_delay_alu instid0(SALU_CYCLE_1)
	s_or_b32 s2, s2, s3
.LBB52_10:
	s_delay_alu instid0(SALU_CYCLE_1)
	s_and_b32 exec_lo, exec_lo, s2
	s_cbranch_execz .LBB52_12
; %bb.11:
	s_clause 0x1
	s_load_b128 s[4:7], s[0:1], 0x8
	s_load_b64 s[0:1], s[0:1], 0x18
	s_waitcnt lgkmcnt(0)
	v_mad_u64_u32 v[2:3], null, v1, s7, v[0:1]
	s_mul_i32 s1, s15, s1
	s_mul_hi_u32 s2, s15, s0
	v_mov_b32_e32 v3, 0
	s_mul_i32 s0, s15, s0
	s_add_i32 s1, s2, s1
	s_ashr_i32 s3, s6, 31
	s_lshl_b64 s[0:1], s[0:1], 3
	s_mov_b32 s2, s6
	v_lshlrev_b64 v[0:1], 3, v[2:3]
	s_add_u32 s4, s4, s0
	s_addc_u32 s5, s5, s1
	s_lshl_b64 s[0:1], s[2:3], 3
	v_mov_b32_e32 v2, v3
	s_add_u32 s0, s4, s0
	s_addc_u32 s1, s5, s1
	v_add_co_u32 v0, vcc_lo, s0, v0
	v_add_co_ci_u32_e32 v1, vcc_lo, s1, v1, vcc_lo
	global_store_b64 v[0:1], v[2:3], off
.LBB52_12:
	s_nop 0
	s_sendmsg sendmsg(MSG_DEALLOC_VGPRS)
	s_endpgm
	.section	.rodata,"a",@progbits
	.p2align	6, 0x0
	.amdhsa_kernel _ZN9rocsolver6v33100L8set_zeroIdPdEEviiT0_iil13rocblas_fill_
		.amdhsa_group_segment_fixed_size 0
		.amdhsa_private_segment_fixed_size 0
		.amdhsa_kernarg_size 296
		.amdhsa_user_sgpr_count 13
		.amdhsa_user_sgpr_dispatch_ptr 0
		.amdhsa_user_sgpr_queue_ptr 0
		.amdhsa_user_sgpr_kernarg_segment_ptr 1
		.amdhsa_user_sgpr_dispatch_id 0
		.amdhsa_user_sgpr_private_segment_size 0
		.amdhsa_wavefront_size32 1
		.amdhsa_uses_dynamic_stack 0
		.amdhsa_enable_private_segment 0
		.amdhsa_system_sgpr_workgroup_id_x 1
		.amdhsa_system_sgpr_workgroup_id_y 1
		.amdhsa_system_sgpr_workgroup_id_z 1
		.amdhsa_system_sgpr_workgroup_info 0
		.amdhsa_system_vgpr_workitem_id 1
		.amdhsa_next_free_vgpr 5
		.amdhsa_next_free_sgpr 16
		.amdhsa_reserve_vcc 1
		.amdhsa_float_round_mode_32 0
		.amdhsa_float_round_mode_16_64 0
		.amdhsa_float_denorm_mode_32 3
		.amdhsa_float_denorm_mode_16_64 3
		.amdhsa_dx10_clamp 1
		.amdhsa_ieee_mode 1
		.amdhsa_fp16_overflow 0
		.amdhsa_workgroup_processor_mode 1
		.amdhsa_memory_ordered 1
		.amdhsa_forward_progress 0
		.amdhsa_shared_vgpr_count 0
		.amdhsa_exception_fp_ieee_invalid_op 0
		.amdhsa_exception_fp_denorm_src 0
		.amdhsa_exception_fp_ieee_div_zero 0
		.amdhsa_exception_fp_ieee_overflow 0
		.amdhsa_exception_fp_ieee_underflow 0
		.amdhsa_exception_fp_ieee_inexact 0
		.amdhsa_exception_int_div_zero 0
	.end_amdhsa_kernel
	.section	.text._ZN9rocsolver6v33100L8set_zeroIdPdEEviiT0_iil13rocblas_fill_,"axG",@progbits,_ZN9rocsolver6v33100L8set_zeroIdPdEEviiT0_iil13rocblas_fill_,comdat
.Lfunc_end52:
	.size	_ZN9rocsolver6v33100L8set_zeroIdPdEEviiT0_iil13rocblas_fill_, .Lfunc_end52-_ZN9rocsolver6v33100L8set_zeroIdPdEEviiT0_iil13rocblas_fill_
                                        ; -- End function
	.section	.AMDGPU.csdata,"",@progbits
; Kernel info:
; codeLenInByte = 356
; NumSgprs: 18
; NumVgprs: 5
; ScratchSize: 0
; MemoryBound: 0
; FloatMode: 240
; IeeeMode: 1
; LDSByteSize: 0 bytes/workgroup (compile time only)
; SGPRBlocks: 2
; VGPRBlocks: 0
; NumSGPRsForWavesPerEU: 18
; NumVGPRsForWavesPerEU: 5
; Occupancy: 16
; WaveLimiterHint : 0
; COMPUTE_PGM_RSRC2:SCRATCH_EN: 0
; COMPUTE_PGM_RSRC2:USER_SGPR: 13
; COMPUTE_PGM_RSRC2:TRAP_HANDLER: 0
; COMPUTE_PGM_RSRC2:TGID_X_EN: 1
; COMPUTE_PGM_RSRC2:TGID_Y_EN: 1
; COMPUTE_PGM_RSRC2:TGID_Z_EN: 1
; COMPUTE_PGM_RSRC2:TIDIG_COMP_CNT: 1
	.section	.text._ZN9rocsolver6v33100L16org2r_init_identIdPdEEviiiT0_iil,"axG",@progbits,_ZN9rocsolver6v33100L16org2r_init_identIdPdEEviiiT0_iil,comdat
	.globl	_ZN9rocsolver6v33100L16org2r_init_identIdPdEEviiiT0_iil ; -- Begin function _ZN9rocsolver6v33100L16org2r_init_identIdPdEEviiiT0_iil
	.p2align	8
	.type	_ZN9rocsolver6v33100L16org2r_init_identIdPdEEviiiT0_iil,@function
_ZN9rocsolver6v33100L16org2r_init_identIdPdEEviiiT0_iil: ; @_ZN9rocsolver6v33100L16org2r_init_identIdPdEEviiiT0_iil
; %bb.0:
	s_clause 0x1
	s_load_b32 s2, s[0:1], 0x34
	s_load_b128 s[4:7], s[0:1], 0x0
	v_and_b32_e32 v1, 0x3ff, v0
	v_bfe_u32 v0, v0, 10, 10
	s_waitcnt lgkmcnt(0)
	s_lshr_b32 s3, s2, 16
	s_and_b32 s2, s2, 0xffff
	s_delay_alu instid0(VALU_DEP_1) | instskip(SKIP_1) | instid1(VALU_DEP_2)
	v_mad_u64_u32 v[4:5], null, s14, s3, v[0:1]
	v_mad_u64_u32 v[6:7], null, s13, s2, v[1:2]
	v_cmp_gt_u32_e64 s2, s5, v4
	s_delay_alu instid0(VALU_DEP_2) | instskip(NEXT) | instid1(VALU_DEP_2)
	v_cmp_gt_u32_e32 vcc_lo, s4, v6
	s_and_b32 s2, vcc_lo, s2
	s_delay_alu instid0(SALU_CYCLE_1)
	s_and_saveexec_b32 s3, s2
	s_cbranch_execz .LBB53_5
; %bb.1:
	s_load_b64 s[2:3], s[0:1], 0x18
	s_mov_b32 s4, 0
                                        ; implicit-def: $vgpr2_vgpr3
                                        ; implicit-def: $vgpr0
	s_mov_b32 s5, exec_lo
	v_cmpx_ne_u32_e64 v6, v4
	s_xor_b32 s7, exec_lo, s5
	s_cbranch_execnz .LBB53_6
; %bb.2:
	s_and_not1_saveexec_b32 s5, s7
	s_cbranch_execnz .LBB53_13
.LBB53_3:
	s_or_b32 exec_lo, exec_lo, s5
	s_delay_alu instid0(SALU_CYCLE_1)
	s_and_b32 exec_lo, exec_lo, s4
	s_cbranch_execz .LBB53_5
.LBB53_4:
	s_clause 0x1
	s_load_b64 s[4:5], s[0:1], 0x20
	s_load_b64 s[0:1], s[0:1], 0x10
	v_mov_b32_e32 v1, 0
	s_delay_alu instid0(VALU_DEP_1)
	v_lshlrev_b64 v[0:1], 3, v[0:1]
	s_waitcnt lgkmcnt(0)
	s_mul_i32 s3, s15, s5
	s_mul_hi_u32 s5, s15, s4
	s_mul_i32 s4, s15, s4
	s_add_i32 s5, s5, s3
	s_ashr_i32 s3, s2, 31
	s_lshl_b64 s[4:5], s[4:5], 3
	s_delay_alu instid0(SALU_CYCLE_1) | instskip(SKIP_2) | instid1(SALU_CYCLE_1)
	s_add_u32 s4, s0, s4
	s_addc_u32 s5, s1, s5
	s_lshl_b64 s[0:1], s[2:3], 3
	s_add_u32 s0, s4, s0
	s_addc_u32 s1, s5, s1
	v_add_co_u32 v0, vcc_lo, s0, v0
	v_add_co_ci_u32_e32 v1, vcc_lo, s1, v1, vcc_lo
	global_store_b64 v[0:1], v[2:3], off
.LBB53_5:
	s_nop 0
	s_sendmsg sendmsg(MSG_DEALLOC_VGPRS)
	s_endpgm
.LBB53_6:
	s_mov_b32 s8, 0
	s_mov_b32 s9, exec_lo
                                        ; implicit-def: $sgpr4_sgpr5
                                        ; implicit-def: $vgpr0
	v_cmpx_le_u32_e64 v4, v6
	s_xor_b32 s9, exec_lo, s9
	s_cbranch_execz .LBB53_10
; %bb.7:
	v_cmp_le_u32_e32 vcc_lo, s6, v4
	s_mov_b32 s6, 0
                                        ; implicit-def: $sgpr4_sgpr5
                                        ; implicit-def: $vgpr0
	s_and_saveexec_b32 s8, vcc_lo
	s_delay_alu instid0(SALU_CYCLE_1)
	s_xor_b32 s8, exec_lo, s8
	s_cbranch_execz .LBB53_9
; %bb.8:
	s_waitcnt lgkmcnt(0)
	v_mad_u64_u32 v[0:1], null, v4, s3, v[6:7]
	s_mov_b32 s6, exec_lo
	s_mov_b64 s[4:5], 0
.LBB53_9:
	s_or_b32 exec_lo, exec_lo, s8
	s_delay_alu instid0(SALU_CYCLE_1)
	s_and_b32 s8, s6, exec_lo
                                        ; implicit-def: $vgpr6_vgpr7
                                        ; implicit-def: $vgpr4_vgpr5
.LBB53_10:
	s_or_saveexec_b32 s6, s9
	v_dual_mov_b32 v2, s4 :: v_dual_mov_b32 v3, s5
	s_xor_b32 exec_lo, exec_lo, s6
	s_cbranch_execz .LBB53_12
; %bb.11:
	v_mov_b32_e32 v2, 0
	s_waitcnt lgkmcnt(0)
	v_mad_u64_u32 v[0:1], null, v4, s3, v[6:7]
	v_mov_b32_e32 v3, 0
	s_or_b32 s8, s8, exec_lo
.LBB53_12:
	s_or_b32 exec_lo, exec_lo, s6
	s_delay_alu instid0(SALU_CYCLE_1)
	s_and_b32 s4, s8, exec_lo
                                        ; implicit-def: $vgpr4_vgpr5
	s_and_not1_saveexec_b32 s5, s7
	s_cbranch_execz .LBB53_3
.LBB53_13:
	s_waitcnt lgkmcnt(0)
	v_mad_u64_u32 v[0:1], null, v4, s3, v[4:5]
	v_mov_b32_e32 v2, 0
	v_mov_b32_e32 v3, 0x3ff00000
	s_or_b32 s4, s4, exec_lo
	s_or_b32 exec_lo, exec_lo, s5
	s_delay_alu instid0(SALU_CYCLE_1)
	s_and_b32 exec_lo, exec_lo, s4
	s_cbranch_execnz .LBB53_4
	s_branch .LBB53_5
	.section	.rodata,"a",@progbits
	.p2align	6, 0x0
	.amdhsa_kernel _ZN9rocsolver6v33100L16org2r_init_identIdPdEEviiiT0_iil
		.amdhsa_group_segment_fixed_size 0
		.amdhsa_private_segment_fixed_size 0
		.amdhsa_kernarg_size 296
		.amdhsa_user_sgpr_count 13
		.amdhsa_user_sgpr_dispatch_ptr 0
		.amdhsa_user_sgpr_queue_ptr 0
		.amdhsa_user_sgpr_kernarg_segment_ptr 1
		.amdhsa_user_sgpr_dispatch_id 0
		.amdhsa_user_sgpr_private_segment_size 0
		.amdhsa_wavefront_size32 1
		.amdhsa_uses_dynamic_stack 0
		.amdhsa_enable_private_segment 0
		.amdhsa_system_sgpr_workgroup_id_x 1
		.amdhsa_system_sgpr_workgroup_id_y 1
		.amdhsa_system_sgpr_workgroup_id_z 1
		.amdhsa_system_sgpr_workgroup_info 0
		.amdhsa_system_vgpr_workitem_id 1
		.amdhsa_next_free_vgpr 8
		.amdhsa_next_free_sgpr 16
		.amdhsa_reserve_vcc 1
		.amdhsa_float_round_mode_32 0
		.amdhsa_float_round_mode_16_64 0
		.amdhsa_float_denorm_mode_32 3
		.amdhsa_float_denorm_mode_16_64 3
		.amdhsa_dx10_clamp 1
		.amdhsa_ieee_mode 1
		.amdhsa_fp16_overflow 0
		.amdhsa_workgroup_processor_mode 1
		.amdhsa_memory_ordered 1
		.amdhsa_forward_progress 0
		.amdhsa_shared_vgpr_count 0
		.amdhsa_exception_fp_ieee_invalid_op 0
		.amdhsa_exception_fp_denorm_src 0
		.amdhsa_exception_fp_ieee_div_zero 0
		.amdhsa_exception_fp_ieee_overflow 0
		.amdhsa_exception_fp_ieee_underflow 0
		.amdhsa_exception_fp_ieee_inexact 0
		.amdhsa_exception_int_div_zero 0
	.end_amdhsa_kernel
	.section	.text._ZN9rocsolver6v33100L16org2r_init_identIdPdEEviiiT0_iil,"axG",@progbits,_ZN9rocsolver6v33100L16org2r_init_identIdPdEEviiiT0_iil,comdat
.Lfunc_end53:
	.size	_ZN9rocsolver6v33100L16org2r_init_identIdPdEEviiiT0_iil, .Lfunc_end53-_ZN9rocsolver6v33100L16org2r_init_identIdPdEEviiiT0_iil
                                        ; -- End function
	.section	.AMDGPU.csdata,"",@progbits
; Kernel info:
; codeLenInByte = 472
; NumSgprs: 18
; NumVgprs: 8
; ScratchSize: 0
; MemoryBound: 0
; FloatMode: 240
; IeeeMode: 1
; LDSByteSize: 0 bytes/workgroup (compile time only)
; SGPRBlocks: 2
; VGPRBlocks: 0
; NumSGPRsForWavesPerEU: 18
; NumVGPRsForWavesPerEU: 8
; Occupancy: 16
; WaveLimiterHint : 0
; COMPUTE_PGM_RSRC2:SCRATCH_EN: 0
; COMPUTE_PGM_RSRC2:USER_SGPR: 13
; COMPUTE_PGM_RSRC2:TRAP_HANDLER: 0
; COMPUTE_PGM_RSRC2:TGID_X_EN: 1
; COMPUTE_PGM_RSRC2:TGID_Y_EN: 1
; COMPUTE_PGM_RSRC2:TGID_Z_EN: 1
; COMPUTE_PGM_RSRC2:TIDIG_COMP_CNT: 1
	.section	.text._ZN9rocsolver6v33100L12subtract_tauIdPdEEviiT0_iilPT_l,"axG",@progbits,_ZN9rocsolver6v33100L12subtract_tauIdPdEEviiT0_iilPT_l,comdat
	.globl	_ZN9rocsolver6v33100L12subtract_tauIdPdEEviiT0_iilPT_l ; -- Begin function _ZN9rocsolver6v33100L12subtract_tauIdPdEEviiT0_iilPT_l
	.p2align	8
	.type	_ZN9rocsolver6v33100L12subtract_tauIdPdEEviiT0_iilPT_l,@function
_ZN9rocsolver6v33100L12subtract_tauIdPdEEviiT0_iilPT_l: ; @_ZN9rocsolver6v33100L12subtract_tauIdPdEEviiT0_iilPT_l
; %bb.0:
	s_clause 0x3
	s_load_b64 s[8:9], s[0:1], 0x10
	s_load_b128 s[4:7], s[0:1], 0x18
	s_load_b64 s[10:11], s[0:1], 0x28
	s_load_b128 s[0:3], s[0:1], 0x0
	s_waitcnt lgkmcnt(0)
	s_ashr_i32 s13, s8, 31
	s_mul_i32 s5, s15, s5
	s_mul_hi_u32 s12, s15, s4
	s_mul_i32 s4, s15, s4
	s_add_i32 s5, s12, s5
	s_mov_b32 s12, s8
	s_lshl_b64 s[4:5], s[4:5], 3
	s_mul_i32 s8, s15, s11
	s_add_u32 s4, s2, s4
	s_addc_u32 s5, s3, s5
	s_lshl_b64 s[2:3], s[12:13], 3
	s_mul_hi_u32 s11, s15, s10
	s_add_u32 s12, s4, s2
	s_addc_u32 s13, s5, s3
	s_add_i32 s3, s11, s8
	s_mul_i32 s2, s15, s10
	s_mul_i32 s1, s9, s1
	s_lshl_b64 s[2:3], s[2:3], 3
	s_delay_alu instid0(SALU_CYCLE_1) | instskip(SKIP_4) | instid1(SALU_CYCLE_1)
	s_add_u32 s2, s6, s2
	s_addc_u32 s3, s7, s3
	s_add_i32 s0, s1, s0
	s_load_b64 s[4:5], s[2:3], 0x0
	s_ashr_i32 s1, s0, 31
	s_lshl_b64 s[0:1], s[0:1], 3
	s_waitcnt lgkmcnt(0)
	v_add_f64 v[0:1], -s[4:5], 1.0
	s_xor_b32 s5, s5, 0x80000000
	s_delay_alu instid0(SALU_CYCLE_1)
	v_dual_mov_b32 v4, 0 :: v_dual_mov_b32 v3, s5
	v_mov_b32_e32 v2, s4
	s_add_u32 s0, s12, s0
	s_addc_u32 s1, s13, s1
	s_clause 0x1
	global_store_b64 v4, v[2:3], s[2:3]
	global_store_b64 v4, v[0:1], s[0:1]
	s_nop 0
	s_sendmsg sendmsg(MSG_DEALLOC_VGPRS)
	s_endpgm
	.section	.rodata,"a",@progbits
	.p2align	6, 0x0
	.amdhsa_kernel _ZN9rocsolver6v33100L12subtract_tauIdPdEEviiT0_iilPT_l
		.amdhsa_group_segment_fixed_size 0
		.amdhsa_private_segment_fixed_size 0
		.amdhsa_kernarg_size 48
		.amdhsa_user_sgpr_count 15
		.amdhsa_user_sgpr_dispatch_ptr 0
		.amdhsa_user_sgpr_queue_ptr 0
		.amdhsa_user_sgpr_kernarg_segment_ptr 1
		.amdhsa_user_sgpr_dispatch_id 0
		.amdhsa_user_sgpr_private_segment_size 0
		.amdhsa_wavefront_size32 1
		.amdhsa_uses_dynamic_stack 0
		.amdhsa_enable_private_segment 0
		.amdhsa_system_sgpr_workgroup_id_x 1
		.amdhsa_system_sgpr_workgroup_id_y 0
		.amdhsa_system_sgpr_workgroup_id_z 0
		.amdhsa_system_sgpr_workgroup_info 0
		.amdhsa_system_vgpr_workitem_id 0
		.amdhsa_next_free_vgpr 5
		.amdhsa_next_free_sgpr 16
		.amdhsa_reserve_vcc 0
		.amdhsa_float_round_mode_32 0
		.amdhsa_float_round_mode_16_64 0
		.amdhsa_float_denorm_mode_32 3
		.amdhsa_float_denorm_mode_16_64 3
		.amdhsa_dx10_clamp 1
		.amdhsa_ieee_mode 1
		.amdhsa_fp16_overflow 0
		.amdhsa_workgroup_processor_mode 1
		.amdhsa_memory_ordered 1
		.amdhsa_forward_progress 0
		.amdhsa_shared_vgpr_count 0
		.amdhsa_exception_fp_ieee_invalid_op 0
		.amdhsa_exception_fp_denorm_src 0
		.amdhsa_exception_fp_ieee_div_zero 0
		.amdhsa_exception_fp_ieee_overflow 0
		.amdhsa_exception_fp_ieee_underflow 0
		.amdhsa_exception_fp_ieee_inexact 0
		.amdhsa_exception_int_div_zero 0
	.end_amdhsa_kernel
	.section	.text._ZN9rocsolver6v33100L12subtract_tauIdPdEEviiT0_iilPT_l,"axG",@progbits,_ZN9rocsolver6v33100L12subtract_tauIdPdEEviiT0_iilPT_l,comdat
.Lfunc_end54:
	.size	_ZN9rocsolver6v33100L12subtract_tauIdPdEEviiT0_iilPT_l, .Lfunc_end54-_ZN9rocsolver6v33100L12subtract_tauIdPdEEviiT0_iilPT_l
                                        ; -- End function
	.section	.AMDGPU.csdata,"",@progbits
; Kernel info:
; codeLenInByte = 220
; NumSgprs: 16
; NumVgprs: 5
; ScratchSize: 0
; MemoryBound: 0
; FloatMode: 240
; IeeeMode: 1
; LDSByteSize: 0 bytes/workgroup (compile time only)
; SGPRBlocks: 1
; VGPRBlocks: 0
; NumSGPRsForWavesPerEU: 16
; NumVGPRsForWavesPerEU: 5
; Occupancy: 16
; WaveLimiterHint : 0
; COMPUTE_PGM_RSRC2:SCRATCH_EN: 0
; COMPUTE_PGM_RSRC2:USER_SGPR: 15
; COMPUTE_PGM_RSRC2:TRAP_HANDLER: 0
; COMPUTE_PGM_RSRC2:TGID_X_EN: 1
; COMPUTE_PGM_RSRC2:TGID_Y_EN: 0
; COMPUTE_PGM_RSRC2:TGID_Z_EN: 0
; COMPUTE_PGM_RSRC2:TIDIG_COMP_CNT: 0
	.section	.text._ZN9rocsolver6v33100L6restauIdEEviPT_l,"axG",@progbits,_ZN9rocsolver6v33100L6restauIdEEviPT_l,comdat
	.globl	_ZN9rocsolver6v33100L6restauIdEEviPT_l ; -- Begin function _ZN9rocsolver6v33100L6restauIdEEviPT_l
	.p2align	8
	.type	_ZN9rocsolver6v33100L6restauIdEEviPT_l,@function
_ZN9rocsolver6v33100L6restauIdEEviPT_l: ; @_ZN9rocsolver6v33100L6restauIdEEviPT_l
; %bb.0:
	s_clause 0x1
	s_load_b32 s2, s[0:1], 0x24
	s_load_b32 s3, s[0:1], 0x0
	s_waitcnt lgkmcnt(0)
	s_and_b32 s2, s2, 0xffff
	s_delay_alu instid0(SALU_CYCLE_1) | instskip(SKIP_1) | instid1(VALU_DEP_1)
	v_mad_u64_u32 v[1:2], null, s14, s2, v[0:1]
	s_mov_b32 s2, exec_lo
	v_cmpx_gt_u32_e64 s3, v1
	s_cbranch_execz .LBB55_2
; %bb.1:
	s_load_b128 s[0:3], s[0:1], 0x8
	v_mov_b32_e32 v2, 0
	s_delay_alu instid0(VALU_DEP_1)
	v_lshlrev_b64 v[0:1], 3, v[1:2]
	s_waitcnt lgkmcnt(0)
	s_mul_i32 s3, s15, s3
	s_mul_hi_u32 s4, s15, s2
	s_mul_i32 s2, s15, s2
	s_add_i32 s3, s4, s3
	s_delay_alu instid0(SALU_CYCLE_1) | instskip(NEXT) | instid1(SALU_CYCLE_1)
	s_lshl_b64 s[2:3], s[2:3], 3
	s_add_u32 s0, s0, s2
	s_addc_u32 s1, s1, s3
	v_add_co_u32 v0, vcc_lo, s0, v0
	v_add_co_ci_u32_e32 v1, vcc_lo, s1, v1, vcc_lo
	global_load_b64 v[2:3], v[0:1], off
	s_waitcnt vmcnt(0)
	v_xor_b32_e32 v3, 0x80000000, v3
	global_store_b64 v[0:1], v[2:3], off
.LBB55_2:
	s_nop 0
	s_sendmsg sendmsg(MSG_DEALLOC_VGPRS)
	s_endpgm
	.section	.rodata,"a",@progbits
	.p2align	6, 0x0
	.amdhsa_kernel _ZN9rocsolver6v33100L6restauIdEEviPT_l
		.amdhsa_group_segment_fixed_size 0
		.amdhsa_private_segment_fixed_size 0
		.amdhsa_kernarg_size 280
		.amdhsa_user_sgpr_count 14
		.amdhsa_user_sgpr_dispatch_ptr 0
		.amdhsa_user_sgpr_queue_ptr 0
		.amdhsa_user_sgpr_kernarg_segment_ptr 1
		.amdhsa_user_sgpr_dispatch_id 0
		.amdhsa_user_sgpr_private_segment_size 0
		.amdhsa_wavefront_size32 1
		.amdhsa_uses_dynamic_stack 0
		.amdhsa_enable_private_segment 0
		.amdhsa_system_sgpr_workgroup_id_x 1
		.amdhsa_system_sgpr_workgroup_id_y 1
		.amdhsa_system_sgpr_workgroup_id_z 0
		.amdhsa_system_sgpr_workgroup_info 0
		.amdhsa_system_vgpr_workitem_id 0
		.amdhsa_next_free_vgpr 4
		.amdhsa_next_free_sgpr 16
		.amdhsa_reserve_vcc 1
		.amdhsa_float_round_mode_32 0
		.amdhsa_float_round_mode_16_64 0
		.amdhsa_float_denorm_mode_32 3
		.amdhsa_float_denorm_mode_16_64 3
		.amdhsa_dx10_clamp 1
		.amdhsa_ieee_mode 1
		.amdhsa_fp16_overflow 0
		.amdhsa_workgroup_processor_mode 1
		.amdhsa_memory_ordered 1
		.amdhsa_forward_progress 0
		.amdhsa_shared_vgpr_count 0
		.amdhsa_exception_fp_ieee_invalid_op 0
		.amdhsa_exception_fp_denorm_src 0
		.amdhsa_exception_fp_ieee_div_zero 0
		.amdhsa_exception_fp_ieee_overflow 0
		.amdhsa_exception_fp_ieee_underflow 0
		.amdhsa_exception_fp_ieee_inexact 0
		.amdhsa_exception_int_div_zero 0
	.end_amdhsa_kernel
	.section	.text._ZN9rocsolver6v33100L6restauIdEEviPT_l,"axG",@progbits,_ZN9rocsolver6v33100L6restauIdEEviPT_l,comdat
.Lfunc_end55:
	.size	_ZN9rocsolver6v33100L6restauIdEEviPT_l, .Lfunc_end55-_ZN9rocsolver6v33100L6restauIdEEviPT_l
                                        ; -- End function
	.section	.AMDGPU.csdata,"",@progbits
; Kernel info:
; codeLenInByte = 172
; NumSgprs: 18
; NumVgprs: 4
; ScratchSize: 0
; MemoryBound: 0
; FloatMode: 240
; IeeeMode: 1
; LDSByteSize: 0 bytes/workgroup (compile time only)
; SGPRBlocks: 2
; VGPRBlocks: 0
; NumSGPRsForWavesPerEU: 18
; NumVGPRsForWavesPerEU: 4
; Occupancy: 16
; WaveLimiterHint : 0
; COMPUTE_PGM_RSRC2:SCRATCH_EN: 0
; COMPUTE_PGM_RSRC2:USER_SGPR: 14
; COMPUTE_PGM_RSRC2:TRAP_HANDLER: 0
; COMPUTE_PGM_RSRC2:TGID_X_EN: 1
; COMPUTE_PGM_RSRC2:TGID_Y_EN: 1
; COMPUTE_PGM_RSRC2:TGID_Z_EN: 0
; COMPUTE_PGM_RSRC2:TIDIG_COMP_CNT: 0
	.section	.text._ZN9rocsolver6v33100L15copyshift_rightIdPdEEvbiT0_iilPT_iil,"axG",@progbits,_ZN9rocsolver6v33100L15copyshift_rightIdPdEEvbiT0_iilPT_iil,comdat
	.globl	_ZN9rocsolver6v33100L15copyshift_rightIdPdEEvbiT0_iilPT_iil ; -- Begin function _ZN9rocsolver6v33100L15copyshift_rightIdPdEEvbiT0_iilPT_iil
	.p2align	8
	.type	_ZN9rocsolver6v33100L15copyshift_rightIdPdEEvbiT0_iilPT_iil,@function
_ZN9rocsolver6v33100L15copyshift_rightIdPdEEvbiT0_iilPT_iil: ; @_ZN9rocsolver6v33100L15copyshift_rightIdPdEEvbiT0_iilPT_iil
; %bb.0:
	s_clause 0x3
	s_load_b128 s[8:11], s[0:1], 0x0
	s_load_b32 s2, s[0:1], 0x44
	s_load_b128 s[4:7], s[0:1], 0x18
	s_load_b64 s[16:17], s[0:1], 0x10
	v_bfe_u32 v2, v0, 10, 10
	v_and_b32_e32 v3, 0x3ff, v0
	s_waitcnt lgkmcnt(0)
	s_bitcmp1_b32 s8, 0
	s_cselect_b32 s3, -1, 0
	s_lshr_b32 s8, s2, 16
	s_and_b32 s2, s2, 0xffff
	v_mad_u64_u32 v[0:1], null, s14, s8, v[2:3]
	v_mad_u64_u32 v[1:2], null, s13, s2, v[3:4]
	s_mul_i32 s2, s15, s5
	s_mul_hi_u32 s5, s15, s4
	s_mul_i32 s4, s15, s4
	s_add_i32 s5, s5, s2
	s_xor_b32 s8, s3, -1
	s_lshl_b64 s[4:5], s[4:5], 3
	s_delay_alu instid0(VALU_DEP_1)
	v_or_b32_e32 v2, v1, v0
	s_ashr_i32 s3, s16, 31
	s_mov_b32 s2, s16
	s_add_u32 s4, s10, s4
	s_addc_u32 s5, s11, s5
	v_cmp_eq_u32_e32 vcc_lo, 0, v2
	s_lshl_b64 s[2:3], s[2:3], 3
	s_delay_alu instid0(SALU_CYCLE_1) | instskip(SKIP_2) | instid1(SALU_CYCLE_1)
	s_add_u32 s4, s4, s2
	s_addc_u32 s5, s5, s3
	s_and_b32 s3, vcc_lo, s8
	s_and_saveexec_b32 s2, s3
	s_cbranch_execz .LBB56_2
; %bb.1:
	v_dual_mov_b32 v2, 0 :: v_dual_mov_b32 v3, 0x3ff00000
	global_store_b64 v2, v[2:3], s[4:5]
.LBB56_2:
	s_or_b32 exec_lo, exec_lo, s2
	v_max_u32_e32 v2, v0, v1
	v_cmp_le_u32_e64 s2, v0, v1
	s_delay_alu instid0(VALU_DEP_2) | instskip(NEXT) | instid1(VALU_DEP_2)
	v_cmp_gt_u32_e32 vcc_lo, s9, v2
	s_and_b32 s2, s2, vcc_lo
	s_delay_alu instid0(SALU_CYCLE_1)
	s_and_saveexec_b32 s3, s2
	s_cbranch_execz .LBB56_13
; %bb.3:
	s_load_b128 s[0:3], s[0:1], 0x28
	v_mad_u64_u32 v[2:3], null, v0, v0, v[0:1]
	s_delay_alu instid0(VALU_DEP_1)
	v_lshrrev_b32_e32 v3, 1, v2
	s_waitcnt lgkmcnt(0)
	s_mul_i32 s3, s15, s3
	s_mul_hi_u32 s9, s15, s2
	s_mul_i32 s2, s15, s2
	s_add_i32 s3, s9, s3
	s_ashr_i32 s11, s0, 31
	s_lshl_b64 s[2:3], s[2:3], 3
	s_mov_b32 s10, s0
	s_add_u32 s0, s6, s2
	s_addc_u32 s6, s7, s3
	s_lshl_b64 s[2:3], s[10:11], 3
	s_delay_alu instid0(SALU_CYCLE_1)
	s_add_u32 s2, s0, s2
	s_addc_u32 s3, s6, s3
	s_and_b32 vcc_lo, exec_lo, s8
	s_cbranch_vccz .LBB56_7
; %bb.4:
	v_mad_u64_u32 v[4:5], null, v0, s1, v[1:2]
	v_mov_b32_e32 v6, 0
	s_mov_b32 s8, 0
	s_mov_b32 s0, 0
	s_mov_b32 s9, exec_lo
                                        ; implicit-def: $sgpr6_sgpr7
                                        ; implicit-def: $vgpr2
	s_delay_alu instid0(VALU_DEP_2) | instskip(NEXT) | instid1(VALU_DEP_1)
	v_sub_nc_u32_e32 v5, v4, v3
	v_lshlrev_b64 v[4:5], 3, v[5:6]
	s_delay_alu instid0(VALU_DEP_1) | instskip(NEXT) | instid1(VALU_DEP_2)
	v_add_co_u32 v4, vcc_lo, s2, v4
	v_add_co_ci_u32_e32 v5, vcc_lo, s3, v5, vcc_lo
	global_load_b64 v[7:8], v[4:5], off
	v_mul_lo_u32 v4, v0, s17
	s_delay_alu instid0(VALU_DEP_1) | instskip(NEXT) | instid1(VALU_DEP_1)
	v_add3_u32 v5, v1, v4, 1
	v_lshlrev_b64 v[5:6], 3, v[5:6]
	s_delay_alu instid0(VALU_DEP_1) | instskip(NEXT) | instid1(VALU_DEP_2)
	v_add_co_u32 v5, vcc_lo, s4, v5
	v_add_co_ci_u32_e32 v6, vcc_lo, s5, v6, vcc_lo
	s_waitcnt vmcnt(0)
	global_store_b64 v[5:6], v[7:8], off
	v_cmpx_eq_u32_e64 v1, v0
	s_xor_b32 s9, exec_lo, s9
; %bb.5:
	s_mov_b32 s0, exec_lo
	v_add_nc_u32_e32 v2, s17, v4
	s_mov_b64 s[6:7], 0
; %bb.6:
	s_or_b32 exec_lo, exec_lo, s9
	v_dual_mov_b32 v4, s6 :: v_dual_mov_b32 v5, s7
	s_and_b32 vcc_lo, exec_lo, s8
	s_cbranch_vccnz .LBB56_8
	s_branch .LBB56_11
.LBB56_7:
	s_mov_b32 s0, 0
                                        ; implicit-def: $sgpr6_sgpr7
                                        ; implicit-def: $vgpr2
	v_dual_mov_b32 v4, s6 :: v_dual_mov_b32 v5, s7
	s_cbranch_execz .LBB56_11
.LBB56_8:
	v_mov_b32_e32 v4, 0
	v_mov_b32_e32 v5, 0
	s_mov_b32 s0, exec_lo
	v_cmpx_ne_u32_e32 0, v0
	s_cbranch_execz .LBB56_10
; %bb.9:
	v_dual_mov_b32 v5, 0 :: v_dual_add_nc_u32 v2, -1, v0
	s_delay_alu instid0(VALU_DEP_1) | instskip(NEXT) | instid1(VALU_DEP_1)
	v_mul_lo_u32 v2, v2, s17
	v_add3_u32 v4, v1, v2, 1
	s_delay_alu instid0(VALU_DEP_1) | instskip(NEXT) | instid1(VALU_DEP_1)
	v_lshlrev_b64 v[4:5], 3, v[4:5]
	v_add_co_u32 v4, vcc_lo, s4, v4
	s_delay_alu instid0(VALU_DEP_2)
	v_add_co_ci_u32_e32 v5, vcc_lo, s5, v5, vcc_lo
	global_load_b64 v[4:5], v[4:5], off
.LBB56_10:
	s_or_b32 exec_lo, exec_lo, s0
	v_mad_u64_u32 v[6:7], null, v0, s1, v[1:2]
	s_mov_b32 s0, -1
	s_mov_b64 s[4:5], s[2:3]
	s_delay_alu instid0(VALU_DEP_1)
	v_sub_nc_u32_e32 v2, v6, v3
.LBB56_11:
	s_and_b32 exec_lo, exec_lo, s0
	s_cbranch_execz .LBB56_13
; %bb.12:
	v_mov_b32_e32 v3, 0
	s_delay_alu instid0(VALU_DEP_1) | instskip(NEXT) | instid1(VALU_DEP_1)
	v_lshlrev_b64 v[0:1], 3, v[2:3]
	v_add_co_u32 v0, vcc_lo, s4, v0
	s_delay_alu instid0(VALU_DEP_2)
	v_add_co_ci_u32_e32 v1, vcc_lo, s5, v1, vcc_lo
	s_waitcnt vmcnt(0)
	global_store_b64 v[0:1], v[4:5], off
.LBB56_13:
	s_nop 0
	s_sendmsg sendmsg(MSG_DEALLOC_VGPRS)
	s_endpgm
	.section	.rodata,"a",@progbits
	.p2align	6, 0x0
	.amdhsa_kernel _ZN9rocsolver6v33100L15copyshift_rightIdPdEEvbiT0_iilPT_iil
		.amdhsa_group_segment_fixed_size 0
		.amdhsa_private_segment_fixed_size 0
		.amdhsa_kernarg_size 312
		.amdhsa_user_sgpr_count 13
		.amdhsa_user_sgpr_dispatch_ptr 0
		.amdhsa_user_sgpr_queue_ptr 0
		.amdhsa_user_sgpr_kernarg_segment_ptr 1
		.amdhsa_user_sgpr_dispatch_id 0
		.amdhsa_user_sgpr_private_segment_size 0
		.amdhsa_wavefront_size32 1
		.amdhsa_uses_dynamic_stack 0
		.amdhsa_enable_private_segment 0
		.amdhsa_system_sgpr_workgroup_id_x 1
		.amdhsa_system_sgpr_workgroup_id_y 1
		.amdhsa_system_sgpr_workgroup_id_z 1
		.amdhsa_system_sgpr_workgroup_info 0
		.amdhsa_system_vgpr_workitem_id 1
		.amdhsa_next_free_vgpr 9
		.amdhsa_next_free_sgpr 18
		.amdhsa_reserve_vcc 1
		.amdhsa_float_round_mode_32 0
		.amdhsa_float_round_mode_16_64 0
		.amdhsa_float_denorm_mode_32 3
		.amdhsa_float_denorm_mode_16_64 3
		.amdhsa_dx10_clamp 1
		.amdhsa_ieee_mode 1
		.amdhsa_fp16_overflow 0
		.amdhsa_workgroup_processor_mode 1
		.amdhsa_memory_ordered 1
		.amdhsa_forward_progress 0
		.amdhsa_shared_vgpr_count 0
		.amdhsa_exception_fp_ieee_invalid_op 0
		.amdhsa_exception_fp_denorm_src 0
		.amdhsa_exception_fp_ieee_div_zero 0
		.amdhsa_exception_fp_ieee_overflow 0
		.amdhsa_exception_fp_ieee_underflow 0
		.amdhsa_exception_fp_ieee_inexact 0
		.amdhsa_exception_int_div_zero 0
	.end_amdhsa_kernel
	.section	.text._ZN9rocsolver6v33100L15copyshift_rightIdPdEEvbiT0_iilPT_iil,"axG",@progbits,_ZN9rocsolver6v33100L15copyshift_rightIdPdEEvbiT0_iilPT_iil,comdat
.Lfunc_end56:
	.size	_ZN9rocsolver6v33100L15copyshift_rightIdPdEEvbiT0_iilPT_iil, .Lfunc_end56-_ZN9rocsolver6v33100L15copyshift_rightIdPdEEvbiT0_iilPT_iil
                                        ; -- End function
	.section	.AMDGPU.csdata,"",@progbits
; Kernel info:
; codeLenInByte = 680
; NumSgprs: 20
; NumVgprs: 9
; ScratchSize: 0
; MemoryBound: 0
; FloatMode: 240
; IeeeMode: 1
; LDSByteSize: 0 bytes/workgroup (compile time only)
; SGPRBlocks: 2
; VGPRBlocks: 1
; NumSGPRsForWavesPerEU: 20
; NumVGPRsForWavesPerEU: 9
; Occupancy: 16
; WaveLimiterHint : 0
; COMPUTE_PGM_RSRC2:SCRATCH_EN: 0
; COMPUTE_PGM_RSRC2:USER_SGPR: 13
; COMPUTE_PGM_RSRC2:TRAP_HANDLER: 0
; COMPUTE_PGM_RSRC2:TGID_X_EN: 1
; COMPUTE_PGM_RSRC2:TGID_Y_EN: 1
; COMPUTE_PGM_RSRC2:TGID_Z_EN: 1
; COMPUTE_PGM_RSRC2:TIDIG_COMP_CNT: 1
	.section	.text._ZN9rocsolver6v33100L16orgl2_init_identIdPdEEviiiT0_iil,"axG",@progbits,_ZN9rocsolver6v33100L16orgl2_init_identIdPdEEviiiT0_iil,comdat
	.globl	_ZN9rocsolver6v33100L16orgl2_init_identIdPdEEviiiT0_iil ; -- Begin function _ZN9rocsolver6v33100L16orgl2_init_identIdPdEEviiiT0_iil
	.p2align	8
	.type	_ZN9rocsolver6v33100L16orgl2_init_identIdPdEEviiiT0_iil,@function
_ZN9rocsolver6v33100L16orgl2_init_identIdPdEEviiiT0_iil: ; @_ZN9rocsolver6v33100L16orgl2_init_identIdPdEEviiiT0_iil
; %bb.0:
	s_clause 0x1
	s_load_b32 s2, s[0:1], 0x34
	s_load_b128 s[4:7], s[0:1], 0x0
	v_and_b32_e32 v1, 0x3ff, v0
	v_bfe_u32 v0, v0, 10, 10
	s_waitcnt lgkmcnt(0)
	s_lshr_b32 s3, s2, 16
	s_and_b32 s2, s2, 0xffff
	s_delay_alu instid0(VALU_DEP_1) | instskip(SKIP_1) | instid1(VALU_DEP_2)
	v_mad_u64_u32 v[4:5], null, s14, s3, v[0:1]
	v_mad_u64_u32 v[6:7], null, s13, s2, v[1:2]
	v_cmp_gt_u32_e64 s2, s5, v4
	s_delay_alu instid0(VALU_DEP_2) | instskip(NEXT) | instid1(VALU_DEP_2)
	v_cmp_gt_u32_e32 vcc_lo, s4, v6
	s_and_b32 s2, vcc_lo, s2
	s_delay_alu instid0(SALU_CYCLE_1)
	s_and_saveexec_b32 s3, s2
	s_cbranch_execz .LBB57_5
; %bb.1:
	s_load_b64 s[2:3], s[0:1], 0x18
	s_mov_b32 s4, 0
                                        ; implicit-def: $vgpr2_vgpr3
                                        ; implicit-def: $vgpr0
	s_mov_b32 s5, exec_lo
	v_cmpx_ne_u32_e64 v6, v4
	s_xor_b32 s7, exec_lo, s5
	s_cbranch_execnz .LBB57_6
; %bb.2:
	s_and_not1_saveexec_b32 s5, s7
	s_cbranch_execnz .LBB57_13
.LBB57_3:
	s_or_b32 exec_lo, exec_lo, s5
	s_delay_alu instid0(SALU_CYCLE_1)
	s_and_b32 exec_lo, exec_lo, s4
	s_cbranch_execz .LBB57_5
.LBB57_4:
	s_clause 0x1
	s_load_b64 s[4:5], s[0:1], 0x20
	s_load_b64 s[0:1], s[0:1], 0x10
	v_mov_b32_e32 v1, 0
	s_delay_alu instid0(VALU_DEP_1)
	v_lshlrev_b64 v[0:1], 3, v[0:1]
	s_waitcnt lgkmcnt(0)
	s_mul_i32 s3, s15, s5
	s_mul_hi_u32 s5, s15, s4
	s_mul_i32 s4, s15, s4
	s_add_i32 s5, s5, s3
	s_ashr_i32 s3, s2, 31
	s_lshl_b64 s[4:5], s[4:5], 3
	s_delay_alu instid0(SALU_CYCLE_1) | instskip(SKIP_2) | instid1(SALU_CYCLE_1)
	s_add_u32 s4, s0, s4
	s_addc_u32 s5, s1, s5
	s_lshl_b64 s[0:1], s[2:3], 3
	s_add_u32 s0, s4, s0
	s_addc_u32 s1, s5, s1
	v_add_co_u32 v0, vcc_lo, s0, v0
	v_add_co_ci_u32_e32 v1, vcc_lo, s1, v1, vcc_lo
	global_store_b64 v[0:1], v[2:3], off
.LBB57_5:
	s_nop 0
	s_sendmsg sendmsg(MSG_DEALLOC_VGPRS)
	s_endpgm
.LBB57_6:
	s_mov_b32 s8, 0
	s_mov_b32 s9, exec_lo
                                        ; implicit-def: $sgpr4_sgpr5
                                        ; implicit-def: $vgpr0
	v_cmpx_ge_u32_e64 v4, v6
	s_xor_b32 s9, exec_lo, s9
	s_cbranch_execz .LBB57_10
; %bb.7:
	v_cmp_le_u32_e32 vcc_lo, s6, v6
	s_mov_b32 s6, 0
                                        ; implicit-def: $sgpr4_sgpr5
                                        ; implicit-def: $vgpr0
	s_and_saveexec_b32 s8, vcc_lo
	s_delay_alu instid0(SALU_CYCLE_1)
	s_xor_b32 s8, exec_lo, s8
	s_cbranch_execz .LBB57_9
; %bb.8:
	s_waitcnt lgkmcnt(0)
	v_mad_u64_u32 v[0:1], null, v4, s3, v[6:7]
	s_mov_b32 s6, exec_lo
	s_mov_b64 s[4:5], 0
.LBB57_9:
	s_or_b32 exec_lo, exec_lo, s8
	s_delay_alu instid0(SALU_CYCLE_1)
	s_and_b32 s8, s6, exec_lo
                                        ; implicit-def: $vgpr6_vgpr7
                                        ; implicit-def: $vgpr4_vgpr5
.LBB57_10:
	s_or_saveexec_b32 s6, s9
	v_dual_mov_b32 v2, s4 :: v_dual_mov_b32 v3, s5
	s_xor_b32 exec_lo, exec_lo, s6
	s_cbranch_execz .LBB57_12
; %bb.11:
	v_mov_b32_e32 v2, 0
	s_waitcnt lgkmcnt(0)
	v_mad_u64_u32 v[0:1], null, v4, s3, v[6:7]
	v_mov_b32_e32 v3, 0
	s_or_b32 s8, s8, exec_lo
.LBB57_12:
	s_or_b32 exec_lo, exec_lo, s6
	s_delay_alu instid0(SALU_CYCLE_1)
	s_and_b32 s4, s8, exec_lo
                                        ; implicit-def: $vgpr4_vgpr5
	s_and_not1_saveexec_b32 s5, s7
	s_cbranch_execz .LBB57_3
.LBB57_13:
	s_waitcnt lgkmcnt(0)
	v_mad_u64_u32 v[0:1], null, v4, s3, v[4:5]
	v_mov_b32_e32 v2, 0
	v_mov_b32_e32 v3, 0x3ff00000
	s_or_b32 s4, s4, exec_lo
	s_or_b32 exec_lo, exec_lo, s5
	s_delay_alu instid0(SALU_CYCLE_1)
	s_and_b32 exec_lo, exec_lo, s4
	s_cbranch_execnz .LBB57_4
	s_branch .LBB57_5
	.section	.rodata,"a",@progbits
	.p2align	6, 0x0
	.amdhsa_kernel _ZN9rocsolver6v33100L16orgl2_init_identIdPdEEviiiT0_iil
		.amdhsa_group_segment_fixed_size 0
		.amdhsa_private_segment_fixed_size 0
		.amdhsa_kernarg_size 296
		.amdhsa_user_sgpr_count 13
		.amdhsa_user_sgpr_dispatch_ptr 0
		.amdhsa_user_sgpr_queue_ptr 0
		.amdhsa_user_sgpr_kernarg_segment_ptr 1
		.amdhsa_user_sgpr_dispatch_id 0
		.amdhsa_user_sgpr_private_segment_size 0
		.amdhsa_wavefront_size32 1
		.amdhsa_uses_dynamic_stack 0
		.amdhsa_enable_private_segment 0
		.amdhsa_system_sgpr_workgroup_id_x 1
		.amdhsa_system_sgpr_workgroup_id_y 1
		.amdhsa_system_sgpr_workgroup_id_z 1
		.amdhsa_system_sgpr_workgroup_info 0
		.amdhsa_system_vgpr_workitem_id 1
		.amdhsa_next_free_vgpr 8
		.amdhsa_next_free_sgpr 16
		.amdhsa_reserve_vcc 1
		.amdhsa_float_round_mode_32 0
		.amdhsa_float_round_mode_16_64 0
		.amdhsa_float_denorm_mode_32 3
		.amdhsa_float_denorm_mode_16_64 3
		.amdhsa_dx10_clamp 1
		.amdhsa_ieee_mode 1
		.amdhsa_fp16_overflow 0
		.amdhsa_workgroup_processor_mode 1
		.amdhsa_memory_ordered 1
		.amdhsa_forward_progress 0
		.amdhsa_shared_vgpr_count 0
		.amdhsa_exception_fp_ieee_invalid_op 0
		.amdhsa_exception_fp_denorm_src 0
		.amdhsa_exception_fp_ieee_div_zero 0
		.amdhsa_exception_fp_ieee_overflow 0
		.amdhsa_exception_fp_ieee_underflow 0
		.amdhsa_exception_fp_ieee_inexact 0
		.amdhsa_exception_int_div_zero 0
	.end_amdhsa_kernel
	.section	.text._ZN9rocsolver6v33100L16orgl2_init_identIdPdEEviiiT0_iil,"axG",@progbits,_ZN9rocsolver6v33100L16orgl2_init_identIdPdEEviiiT0_iil,comdat
.Lfunc_end57:
	.size	_ZN9rocsolver6v33100L16orgl2_init_identIdPdEEviiiT0_iil, .Lfunc_end57-_ZN9rocsolver6v33100L16orgl2_init_identIdPdEEviiiT0_iil
                                        ; -- End function
	.section	.AMDGPU.csdata,"",@progbits
; Kernel info:
; codeLenInByte = 472
; NumSgprs: 18
; NumVgprs: 8
; ScratchSize: 0
; MemoryBound: 0
; FloatMode: 240
; IeeeMode: 1
; LDSByteSize: 0 bytes/workgroup (compile time only)
; SGPRBlocks: 2
; VGPRBlocks: 0
; NumSGPRsForWavesPerEU: 18
; NumVGPRsForWavesPerEU: 8
; Occupancy: 16
; WaveLimiterHint : 0
; COMPUTE_PGM_RSRC2:SCRATCH_EN: 0
; COMPUTE_PGM_RSRC2:USER_SGPR: 13
; COMPUTE_PGM_RSRC2:TRAP_HANDLER: 0
; COMPUTE_PGM_RSRC2:TGID_X_EN: 1
; COMPUTE_PGM_RSRC2:TGID_Y_EN: 1
; COMPUTE_PGM_RSRC2:TGID_Z_EN: 1
; COMPUTE_PGM_RSRC2:TIDIG_COMP_CNT: 1
	.section	.text._ZN9rocsolver6v33100L14copyshift_downIdPdEEvbiT0_iilPT_iil,"axG",@progbits,_ZN9rocsolver6v33100L14copyshift_downIdPdEEvbiT0_iilPT_iil,comdat
	.globl	_ZN9rocsolver6v33100L14copyshift_downIdPdEEvbiT0_iilPT_iil ; -- Begin function _ZN9rocsolver6v33100L14copyshift_downIdPdEEvbiT0_iilPT_iil
	.p2align	8
	.type	_ZN9rocsolver6v33100L14copyshift_downIdPdEEvbiT0_iilPT_iil,@function
_ZN9rocsolver6v33100L14copyshift_downIdPdEEvbiT0_iilPT_iil: ; @_ZN9rocsolver6v33100L14copyshift_downIdPdEEvbiT0_iilPT_iil
; %bb.0:
	s_clause 0x3
	s_load_b128 s[8:11], s[0:1], 0x0
	s_load_b32 s12, s[0:1], 0x44
	s_load_b128 s[4:7], s[0:1], 0x18
	s_load_b64 s[2:3], s[0:1], 0x10
	v_bfe_u32 v1, v0, 10, 10
	v_and_b32_e32 v4, 0x3ff, v0
	s_waitcnt lgkmcnt(0)
	s_bitcmp1_b32 s8, 0
	s_cselect_b32 s8, -1, 0
	s_lshr_b32 s16, s12, 16
	s_and_b32 s12, s12, 0xffff
	v_mad_u64_u32 v[2:3], null, s14, s16, v[1:2]
	v_mad_u64_u32 v[0:1], null, s13, s12, v[4:5]
	s_mul_i32 s12, s15, s5
	s_mul_hi_u32 s13, s15, s4
	s_xor_b32 s8, s8, -1
	s_add_i32 s13, s13, s12
	s_mul_i32 s12, s15, s4
	s_ashr_i32 s5, s2, 31
	s_delay_alu instid0(VALU_DEP_1)
	v_or_b32_e32 v1, v0, v2
	s_lshl_b64 s[12:13], s[12:13], 3
	s_mov_b32 s4, s2
	s_add_u32 s2, s10, s12
	s_addc_u32 s10, s11, s13
	v_cmp_eq_u32_e32 vcc_lo, 0, v1
	s_lshl_b64 s[4:5], s[4:5], 3
	s_delay_alu instid0(SALU_CYCLE_1) | instskip(SKIP_2) | instid1(SALU_CYCLE_1)
	s_add_u32 s4, s2, s4
	s_addc_u32 s5, s10, s5
	s_and_b32 s10, vcc_lo, s8
	s_and_saveexec_b32 s2, s10
	s_cbranch_execz .LBB58_2
; %bb.1:
	v_dual_mov_b32 v3, 0 :: v_dual_mov_b32 v4, 0x3ff00000
	global_store_b64 v3, v[3:4], s[4:5]
.LBB58_2:
	s_or_b32 exec_lo, exec_lo, s2
	v_max_u32_e32 v1, v2, v0
	v_cmp_le_u32_e64 s2, v0, v2
	s_delay_alu instid0(VALU_DEP_2) | instskip(NEXT) | instid1(VALU_DEP_2)
	v_cmp_gt_u32_e32 vcc_lo, s9, v1
	s_and_b32 s2, s2, vcc_lo
	s_delay_alu instid0(SALU_CYCLE_1)
	s_and_saveexec_b32 s9, s2
	s_cbranch_execz .LBB58_11
; %bb.3:
	s_clause 0x1
	s_load_b64 s[10:11], s[0:1], 0x30
	s_load_b32 s0, s[0:1], 0x28
	v_add_nc_u32_e32 v1, 1, v2
	s_delay_alu instid0(VALU_DEP_1) | instskip(NEXT) | instid1(VALU_DEP_1)
	v_mul_lo_u32 v3, v1, v2
	v_lshrrev_b32_e32 v3, 1, v3
	s_delay_alu instid0(VALU_DEP_1)
	v_add_nc_u32_e32 v5, v0, v3
	s_waitcnt lgkmcnt(0)
	s_mul_i32 s1, s15, s11
	s_mul_hi_u32 s2, s15, s10
	s_mul_i32 s10, s15, s10
	s_add_i32 s11, s2, s1
	s_ashr_i32 s1, s0, 31
	s_lshl_b64 s[10:11], s[10:11], 3
	s_delay_alu instid0(SALU_CYCLE_1) | instskip(SKIP_2) | instid1(SALU_CYCLE_1)
	s_add_u32 s2, s6, s10
	s_addc_u32 s7, s7, s11
	s_lshl_b64 s[0:1], s[0:1], 3
	s_add_u32 s6, s2, s0
	s_addc_u32 s7, s7, s1
	s_and_b32 vcc_lo, exec_lo, s8
	s_cbranch_vccz .LBB58_5
; %bb.4:
	v_dual_mov_b32 v4, 0 :: v_dual_add_nc_u32 v3, v0, v3
	v_mad_u64_u32 v[8:9], null, v1, s3, v[0:1]
	s_delay_alu instid0(VALU_DEP_2) | instskip(SKIP_1) | instid1(VALU_DEP_1)
	v_lshlrev_b64 v[6:7], 3, v[3:4]
	v_mov_b32_e32 v9, v4
	v_lshlrev_b64 v[3:4], 3, v[8:9]
	s_delay_alu instid0(VALU_DEP_3) | instskip(NEXT) | instid1(VALU_DEP_4)
	v_add_co_u32 v6, vcc_lo, s6, v6
	v_add_co_ci_u32_e32 v7, vcc_lo, s7, v7, vcc_lo
	v_cmp_eq_u32_e32 vcc_lo, v0, v2
	s_delay_alu instid0(VALU_DEP_4)
	v_add_co_u32 v2, s0, s4, v3
	global_load_b64 v[6:7], v[6:7], off
	v_add_co_ci_u32_e64 v3, s0, s5, v4, s0
	s_mov_b64 s[0:1], 0
	s_and_b32 s2, vcc_lo, exec_lo
	s_waitcnt vmcnt(0)
	global_store_b64 v[2:3], v[6:7], off
	v_dual_mov_b32 v4, s1 :: v_dual_mov_b32 v3, s0
	s_cbranch_execz .LBB58_6
	s_branch .LBB58_9
.LBB58_5:
	s_mov_b32 s2, 0
                                        ; implicit-def: $sgpr0_sgpr1
	v_dual_mov_b32 v4, s1 :: v_dual_mov_b32 v3, s0
.LBB58_6:
	v_mov_b32_e32 v3, 0
	v_mov_b32_e32 v4, 0
	s_mov_b32 s0, exec_lo
	v_cmpx_ne_u32_e32 0, v0
	s_cbranch_execz .LBB58_8
; %bb.7:
	v_mul_lo_u32 v2, v1, s3
	v_mov_b32_e32 v1, 0
	s_delay_alu instid0(VALU_DEP_2) | instskip(NEXT) | instid1(VALU_DEP_1)
	v_add3_u32 v0, v0, v2, -1
	v_lshlrev_b64 v[0:1], 3, v[0:1]
	s_delay_alu instid0(VALU_DEP_1) | instskip(NEXT) | instid1(VALU_DEP_2)
	v_add_co_u32 v0, vcc_lo, s4, v0
	v_add_co_ci_u32_e32 v1, vcc_lo, s5, v1, vcc_lo
	global_load_b64 v[3:4], v[0:1], off
.LBB58_8:
	s_or_b32 exec_lo, exec_lo, s0
	v_mov_b32_e32 v1, v5
	s_mov_b32 s2, -1
	s_mov_b64 s[4:5], s[6:7]
.LBB58_9:
	s_and_b32 exec_lo, exec_lo, s2
	s_cbranch_execz .LBB58_11
; %bb.10:
	v_mov_b32_e32 v2, 0
	s_delay_alu instid0(VALU_DEP_1) | instskip(NEXT) | instid1(VALU_DEP_1)
	v_lshlrev_b64 v[0:1], 3, v[1:2]
	v_add_co_u32 v0, vcc_lo, s4, v0
	s_delay_alu instid0(VALU_DEP_2)
	v_add_co_ci_u32_e32 v1, vcc_lo, s5, v1, vcc_lo
	s_waitcnt vmcnt(0)
	global_store_b64 v[0:1], v[3:4], off
.LBB58_11:
	s_nop 0
	s_sendmsg sendmsg(MSG_DEALLOC_VGPRS)
	s_endpgm
	.section	.rodata,"a",@progbits
	.p2align	6, 0x0
	.amdhsa_kernel _ZN9rocsolver6v33100L14copyshift_downIdPdEEvbiT0_iilPT_iil
		.amdhsa_group_segment_fixed_size 0
		.amdhsa_private_segment_fixed_size 0
		.amdhsa_kernarg_size 312
		.amdhsa_user_sgpr_count 13
		.amdhsa_user_sgpr_dispatch_ptr 0
		.amdhsa_user_sgpr_queue_ptr 0
		.amdhsa_user_sgpr_kernarg_segment_ptr 1
		.amdhsa_user_sgpr_dispatch_id 0
		.amdhsa_user_sgpr_private_segment_size 0
		.amdhsa_wavefront_size32 1
		.amdhsa_uses_dynamic_stack 0
		.amdhsa_enable_private_segment 0
		.amdhsa_system_sgpr_workgroup_id_x 1
		.amdhsa_system_sgpr_workgroup_id_y 1
		.amdhsa_system_sgpr_workgroup_id_z 1
		.amdhsa_system_sgpr_workgroup_info 0
		.amdhsa_system_vgpr_workitem_id 1
		.amdhsa_next_free_vgpr 10
		.amdhsa_next_free_sgpr 17
		.amdhsa_reserve_vcc 1
		.amdhsa_float_round_mode_32 0
		.amdhsa_float_round_mode_16_64 0
		.amdhsa_float_denorm_mode_32 3
		.amdhsa_float_denorm_mode_16_64 3
		.amdhsa_dx10_clamp 1
		.amdhsa_ieee_mode 1
		.amdhsa_fp16_overflow 0
		.amdhsa_workgroup_processor_mode 1
		.amdhsa_memory_ordered 1
		.amdhsa_forward_progress 0
		.amdhsa_shared_vgpr_count 0
		.amdhsa_exception_fp_ieee_invalid_op 0
		.amdhsa_exception_fp_denorm_src 0
		.amdhsa_exception_fp_ieee_div_zero 0
		.amdhsa_exception_fp_ieee_overflow 0
		.amdhsa_exception_fp_ieee_underflow 0
		.amdhsa_exception_fp_ieee_inexact 0
		.amdhsa_exception_int_div_zero 0
	.end_amdhsa_kernel
	.section	.text._ZN9rocsolver6v33100L14copyshift_downIdPdEEvbiT0_iilPT_iil,"axG",@progbits,_ZN9rocsolver6v33100L14copyshift_downIdPdEEvbiT0_iilPT_iil,comdat
.Lfunc_end58:
	.size	_ZN9rocsolver6v33100L14copyshift_downIdPdEEvbiT0_iilPT_iil, .Lfunc_end58-_ZN9rocsolver6v33100L14copyshift_downIdPdEEvbiT0_iilPT_iil
                                        ; -- End function
	.section	.AMDGPU.csdata,"",@progbits
; Kernel info:
; codeLenInByte = 632
; NumSgprs: 19
; NumVgprs: 10
; ScratchSize: 0
; MemoryBound: 0
; FloatMode: 240
; IeeeMode: 1
; LDSByteSize: 0 bytes/workgroup (compile time only)
; SGPRBlocks: 2
; VGPRBlocks: 1
; NumSGPRsForWavesPerEU: 19
; NumVGPRsForWavesPerEU: 10
; Occupancy: 16
; WaveLimiterHint : 0
; COMPUTE_PGM_RSRC2:SCRATCH_EN: 0
; COMPUTE_PGM_RSRC2:USER_SGPR: 13
; COMPUTE_PGM_RSRC2:TRAP_HANDLER: 0
; COMPUTE_PGM_RSRC2:TGID_X_EN: 1
; COMPUTE_PGM_RSRC2:TGID_Y_EN: 1
; COMPUTE_PGM_RSRC2:TGID_Z_EN: 1
; COMPUTE_PGM_RSRC2:TIDIG_COMP_CNT: 1
	.section	.text._ZN9rocsolver6v33100L10bdsqr_initIddEEviPT0_lS3_lPiiS2_S2_S4_S3_lS4_,"axG",@progbits,_ZN9rocsolver6v33100L10bdsqr_initIddEEviPT0_lS3_lPiiS2_S2_S4_S3_lS4_,comdat
	.globl	_ZN9rocsolver6v33100L10bdsqr_initIddEEviPT0_lS3_lPiiS2_S2_S4_S3_lS4_ ; -- Begin function _ZN9rocsolver6v33100L10bdsqr_initIddEEviPT0_lS3_lPiiS2_S2_S4_S3_lS4_
	.p2align	8
	.type	_ZN9rocsolver6v33100L10bdsqr_initIddEEviPT0_lS3_lPiiS2_S2_S4_S3_lS4_,@function
_ZN9rocsolver6v33100L10bdsqr_initIddEEviPT0_lS3_lPiiS2_S2_S4_S3_lS4_: ; @_ZN9rocsolver6v33100L10bdsqr_initIddEEviPT0_lS3_lPiiS2_S2_S4_S3_lS4_
; %bb.0:
	s_mov_b32 s8, s15
	s_clause 0x1
	s_load_b32 s2, s[0:1], 0x0
	s_load_b256 s[12:19], s[0:1], 0x8
	s_ashr_i32 s9, s8, 31
	s_waitcnt lgkmcnt(0)
	s_ashr_i32 s3, s2, 31
	s_mul_i32 s5, s8, s15
	s_mul_hi_u32 s6, s8, s14
	s_mul_i32 s7, s9, s14
	s_add_i32 s5, s6, s5
	s_mul_i32 s4, s8, s14
	s_add_i32 s5, s5, s7
	s_mul_i32 s6, s8, s19
	s_lshl_b64 s[4:5], s[4:5], 3
	s_mul_hi_u32 s7, s8, s18
	s_add_u32 s12, s12, s4
	s_mul_i32 s10, s9, s18
	s_addc_u32 s13, s13, s5
	s_add_i32 s5, s7, s6
	s_mul_i32 s4, s8, s18
	s_add_i32 s5, s5, s10
	s_load_b64 s[14:15], s[0:1], 0x28
	s_lshl_b64 s[4:5], s[4:5], 3
	v_cmp_lt_i64_e64 s7, s[2:3], 2
	s_add_u32 s16, s16, s4
	s_addc_u32 s17, s17, s5
	s_lshl_b64 s[4:5], s[2:3], 3
	v_cmp_gt_i64_e64 s18, s[2:3], 1
	s_add_u32 s10, s12, s4
	s_addc_u32 s11, s13, s5
	s_add_u32 s4, s10, -8
	s_addc_u32 s5, s11, -1
	s_clause 0x1
	s_load_b64 s[20:21], s[12:13], 0x0
	s_load_b64 s[4:5], s[4:5], 0x0
	s_waitcnt lgkmcnt(0)
	v_cmp_ge_f64_e64 s6, s[20:21], s[4:5]
	s_delay_alu instid0(VALU_DEP_1) | instskip(SKIP_3) | instid1(SALU_CYCLE_1)
	s_and_b32 s3, s6, exec_lo
	s_cselect_b32 s3, s21, s5
	s_cselect_b32 s4, s20, s4
	s_and_b32 s5, s3, 0x7fffffff
	v_dual_mov_b32 v0, s4 :: v_dual_mov_b32 v1, s5
	s_and_b32 vcc_lo, exec_lo, s7
	s_cbranch_vccnz .LBB59_3
; %bb.1:
	v_dual_mov_b32 v0, s4 :: v_dual_mov_b32 v1, s5
	v_dual_mov_b32 v2, s4 :: v_dual_mov_b32 v3, s5
	s_add_i32 s3, s2, -2
	s_mov_b32 s4, 1
.LBB59_2:                               ; =>This Inner Loop Header: Depth=1
	s_and_b32 s5, s6, exec_lo
	s_cselect_b32 s20, s4, s3
	s_add_i32 s5, s4, -1
	s_and_b32 s7, s6, exec_lo
	s_cselect_b32 s22, s5, s3
	s_delay_alu instid0(SALU_CYCLE_1) | instskip(NEXT) | instid1(SALU_CYCLE_1)
	s_ashr_i32 s23, s22, 31
	s_lshl_b64 s[22:23], s[22:23], 3
	s_delay_alu instid0(SALU_CYCLE_1) | instskip(SKIP_4) | instid1(SALU_CYCLE_1)
	s_add_u32 s22, s16, s22
	s_addc_u32 s23, s17, s23
	s_ashr_i32 s21, s20, 31
	s_load_b64 s[22:23], s[22:23], 0x0
	s_lshl_b64 s[20:21], s[20:21], 3
	s_add_u32 s20, s12, s20
	s_addc_u32 s21, s13, s21
	s_add_i32 s4, s4, 1
	s_load_b64 s[20:21], s[20:21], 0x0
	s_add_i32 s3, s3, -1
	s_cmp_lg_u32 s4, s2
	s_waitcnt lgkmcnt(0)
	v_add_f64 v[4:5], v[2:3], |s[22:23]|
	s_delay_alu instid0(VALU_DEP_1) | instskip(SKIP_1) | instid1(VALU_DEP_2)
	v_div_scale_f64 v[6:7], null, v[4:5], v[4:5], v[2:3]
	v_div_scale_f64 v[12:13], vcc_lo, v[2:3], v[4:5], v[2:3]
	v_rcp_f64_e32 v[8:9], v[6:7]
	s_waitcnt_depctr 0xfff
	v_fma_f64 v[10:11], -v[6:7], v[8:9], 1.0
	s_delay_alu instid0(VALU_DEP_1) | instskip(NEXT) | instid1(VALU_DEP_1)
	v_fma_f64 v[8:9], v[8:9], v[10:11], v[8:9]
	v_fma_f64 v[10:11], -v[6:7], v[8:9], 1.0
	s_delay_alu instid0(VALU_DEP_1) | instskip(NEXT) | instid1(VALU_DEP_1)
	v_fma_f64 v[8:9], v[8:9], v[10:11], v[8:9]
	v_mul_f64 v[10:11], v[12:13], v[8:9]
	s_delay_alu instid0(VALU_DEP_1) | instskip(NEXT) | instid1(VALU_DEP_1)
	v_fma_f64 v[6:7], -v[6:7], v[10:11], v[12:13]
	v_div_fmas_f64 v[6:7], v[6:7], v[8:9], v[10:11]
	s_delay_alu instid0(VALU_DEP_1) | instskip(NEXT) | instid1(VALU_DEP_1)
	v_div_fixup_f64 v[2:3], v[6:7], v[4:5], v[2:3]
	v_mul_f64 v[2:3], |s[20:21]|, v[2:3]
	s_delay_alu instid0(VALU_DEP_1)
	v_cmp_lt_f64_e32 vcc_lo, v[2:3], v[0:1]
	v_dual_cndmask_b32 v1, v1, v3 :: v_dual_cndmask_b32 v0, v0, v2
	s_cbranch_scc1 .LBB59_2
.LBB59_3:
	v_cvt_f64_i32_e32 v[2:3], s2
	s_clause 0x1
	s_load_b256 s[24:31], s[0:1], 0x38
	s_load_b128 s[4:7], s[0:1], 0x58
	s_lshl_b32 s23, s2, 1
	s_load_b32 s0, s[0:1], 0x30
	s_mul_i32 s20, s23, s8
	s_delay_alu instid0(SALU_CYCLE_1) | instskip(NEXT) | instid1(SALU_CYCLE_1)
	s_ashr_i32 s21, s20, 31
	s_lshl_b64 s[34:35], s[20:21], 2
	s_mov_b32 s20, 0
	s_waitcnt lgkmcnt(0)
	s_add_u32 s21, s28, s34
	s_mul_i32 s3, s8, s5
	s_mul_hi_u32 s5, s8, s4
	s_mul_i32 s19, s9, s4
	s_addc_u32 s22, s29, s35
	s_add_i32 s3, s5, s3
	s_mul_i32 s4, s8, s4
	s_add_i32 s5, s3, s19
	s_delay_alu instid0(SALU_CYCLE_1) | instskip(NEXT) | instid1(SALU_CYCLE_1)
	s_lshl_b64 s[4:5], s[4:5], 3
	s_add_u32 s4, s30, s4
	s_addc_u32 s5, s31, s5
	s_add_i32 s3, s2, -1
	s_delay_alu instid0(VALU_DEP_1) | instskip(SKIP_3) | instid1(VALU_DEP_1)
	v_cmp_gt_f64_e32 vcc_lo, 0x10000000, v[2:3]
	v_cndmask_b32_e64 v4, 0, 1, vcc_lo
	s_and_b32 s19, vcc_lo, exec_lo
	s_cselect_b32 s19, 0xffffff80, 0
	v_lshlrev_b32_e32 v4, 8, v4
	s_delay_alu instid0(VALU_DEP_1) | instskip(NEXT) | instid1(VALU_DEP_1)
	v_ldexp_f64 v[2:3], v[2:3], v4
	v_rsq_f64_e32 v[4:5], v[2:3]
	v_cmp_class_f64_e64 vcc_lo, v[2:3], 0x260
	s_waitcnt_depctr 0xfff
	v_mul_f64 v[6:7], v[2:3], v[4:5]
	v_mul_f64 v[4:5], v[4:5], 0.5
	s_delay_alu instid0(VALU_DEP_1) | instskip(NEXT) | instid1(VALU_DEP_1)
	v_fma_f64 v[8:9], -v[4:5], v[6:7], 0.5
	v_fma_f64 v[6:7], v[6:7], v[8:9], v[6:7]
	v_fma_f64 v[4:5], v[4:5], v[8:9], v[4:5]
	s_delay_alu instid0(VALU_DEP_2) | instskip(NEXT) | instid1(VALU_DEP_1)
	v_fma_f64 v[8:9], -v[6:7], v[6:7], v[2:3]
	v_fma_f64 v[6:7], v[8:9], v[4:5], v[6:7]
	s_delay_alu instid0(VALU_DEP_1) | instskip(NEXT) | instid1(VALU_DEP_1)
	v_fma_f64 v[8:9], -v[6:7], v[6:7], v[2:3]
	v_fma_f64 v[4:5], v[8:9], v[4:5], v[6:7]
	v_mul_f64 v[6:7], v[0:1], s[26:27]
	s_delay_alu instid0(VALU_DEP_2) | instskip(NEXT) | instid1(VALU_DEP_1)
	v_ldexp_f64 v[4:5], v[4:5], s19
	v_dual_cndmask_b32 v3, v5, v3 :: v_dual_cndmask_b32 v2, v4, v2
	s_delay_alu instid0(VALU_DEP_1) | instskip(SKIP_1) | instid1(VALU_DEP_2)
	v_div_scale_f64 v[4:5], null, v[2:3], v[2:3], v[6:7]
	v_div_scale_f64 v[12:13], vcc_lo, v[6:7], v[2:3], v[6:7]
	v_rcp_f64_e32 v[8:9], v[4:5]
	s_waitcnt_depctr 0xfff
	v_fma_f64 v[10:11], -v[4:5], v[8:9], 1.0
	s_delay_alu instid0(VALU_DEP_1) | instskip(NEXT) | instid1(VALU_DEP_1)
	v_fma_f64 v[8:9], v[8:9], v[10:11], v[8:9]
	v_fma_f64 v[10:11], -v[4:5], v[8:9], 1.0
	s_delay_alu instid0(VALU_DEP_1) | instskip(NEXT) | instid1(VALU_DEP_1)
	v_fma_f64 v[8:9], v[8:9], v[10:11], v[8:9]
	v_mul_f64 v[10:11], v[12:13], v[8:9]
	s_delay_alu instid0(VALU_DEP_1) | instskip(NEXT) | instid1(VALU_DEP_1)
	v_fma_f64 v[4:5], -v[4:5], v[10:11], v[12:13]
	v_div_fmas_f64 v[4:5], v[4:5], v[8:9], v[10:11]
	v_cvt_f64_i32_e32 v[8:9], s0
	s_delay_alu instid0(VALU_DEP_2) | instskip(NEXT) | instid1(VALU_DEP_2)
	v_div_fixup_f64 v[2:3], v[4:5], v[2:3], v[6:7]
	v_mul_f64 v[5:6], v[8:9], s[24:25]
	v_cndmask_b32_e64 v8, 0, 1, s18
	s_mov_b32 s24, 0
	s_mov_b32 s25, 0
	s_delay_alu instid0(VALU_DEP_2)
	v_cmp_lt_f64_e32 vcc_lo, v[2:3], v[5:6]
	v_dual_mov_b32 v4, 0 :: v_dual_cndmask_b32 v3, v3, v6
	v_cndmask_b32_e32 v2, v2, v5, vcc_lo
	s_and_not1_b32 vcc_lo, exec_lo, s18
	global_store_b128 v4, v[0:3], s[4:5]
	s_cbranch_vccnz .LBB59_20
; %bb.4:
	s_mov_b32 s1, 0
	s_delay_alu instid0(SALU_CYCLE_1) | instskip(SKIP_3) | instid1(SALU_CYCLE_1)
	s_mov_b32 s0, s1
	s_mov_b32 s20, s1
	;; [unrolled: 1-line block ×3, first 2 shown]
	s_lshl_b32 s18, s0, 2
	s_or_b32 s19, s18, 3
	s_delay_alu instid0(SALU_CYCLE_1)
	s_cmp_ge_i32 s19, s23
	s_cbranch_scc1 .LBB59_6
.LBB59_5:
	s_mov_b32 s19, s1
	v_mov_b32_e32 v5, v4
	s_lshl_b64 s[18:19], s[18:19], 2
	v_mov_b32_e32 v6, v4
	v_mov_b32_e32 v7, v4
	s_add_u32 s18, s21, s18
	s_addc_u32 s19, s22, s19
	global_store_b128 v4, v[4:7], s[18:19]
	s_waitcnt_vscnt null, 0x0
	s_waitcnt vmcnt(0)
	buffer_gl1_inv
	buffer_gl0_inv
.LBB59_6:                               ; =>This Inner Loop Header: Depth=1
	s_lshl_b64 s[18:19], s[0:1], 3
	s_delay_alu instid0(SALU_CYCLE_1)
	s_add_u32 s26, s12, s18
	s_addc_u32 s27, s13, s19
	s_add_u32 s18, s16, s18
	global_load_b64 v[5:6], v4, s[26:27]
	s_addc_u32 s19, s17, s19
	global_load_b64 v[0:1], v4, s[18:19]
	s_waitcnt vmcnt(1)
	v_cmp_class_f64_e64 s26, v[5:6], 0x1f8
	s_delay_alu instid0(VALU_DEP_1)
	s_and_b32 vcc_lo, exec_lo, s26
	s_cbranch_vccz .LBB59_19
; %bb.7:                                ;   in Loop: Header=BB59_6 Depth=1
	s_waitcnt vmcnt(0)
	v_cmp_class_f64_e64 s26, v[0:1], 0x1f8
	s_delay_alu instid0(VALU_DEP_1)
	s_and_b32 vcc_lo, exec_lo, s26
	s_cbranch_vccnz .LBB59_9
; %bb.8:                                ;   in Loop: Header=BB59_6 Depth=1
	s_mov_b32 s24, -1
.LBB59_9:                               ;   in Loop: Header=BB59_6 Depth=1
	v_dual_mov_b32 v5, v0 :: v_dual_and_b32 v6, 0x7fffffff, v1
	s_cbranch_execnz .LBB59_11
.LBB59_10:                              ;   in Loop: Header=BB59_6 Depth=1
	s_waitcnt vmcnt(0)
	v_and_b32_e32 v1, 0x7fffffff, v1
	s_mov_b32 s24, -1
	s_delay_alu instid0(VALU_DEP_1)
	v_dual_mov_b32 v6, v1 :: v_dual_mov_b32 v5, v0
.LBB59_11:                              ;   in Loop: Header=BB59_6 Depth=1
	s_delay_alu instid0(VALU_DEP_1)
	v_cmp_lt_f64_e32 vcc_lo, v[5:6], v[2:3]
	s_mov_b32 s27, -1
                                        ; implicit-def: $sgpr26
	s_cbranch_vccz .LBB59_14
; %bb.12:                               ;   in Loop: Header=BB59_6 Depth=1
	s_and_not1_b32 vcc_lo, exec_lo, s27
	s_cbranch_vccz .LBB59_15
.LBB59_13:                              ;   in Loop: Header=BB59_6 Depth=1
	s_cmp_eq_u32 s26, s3
	s_cbranch_scc0 .LBB59_18
	s_branch .LBB59_20
.LBB59_14:                              ;   in Loop: Header=BB59_6 Depth=1
	s_add_i32 s26, s0, 1
	s_cbranch_execnz .LBB59_13
.LBB59_15:                              ;   in Loop: Header=BB59_6 Depth=1
	v_mov_b32_e32 v5, v4
	s_cmp_ge_i32 s25, s0
	global_store_b64 v4, v[4:5], s[18:19]
	s_cbranch_scc1 .LBB59_17
; %bb.16:                               ;   in Loop: Header=BB59_6 Depth=1
	s_lshl_b32 s18, s20, 2
	s_waitcnt vmcnt(0)
	v_dual_mov_b32 v0, s25 :: v_dual_mov_b32 v1, s0
	s_ashr_i32 s19, s18, 31
	s_delay_alu instid0(SALU_CYCLE_1) | instskip(NEXT) | instid1(SALU_CYCLE_1)
	s_lshl_b64 s[18:19], s[18:19], 2
	s_add_u32 s18, s21, s18
	s_addc_u32 s19, s22, s19
	s_add_i32 s20, s20, 1
	global_store_b64 v4, v[0:1], s[18:19] offset:4
.LBB59_17:                              ;   in Loop: Header=BB59_6 Depth=1
	s_add_i32 s25, s0, 1
	s_delay_alu instid0(SALU_CYCLE_1) | instskip(NEXT) | instid1(SALU_CYCLE_1)
	s_mov_b32 s26, s25
	s_cmp_eq_u32 s26, s3
	s_cbranch_scc1 .LBB59_20
.LBB59_18:                              ;   in Loop: Header=BB59_6 Depth=1
	s_mov_b32 s0, s26
	s_delay_alu instid0(SALU_CYCLE_1) | instskip(NEXT) | instid1(SALU_CYCLE_1)
	s_lshl_b32 s18, s0, 2
	s_or_b32 s19, s18, 3
	s_delay_alu instid0(SALU_CYCLE_1)
	s_cmp_ge_i32 s19, s23
	s_cbranch_scc0 .LBB59_5
	s_branch .LBB59_6
.LBB59_19:                              ;   in Loop: Header=BB59_6 Depth=1
                                        ; implicit-def: $sgpr24
                                        ; implicit-def: $vgpr5_vgpr6
	s_branch .LBB59_10
.LBB59_20:
	v_mov_b32_e32 v2, 0
	s_cmp_lt_i32 s25, s3
	global_load_b64 v[0:1], v2, s[10:11] offset:-8
	s_cbranch_scc0 .LBB59_22
; %bb.21:
	s_lshl_b32 s0, s20, 2
	v_dual_mov_b32 v3, s25 :: v_dual_mov_b32 v4, s3
	s_ashr_i32 s1, s0, 31
	s_delay_alu instid0(SALU_CYCLE_1) | instskip(NEXT) | instid1(SALU_CYCLE_1)
	s_lshl_b64 s[0:1], s[0:1], 2
	s_add_u32 s0, s21, s0
	s_addc_u32 s1, s22, s1
	global_store_b64 v2, v[3:4], s[0:1] offset:4
.LBB59_22:
	s_waitcnt vmcnt(0)
	v_cmp_nlg_f64_e64 s0, 0x7ff00000, |v[0:1]|
	s_delay_alu instid0(VALU_DEP_1) | instskip(NEXT) | instid1(SALU_CYCLE_1)
	s_or_b32 s0, s0, s24
	s_and_not1_b32 vcc_lo, exec_lo, s0
	s_mov_b32 s0, -1
	s_cbranch_vccz .LBB59_27
; %bb.23:
	s_add_i32 s1, s20, 1
	v_mov_b32_e32 v2, 0
	v_cvt_f64_i32_e32 v[0:1], s1
	s_lshl_b64 s[18:19], s[8:9], 2
	s_mov_b32 s0, 0
	s_add_u32 s18, s14, s18
	v_mov_b32_e32 v3, v2
	s_addc_u32 s19, s15, s19
	s_cmp_lt_i32 s20, 0
	s_clause 0x1
	global_store_b128 v2, v[0:3], s[4:5] offset:16
	global_store_b32 v2, v2, s[18:19]
	s_cbranch_scc1 .LBB59_27
; %bb.24:
	v_mov_b32_e32 v1, 0
	s_mov_b32 s4, 0
.LBB59_25:                              ; =>This Inner Loop Header: Depth=1
	v_mov_b32_e32 v0, s1
	global_atomic_cmpswap_b32 v1, v2, v[0:1], s[6:7] offset:4 glc
	s_waitcnt vmcnt(0)
	v_cmp_lt_i32_e32 vcc_lo, s20, v1
	s_or_b32 s4, vcc_lo, s4
	s_delay_alu instid0(SALU_CYCLE_1)
	s_and_not1_b32 exec_lo, exec_lo, s4
	s_cbranch_execnz .LBB59_25
; %bb.26:
	s_or_b32 exec_lo, exec_lo, s4
.LBB59_27:
	s_delay_alu instid0(SALU_CYCLE_1)
	s_and_not1_b32 vcc_lo, exec_lo, s0
	s_cbranch_vccnz .LBB59_33
; %bb.28:
	v_cmp_ne_u32_e32 vcc_lo, 1, v8
	s_cbranch_vccnz .LBB59_31
; %bb.29:
	s_mov_b32 s0, 0
	s_mov_b32 s1, 0x7ff80000
	v_mov_b32_e32 v0, s0
	v_dual_mov_b32 v2, 0 :: v_dual_mov_b32 v1, s1
.LBB59_30:                              ; =>This Inner Loop Header: Depth=1
	s_add_i32 s3, s3, -1
	s_clause 0x1
	global_store_b64 v2, v[0:1], s[12:13]
	global_store_b64 v2, v[0:1], s[16:17]
	s_add_u32 s12, s12, 8
	s_addc_u32 s13, s13, 0
	s_add_u32 s16, s16, 8
	s_addc_u32 s17, s17, 0
	s_cmp_eq_u32 s3, 0
	s_cbranch_scc0 .LBB59_30
.LBB59_31:
	s_mov_b32 s0, exec_lo
	v_dual_mov_b32 v0, 0 :: v_dual_mov_b32 v1, 0x7ff80000
	s_lshl_b64 s[4:5], s[8:9], 2
	v_mbcnt_lo_u32_b32 v2, s0, 0
	v_dual_mov_b32 v3, s2 :: v_dual_mov_b32 v4, 2
	s_add_u32 s8, s14, s4
	s_addc_u32 s9, s15, s5
	s_add_u32 s2, s6, s4
	s_addc_u32 s3, s7, s5
	s_clause 0x2
	global_store_b64 v0, v[0:1], s[10:11] offset:-8
	global_store_b32 v0, v3, s[8:9]
	global_store_b32 v0, v4, s[2:3] offset:8
	s_mov_b32 s1, exec_lo
	v_cmpx_eq_u32_e32 0, v2
	s_cbranch_execz .LBB59_33
; %bb.32:
	s_bcnt1_i32_b32 s0, s0
	s_delay_alu instid0(SALU_CYCLE_1)
	v_mov_b32_e32 v1, s0
	global_atomic_add_u32 v0, v1, s[6:7]
.LBB59_33:
	s_nop 0
	s_sendmsg sendmsg(MSG_DEALLOC_VGPRS)
	s_endpgm
	.section	.rodata,"a",@progbits
	.p2align	6, 0x0
	.amdhsa_kernel _ZN9rocsolver6v33100L10bdsqr_initIddEEviPT0_lS3_lPiiS2_S2_S4_S3_lS4_
		.amdhsa_group_segment_fixed_size 0
		.amdhsa_private_segment_fixed_size 0
		.amdhsa_kernarg_size 104
		.amdhsa_user_sgpr_count 14
		.amdhsa_user_sgpr_dispatch_ptr 0
		.amdhsa_user_sgpr_queue_ptr 0
		.amdhsa_user_sgpr_kernarg_segment_ptr 1
		.amdhsa_user_sgpr_dispatch_id 0
		.amdhsa_user_sgpr_private_segment_size 0
		.amdhsa_wavefront_size32 1
		.amdhsa_uses_dynamic_stack 0
		.amdhsa_enable_private_segment 0
		.amdhsa_system_sgpr_workgroup_id_x 1
		.amdhsa_system_sgpr_workgroup_id_y 1
		.amdhsa_system_sgpr_workgroup_id_z 0
		.amdhsa_system_sgpr_workgroup_info 0
		.amdhsa_system_vgpr_workitem_id 0
		.amdhsa_next_free_vgpr 14
		.amdhsa_next_free_sgpr 36
		.amdhsa_reserve_vcc 1
		.amdhsa_float_round_mode_32 0
		.amdhsa_float_round_mode_16_64 0
		.amdhsa_float_denorm_mode_32 3
		.amdhsa_float_denorm_mode_16_64 3
		.amdhsa_dx10_clamp 1
		.amdhsa_ieee_mode 1
		.amdhsa_fp16_overflow 0
		.amdhsa_workgroup_processor_mode 1
		.amdhsa_memory_ordered 1
		.amdhsa_forward_progress 0
		.amdhsa_shared_vgpr_count 0
		.amdhsa_exception_fp_ieee_invalid_op 0
		.amdhsa_exception_fp_denorm_src 0
		.amdhsa_exception_fp_ieee_div_zero 0
		.amdhsa_exception_fp_ieee_overflow 0
		.amdhsa_exception_fp_ieee_underflow 0
		.amdhsa_exception_fp_ieee_inexact 0
		.amdhsa_exception_int_div_zero 0
	.end_amdhsa_kernel
	.section	.text._ZN9rocsolver6v33100L10bdsqr_initIddEEviPT0_lS3_lPiiS2_S2_S4_S3_lS4_,"axG",@progbits,_ZN9rocsolver6v33100L10bdsqr_initIddEEviPT0_lS3_lPiiS2_S2_S4_S3_lS4_,comdat
.Lfunc_end59:
	.size	_ZN9rocsolver6v33100L10bdsqr_initIddEEviPT0_lS3_lPiiS2_S2_S4_S3_lS4_, .Lfunc_end59-_ZN9rocsolver6v33100L10bdsqr_initIddEEviPT0_lS3_lPiiS2_S2_S4_S3_lS4_
                                        ; -- End function
	.section	.AMDGPU.csdata,"",@progbits
; Kernel info:
; codeLenInByte = 1780
; NumSgprs: 38
; NumVgprs: 14
; ScratchSize: 0
; MemoryBound: 0
; FloatMode: 240
; IeeeMode: 1
; LDSByteSize: 0 bytes/workgroup (compile time only)
; SGPRBlocks: 4
; VGPRBlocks: 1
; NumSGPRsForWavesPerEU: 38
; NumVGPRsForWavesPerEU: 14
; Occupancy: 16
; WaveLimiterHint : 0
; COMPUTE_PGM_RSRC2:SCRATCH_EN: 0
; COMPUTE_PGM_RSRC2:USER_SGPR: 14
; COMPUTE_PGM_RSRC2:TRAP_HANDLER: 0
; COMPUTE_PGM_RSRC2:TGID_X_EN: 1
; COMPUTE_PGM_RSRC2:TGID_Y_EN: 1
; COMPUTE_PGM_RSRC2:TGID_Z_EN: 0
; COMPUTE_PGM_RSRC2:TIDIG_COMP_CNT: 0
	.section	.text._ZN9rocsolver6v33100L11swap_kernelIdiEEvT0_PT_S2_S4_S2_,"axG",@progbits,_ZN9rocsolver6v33100L11swap_kernelIdiEEvT0_PT_S2_S4_S2_,comdat
	.globl	_ZN9rocsolver6v33100L11swap_kernelIdiEEvT0_PT_S2_S4_S2_ ; -- Begin function _ZN9rocsolver6v33100L11swap_kernelIdiEEvT0_PT_S2_S4_S2_
	.p2align	8
	.type	_ZN9rocsolver6v33100L11swap_kernelIdiEEvT0_PT_S2_S4_S2_,@function
_ZN9rocsolver6v33100L11swap_kernelIdiEEvT0_PT_S2_S4_S2_: ; @_ZN9rocsolver6v33100L11swap_kernelIdiEEvT0_PT_S2_S4_S2_
; %bb.0:
	s_load_b32 s12, s[0:1], 0x0
	s_waitcnt lgkmcnt(0)
	s_cmp_lt_i32 s12, 1
	s_cbranch_scc1 .LBB60_10
; %bb.1:
	s_clause 0x5
	s_load_b32 s6, s[0:1], 0x34
	s_load_b32 s8, s[0:1], 0x10
	;; [unrolled: 1-line block ×4, first 2 shown]
	s_load_b64 s[2:3], s[0:1], 0x8
	s_load_b64 s[4:5], s[0:1], 0x18
	s_waitcnt lgkmcnt(0)
	s_and_b32 s0, s6, 0xffff
	s_cmp_eq_u32 s8, 1
	v_mad_u64_u32 v[1:2], null, s15, s0, v[0:1]
	s_cselect_b32 s1, -1, 0
	s_cmp_eq_u32 s9, 1
	s_mul_i32 s6, s7, s0
	s_cselect_b32 s10, -1, 0
	s_delay_alu instid0(SALU_CYCLE_1) | instskip(NEXT) | instid1(VALU_DEP_1)
	s_and_b32 s1, s1, s10
	v_cmp_gt_i32_e64 s0, s12, v1
	s_and_b32 vcc_lo, exec_lo, s1
	s_mov_b32 s1, -1
	s_cbranch_vccnz .LBB60_6
; %bb.2:
	s_delay_alu instid0(VALU_DEP_1)
	s_and_saveexec_b32 s7, s0
	s_cbranch_execz .LBB60_5
; %bb.3:
	v_mad_i64_i32 v[2:3], null, s9, v1, 0
	v_mad_i64_i32 v[4:5], null, s8, v1, 0
	v_mov_b32_e32 v0, v1
	s_mul_hi_i32 s11, s9, s6
	s_mul_i32 s10, s9, s6
	s_mul_hi_i32 s15, s8, s6
	s_delay_alu instid0(VALU_DEP_3) | instskip(SKIP_1) | instid1(VALU_DEP_3)
	v_lshlrev_b64 v[2:3], 3, v[2:3]
	s_mul_i32 s14, s8, s6
	v_lshlrev_b64 v[4:5], 3, v[4:5]
	s_lshl_b64 s[8:9], s[10:11], 3
	s_lshl_b64 s[10:11], s[14:15], 3
	s_mov_b32 s13, 0
	v_add_co_u32 v2, vcc_lo, s4, v2
	v_add_co_ci_u32_e32 v3, vcc_lo, s5, v3, vcc_lo
	v_add_co_u32 v4, vcc_lo, s2, v4
	v_add_co_ci_u32_e32 v5, vcc_lo, s3, v5, vcc_lo
	.p2align	6
.LBB60_4:                               ; =>This Inner Loop Header: Depth=1
	global_load_b64 v[6:7], v[4:5], off
	global_load_b64 v[8:9], v[2:3], off
	v_add_nc_u32_e32 v0, s6, v0
	s_waitcnt vmcnt(1)
	global_store_b64 v[2:3], v[6:7], off
	s_waitcnt vmcnt(0)
	global_store_b64 v[4:5], v[8:9], off
	v_add_co_u32 v2, s1, v2, s8
	s_delay_alu instid0(VALU_DEP_1) | instskip(SKIP_2) | instid1(VALU_DEP_1)
	v_add_co_ci_u32_e64 v3, s1, s9, v3, s1
	v_cmp_le_i32_e32 vcc_lo, s12, v0
	v_add_co_u32 v4, s1, v4, s10
	v_add_co_ci_u32_e64 v5, s1, s11, v5, s1
	s_or_b32 s13, vcc_lo, s13
	s_delay_alu instid0(SALU_CYCLE_1)
	s_and_not1_b32 exec_lo, exec_lo, s13
	s_cbranch_execnz .LBB60_4
.LBB60_5:
	s_or_b32 exec_lo, exec_lo, s7
	s_mov_b32 s1, 0
.LBB60_6:
	s_delay_alu instid0(SALU_CYCLE_1)
	s_and_not1_b32 vcc_lo, exec_lo, s1
	s_cbranch_vccnz .LBB60_10
; %bb.7:
	s_and_saveexec_b32 s1, s0
	s_cbranch_execz .LBB60_10
; %bb.8:
	v_ashrrev_i32_e32 v2, 31, v1
	s_ashr_i32 s7, s6, 31
	s_mov_b32 s1, 0
	s_lshl_b64 s[8:9], s[6:7], 3
	s_delay_alu instid0(VALU_DEP_1)
	v_lshlrev_b64 v[2:3], 3, v[1:2]
	.p2align	6
.LBB60_9:                               ; =>This Inner Loop Header: Depth=1
	s_delay_alu instid0(VALU_DEP_1) | instskip(NEXT) | instid1(VALU_DEP_2)
	v_add_co_u32 v4, vcc_lo, s2, v2
	v_add_co_ci_u32_e32 v5, vcc_lo, s3, v3, vcc_lo
	v_add_co_u32 v6, vcc_lo, s4, v2
	v_add_co_ci_u32_e32 v7, vcc_lo, s5, v3, vcc_lo
	v_add_nc_u32_e32 v1, s6, v1
	global_load_b64 v[8:9], v[4:5], off
	global_load_b64 v[10:11], v[6:7], off
	v_add_co_u32 v2, s0, v2, s8
	v_cmp_le_i32_e32 vcc_lo, s12, v1
	v_add_co_ci_u32_e64 v3, s0, s9, v3, s0
	s_waitcnt vmcnt(1)
	global_store_b64 v[6:7], v[8:9], off
	s_waitcnt vmcnt(0)
	global_store_b64 v[4:5], v[10:11], off
	s_or_b32 s1, vcc_lo, s1
	s_delay_alu instid0(SALU_CYCLE_1)
	s_and_not1_b32 exec_lo, exec_lo, s1
	s_cbranch_execnz .LBB60_9
.LBB60_10:
	s_nop 0
	s_sendmsg sendmsg(MSG_DEALLOC_VGPRS)
	s_endpgm
	.section	.rodata,"a",@progbits
	.p2align	6, 0x0
	.amdhsa_kernel _ZN9rocsolver6v33100L11swap_kernelIdiEEvT0_PT_S2_S4_S2_
		.amdhsa_group_segment_fixed_size 0
		.amdhsa_private_segment_fixed_size 0
		.amdhsa_kernarg_size 296
		.amdhsa_user_sgpr_count 15
		.amdhsa_user_sgpr_dispatch_ptr 0
		.amdhsa_user_sgpr_queue_ptr 0
		.amdhsa_user_sgpr_kernarg_segment_ptr 1
		.amdhsa_user_sgpr_dispatch_id 0
		.amdhsa_user_sgpr_private_segment_size 0
		.amdhsa_wavefront_size32 1
		.amdhsa_uses_dynamic_stack 0
		.amdhsa_enable_private_segment 0
		.amdhsa_system_sgpr_workgroup_id_x 1
		.amdhsa_system_sgpr_workgroup_id_y 0
		.amdhsa_system_sgpr_workgroup_id_z 0
		.amdhsa_system_sgpr_workgroup_info 0
		.amdhsa_system_vgpr_workitem_id 0
		.amdhsa_next_free_vgpr 12
		.amdhsa_next_free_sgpr 16
		.amdhsa_reserve_vcc 1
		.amdhsa_float_round_mode_32 0
		.amdhsa_float_round_mode_16_64 0
		.amdhsa_float_denorm_mode_32 3
		.amdhsa_float_denorm_mode_16_64 3
		.amdhsa_dx10_clamp 1
		.amdhsa_ieee_mode 1
		.amdhsa_fp16_overflow 0
		.amdhsa_workgroup_processor_mode 1
		.amdhsa_memory_ordered 1
		.amdhsa_forward_progress 0
		.amdhsa_shared_vgpr_count 0
		.amdhsa_exception_fp_ieee_invalid_op 0
		.amdhsa_exception_fp_denorm_src 0
		.amdhsa_exception_fp_ieee_div_zero 0
		.amdhsa_exception_fp_ieee_overflow 0
		.amdhsa_exception_fp_ieee_underflow 0
		.amdhsa_exception_fp_ieee_inexact 0
		.amdhsa_exception_int_div_zero 0
	.end_amdhsa_kernel
	.section	.text._ZN9rocsolver6v33100L11swap_kernelIdiEEvT0_PT_S2_S4_S2_,"axG",@progbits,_ZN9rocsolver6v33100L11swap_kernelIdiEEvT0_PT_S2_S4_S2_,comdat
.Lfunc_end60:
	.size	_ZN9rocsolver6v33100L11swap_kernelIdiEEvT0_PT_S2_S4_S2_, .Lfunc_end60-_ZN9rocsolver6v33100L11swap_kernelIdiEEvT0_PT_S2_S4_S2_
                                        ; -- End function
	.section	.AMDGPU.csdata,"",@progbits
; Kernel info:
; codeLenInByte = 520
; NumSgprs: 18
; NumVgprs: 12
; ScratchSize: 0
; MemoryBound: 0
; FloatMode: 240
; IeeeMode: 1
; LDSByteSize: 0 bytes/workgroup (compile time only)
; SGPRBlocks: 2
; VGPRBlocks: 1
; NumSGPRsForWavesPerEU: 18
; NumVGPRsForWavesPerEU: 12
; Occupancy: 16
; WaveLimiterHint : 0
; COMPUTE_PGM_RSRC2:SCRATCH_EN: 0
; COMPUTE_PGM_RSRC2:USER_SGPR: 15
; COMPUTE_PGM_RSRC2:TRAP_HANDLER: 0
; COMPUTE_PGM_RSRC2:TGID_X_EN: 1
; COMPUTE_PGM_RSRC2:TGID_Y_EN: 0
; COMPUTE_PGM_RSRC2:TGID_Z_EN: 0
; COMPUTE_PGM_RSRC2:TIDIG_COMP_CNT: 0
	.section	.text._ZN9rocsolver6v33100L10rot_kernelIddiEEvT1_PT0_S2_S4_S2_T_S5_,"axG",@progbits,_ZN9rocsolver6v33100L10rot_kernelIddiEEvT1_PT0_S2_S4_S2_T_S5_,comdat
	.globl	_ZN9rocsolver6v33100L10rot_kernelIddiEEvT1_PT0_S2_S4_S2_T_S5_ ; -- Begin function _ZN9rocsolver6v33100L10rot_kernelIddiEEvT1_PT0_S2_S4_S2_T_S5_
	.p2align	8
	.type	_ZN9rocsolver6v33100L10rot_kernelIddiEEvT1_PT0_S2_S4_S2_T_S5_,@function
_ZN9rocsolver6v33100L10rot_kernelIddiEEvT1_PT0_S2_S4_S2_T_S5_: ; @_ZN9rocsolver6v33100L10rot_kernelIddiEEvT1_PT0_S2_S4_S2_T_S5_
; %bb.0:
	s_load_b32 s16, s[0:1], 0x0
	s_waitcnt lgkmcnt(0)
	s_cmp_lt_i32 s16, 1
	s_cbranch_scc1 .LBB61_10
; %bb.1:
	s_clause 0x6
	s_load_b32 s10, s[0:1], 0x44
	s_load_b32 s12, s[0:1], 0x10
	;; [unrolled: 1-line block ×4, first 2 shown]
	s_load_b128 s[4:7], s[0:1], 0x28
	s_load_b64 s[2:3], s[0:1], 0x8
	s_load_b64 s[8:9], s[0:1], 0x18
	s_waitcnt lgkmcnt(0)
	s_and_b32 s0, s10, 0xffff
	s_cmp_eq_u32 s12, 1
	v_mad_u64_u32 v[1:2], null, s15, s0, v[0:1]
	s_cselect_b32 s1, -1, 0
	s_cmp_eq_u32 s13, 1
	s_mul_i32 s10, s11, s0
	s_cselect_b32 s14, -1, 0
	s_delay_alu instid0(SALU_CYCLE_1) | instskip(NEXT) | instid1(VALU_DEP_1)
	s_and_b32 s1, s1, s14
	v_cmp_gt_i32_e64 s0, s16, v1
	s_and_b32 vcc_lo, exec_lo, s1
	s_mov_b32 s1, -1
	s_cbranch_vccnz .LBB61_6
; %bb.2:
	s_delay_alu instid0(VALU_DEP_1)
	s_and_saveexec_b32 s11, s0
	s_cbranch_execz .LBB61_5
; %bb.3:
	v_mad_i64_i32 v[2:3], null, s13, v1, 0
	v_mad_i64_i32 v[4:5], null, s12, v1, 0
	v_mov_b32_e32 v0, v1
	s_mul_hi_i32 s15, s13, s10
	s_mul_i32 s14, s13, s10
	s_mul_hi_i32 s19, s12, s10
	s_delay_alu instid0(VALU_DEP_3) | instskip(SKIP_1) | instid1(VALU_DEP_3)
	v_lshlrev_b64 v[2:3], 3, v[2:3]
	s_mul_i32 s18, s12, s10
	v_lshlrev_b64 v[4:5], 3, v[4:5]
	s_lshl_b64 s[12:13], s[14:15], 3
	s_lshl_b64 s[14:15], s[18:19], 3
	s_mov_b32 s17, 0
	v_add_co_u32 v2, vcc_lo, s8, v2
	v_add_co_ci_u32_e32 v3, vcc_lo, s9, v3, vcc_lo
	v_add_co_u32 v4, vcc_lo, s2, v4
	v_add_co_ci_u32_e32 v5, vcc_lo, s3, v5, vcc_lo
	.p2align	6
.LBB61_4:                               ; =>This Inner Loop Header: Depth=1
	global_load_b64 v[6:7], v[4:5], off
	global_load_b64 v[8:9], v[2:3], off
	v_add_nc_u32_e32 v0, s10, v0
	s_delay_alu instid0(VALU_DEP_1)
	v_cmp_le_i32_e32 vcc_lo, s16, v0
	s_or_b32 s17, vcc_lo, s17
	s_waitcnt vmcnt(1)
	v_mul_f64 v[10:11], v[6:7], s[6:7]
	s_waitcnt vmcnt(0)
	v_mul_f64 v[12:13], v[8:9], s[6:7]
	s_delay_alu instid0(VALU_DEP_2) | instskip(NEXT) | instid1(VALU_DEP_2)
	v_fma_f64 v[8:9], v[8:9], s[4:5], -v[10:11]
	v_fma_f64 v[6:7], v[6:7], s[4:5], v[12:13]
	global_store_b64 v[2:3], v[8:9], off
	global_store_b64 v[4:5], v[6:7], off
	v_add_co_u32 v2, s1, v2, s12
	s_delay_alu instid0(VALU_DEP_1) | instskip(SKIP_1) | instid1(VALU_DEP_1)
	v_add_co_ci_u32_e64 v3, s1, s13, v3, s1
	v_add_co_u32 v4, s1, v4, s14
	v_add_co_ci_u32_e64 v5, s1, s15, v5, s1
	s_and_not1_b32 exec_lo, exec_lo, s17
	s_cbranch_execnz .LBB61_4
.LBB61_5:
	s_or_b32 exec_lo, exec_lo, s11
	s_mov_b32 s1, 0
.LBB61_6:
	s_delay_alu instid0(SALU_CYCLE_1)
	s_and_not1_b32 vcc_lo, exec_lo, s1
	s_cbranch_vccnz .LBB61_10
; %bb.7:
	s_and_saveexec_b32 s1, s0
	s_cbranch_execz .LBB61_10
; %bb.8:
	v_ashrrev_i32_e32 v2, 31, v1
	s_ashr_i32 s11, s10, 31
	s_mov_b32 s1, 0
	s_lshl_b64 s[12:13], s[10:11], 3
	s_delay_alu instid0(VALU_DEP_1)
	v_lshlrev_b64 v[2:3], 3, v[1:2]
	.p2align	6
.LBB61_9:                               ; =>This Inner Loop Header: Depth=1
	s_delay_alu instid0(VALU_DEP_1) | instskip(NEXT) | instid1(VALU_DEP_2)
	v_add_co_u32 v4, vcc_lo, s2, v2
	v_add_co_ci_u32_e32 v5, vcc_lo, s3, v3, vcc_lo
	v_add_co_u32 v6, vcc_lo, s8, v2
	v_add_co_ci_u32_e32 v7, vcc_lo, s9, v3, vcc_lo
	v_add_nc_u32_e32 v1, s10, v1
	global_load_b64 v[8:9], v[4:5], off
	global_load_b64 v[10:11], v[6:7], off
	v_add_co_u32 v2, s0, v2, s12
	v_cmp_le_i32_e32 vcc_lo, s16, v1
	v_add_co_ci_u32_e64 v3, s0, s13, v3, s0
	s_or_b32 s1, vcc_lo, s1
	s_waitcnt vmcnt(1)
	v_mul_f64 v[12:13], v[8:9], s[6:7]
	s_waitcnt vmcnt(0)
	v_mul_f64 v[14:15], v[10:11], s[6:7]
	s_delay_alu instid0(VALU_DEP_2) | instskip(NEXT) | instid1(VALU_DEP_2)
	v_fma_f64 v[10:11], v[10:11], s[4:5], -v[12:13]
	v_fma_f64 v[8:9], v[8:9], s[4:5], v[14:15]
	global_store_b64 v[6:7], v[10:11], off
	global_store_b64 v[4:5], v[8:9], off
	s_and_not1_b32 exec_lo, exec_lo, s1
	s_cbranch_execnz .LBB61_9
.LBB61_10:
	s_nop 0
	s_sendmsg sendmsg(MSG_DEALLOC_VGPRS)
	s_endpgm
	.section	.rodata,"a",@progbits
	.p2align	6, 0x0
	.amdhsa_kernel _ZN9rocsolver6v33100L10rot_kernelIddiEEvT1_PT0_S2_S4_S2_T_S5_
		.amdhsa_group_segment_fixed_size 0
		.amdhsa_private_segment_fixed_size 0
		.amdhsa_kernarg_size 312
		.amdhsa_user_sgpr_count 15
		.amdhsa_user_sgpr_dispatch_ptr 0
		.amdhsa_user_sgpr_queue_ptr 0
		.amdhsa_user_sgpr_kernarg_segment_ptr 1
		.amdhsa_user_sgpr_dispatch_id 0
		.amdhsa_user_sgpr_private_segment_size 0
		.amdhsa_wavefront_size32 1
		.amdhsa_uses_dynamic_stack 0
		.amdhsa_enable_private_segment 0
		.amdhsa_system_sgpr_workgroup_id_x 1
		.amdhsa_system_sgpr_workgroup_id_y 0
		.amdhsa_system_sgpr_workgroup_id_z 0
		.amdhsa_system_sgpr_workgroup_info 0
		.amdhsa_system_vgpr_workitem_id 0
		.amdhsa_next_free_vgpr 16
		.amdhsa_next_free_sgpr 20
		.amdhsa_reserve_vcc 1
		.amdhsa_float_round_mode_32 0
		.amdhsa_float_round_mode_16_64 0
		.amdhsa_float_denorm_mode_32 3
		.amdhsa_float_denorm_mode_16_64 3
		.amdhsa_dx10_clamp 1
		.amdhsa_ieee_mode 1
		.amdhsa_fp16_overflow 0
		.amdhsa_workgroup_processor_mode 1
		.amdhsa_memory_ordered 1
		.amdhsa_forward_progress 0
		.amdhsa_shared_vgpr_count 0
		.amdhsa_exception_fp_ieee_invalid_op 0
		.amdhsa_exception_fp_denorm_src 0
		.amdhsa_exception_fp_ieee_div_zero 0
		.amdhsa_exception_fp_ieee_overflow 0
		.amdhsa_exception_fp_ieee_underflow 0
		.amdhsa_exception_fp_ieee_inexact 0
		.amdhsa_exception_int_div_zero 0
	.end_amdhsa_kernel
	.section	.text._ZN9rocsolver6v33100L10rot_kernelIddiEEvT1_PT0_S2_S4_S2_T_S5_,"axG",@progbits,_ZN9rocsolver6v33100L10rot_kernelIddiEEvT1_PT0_S2_S4_S2_T_S5_,comdat
.Lfunc_end61:
	.size	_ZN9rocsolver6v33100L10rot_kernelIddiEEvT1_PT0_S2_S4_S2_T_S5_, .Lfunc_end61-_ZN9rocsolver6v33100L10rot_kernelIddiEEvT1_PT0_S2_S4_S2_T_S5_
                                        ; -- End function
	.section	.AMDGPU.csdata,"",@progbits
; Kernel info:
; codeLenInByte = 596
; NumSgprs: 22
; NumVgprs: 16
; ScratchSize: 0
; MemoryBound: 0
; FloatMode: 240
; IeeeMode: 1
; LDSByteSize: 0 bytes/workgroup (compile time only)
; SGPRBlocks: 2
; VGPRBlocks: 1
; NumSGPRsForWavesPerEU: 22
; NumVGPRsForWavesPerEU: 16
; Occupancy: 16
; WaveLimiterHint : 0
; COMPUTE_PGM_RSRC2:SCRATCH_EN: 0
; COMPUTE_PGM_RSRC2:USER_SGPR: 15
; COMPUTE_PGM_RSRC2:TRAP_HANDLER: 0
; COMPUTE_PGM_RSRC2:TGID_X_EN: 1
; COMPUTE_PGM_RSRC2:TGID_Y_EN: 0
; COMPUTE_PGM_RSRC2:TGID_Z_EN: 0
; COMPUTE_PGM_RSRC2:TIDIG_COMP_CNT: 0
	.section	.text._ZN9rocsolver6v33100L11lasr_kernelIddPdiEEv13rocblas_side_14rocblas_pivot_15rocblas_direct_T2_S6_PT0_lS8_lT1_lS6_lS6_,"axG",@progbits,_ZN9rocsolver6v33100L11lasr_kernelIddPdiEEv13rocblas_side_14rocblas_pivot_15rocblas_direct_T2_S6_PT0_lS8_lT1_lS6_lS6_,comdat
	.globl	_ZN9rocsolver6v33100L11lasr_kernelIddPdiEEv13rocblas_side_14rocblas_pivot_15rocblas_direct_T2_S6_PT0_lS8_lT1_lS6_lS6_ ; -- Begin function _ZN9rocsolver6v33100L11lasr_kernelIddPdiEEv13rocblas_side_14rocblas_pivot_15rocblas_direct_T2_S6_PT0_lS8_lT1_lS6_lS6_
	.p2align	8
	.type	_ZN9rocsolver6v33100L11lasr_kernelIddPdiEEv13rocblas_side_14rocblas_pivot_15rocblas_direct_T2_S6_PT0_lS8_lT1_lS6_lS6_,@function
_ZN9rocsolver6v33100L11lasr_kernelIddPdiEEv13rocblas_side_14rocblas_pivot_15rocblas_direct_T2_S6_PT0_lS8_lT1_lS6_lS6_: ; @_ZN9rocsolver6v33100L11lasr_kernelIddPdiEEv13rocblas_side_14rocblas_pivot_15rocblas_direct_T2_S6_PT0_lS8_lT1_lS6_lS6_
; %bb.0:
	s_load_b32 s33, s[0:1], 0x58
	s_waitcnt lgkmcnt(0)
	s_cmp_ge_u32 s15, s33
	s_cbranch_scc1 .LBB62_98
; %bb.1:
	s_clause 0x5
	s_load_b32 s12, s[0:1], 0x48
	s_load_b128 s[20:23], s[0:1], 0x38
	s_load_b64 s[24:25], s[0:1], 0x68
	s_load_b128 s[16:19], s[0:1], 0x0
	s_load_b32 s52, s[0:1], 0x10
	s_load_b32 s28, s[0:1], 0x60
	s_mov_b32 s43, 0
	v_mov_b32_e32 v34, 0
	s_mov_b32 s45, s43
	s_waitcnt lgkmcnt(0)
	s_ashr_i32 s13, s12, 31
	s_lshl_b64 s[2:3], s[22:23], 3
	s_and_b32 s26, s25, 0xffff
	s_add_u32 s25, s20, s2
	s_addc_u32 s53, s21, s3
	s_cmpk_lg_i32 s16, 0x8d
	v_mad_u64_u32 v[1:2], null, s14, s26, v[0:1]
	s_cselect_b32 s27, -1, 0
	s_cmpk_lg_i32 s16, 0x8e
	s_mov_b32 s22, s19
	s_cselect_b32 s30, -1, 0
	s_cmpk_lg_i32 s17, 0x119
	s_cselect_b32 s29, -1, 0
	s_cmpk_lg_i32 s17, 0x11b
	v_mad_i64_i32 v[2:3], null, s12, v1, 0
	s_cselect_b32 s31, -1, 0
	s_cmpk_lg_i32 s17, 0x11a
	s_load_b64 s[16:17], s[0:1], 0x50
	s_cselect_b32 s34, -1, 0
	s_cmpk_lg_i32 s18, 0xab
	s_mul_i32 s26, s28, s26
	s_cselect_b32 s35, -1, 0
	s_or_b32 s36, s27, s29
	s_ashr_i32 s23, s19, 31
	s_or_b32 s4, s36, s35
	s_add_i32 s42, s19, -2
	s_xor_b32 s14, s4, -1
	s_cmpk_lg_i32 s18, 0xac
	s_load_b256 s[4:11], s[0:1], 0x18
	s_cselect_b32 s37, -1, 0
	v_lshlrev_b64 v[2:3], 3, v[2:3]
	s_or_b32 s0, s36, s37
	v_cmp_le_i32_e32 vcc_lo, s19, v1
	s_xor_b32 s18, s0, -1
	s_cmp_gt_i32 s19, 1
	v_cmp_gt_i32_e64 s0, s52, v1
	s_cselect_b32 s54, -1, 0
	s_or_b32 s1, s27, s34
	s_or_b32 s27, s27, s31
	;; [unrolled: 1-line block ×9, first 2 shown]
	s_xor_b32 s55, s29, -1
	s_xor_b32 s56, s1, -1
	s_xor_b32 s57, s36, -1
	s_xor_b32 s58, s27, -1
	s_xor_b32 s59, s38, -1
	s_add_i32 s60, s52, -1
	s_xor_b32 s61, s28, -1
	s_add_i32 s44, s52, -2
	s_cmp_gt_i32 s52, 1
	s_mul_i32 s36, s12, s26
	s_cselect_b32 s62, -1, 0
	s_or_b32 s27, s30, s34
	s_lshl_b64 s[38:39], s[42:43], 3
	s_or_b32 s34, s27, s35
	s_or_b32 s27, s27, s37
	s_xor_b32 s63, s34, -1
	s_xor_b32 s64, s27, -1
	s_or_b32 s27, s30, s31
	s_or_b32 s30, s37, vcc_lo
	v_add_co_u32 v4, vcc_lo, v2, s2
	v_add_co_ci_u32_e32 v3, vcc_lo, s3, v3, vcc_lo
	s_or_b32 s31, s27, s35
	s_or_b32 s27, s27, s30
	s_mul_hi_i32 s37, s12, s26
	v_add_co_u32 v0, vcc_lo, s20, v4
	s_xor_b32 s65, s31, -1
	s_xor_b32 s66, s27, -1
	s_add_i32 s30, s19, -1
	s_waitcnt lgkmcnt(0)
	s_lshl_b64 s[34:35], s[16:17], 3
	s_ashr_i32 s27, s26, 31
	s_lshl_b64 s[36:37], s[36:37], 3
	s_lshl_b64 s[6:7], s[6:7], 3
	;; [unrolled: 1-line block ×3, first 2 shown]
	v_add_co_ci_u32_e32 v17, vcc_lo, s21, v3, vcc_lo
	s_add_u32 s67, s4, s38
	s_addc_u32 s68, s5, s39
	s_add_u32 s69, s8, s38
	v_add_co_u32 v18, vcc_lo, v0, 8
	s_addc_u32 s70, s9, s39
	s_add_u32 s31, s20, s38
	v_add_co_ci_u32_e32 v19, vcc_lo, 0, v17, vcc_lo
	s_addc_u32 s38, s21, s39
	v_add_co_u32 v20, vcc_lo, s31, v4
	v_add_co_ci_u32_e32 v21, vcc_lo, s38, v3, vcc_lo
	s_mov_b32 s31, s43
	s_mul_i32 s28, s12, s60
	s_lshl_b64 s[38:39], s[30:31], 3
	v_add_co_u32 v22, vcc_lo, v20, 8
	s_add_i32 s31, s19, 1
	s_mul_i32 s40, s13, s60
	s_mul_hi_u32 s41, s12, s60
	s_add_u32 s38, s20, s38
	v_add_co_ci_u32_e32 v23, vcc_lo, 0, v21, vcc_lo
	s_addc_u32 s39, s21, s39
	s_add_i32 s41, s41, s40
	s_mov_b32 s40, s28
	v_add_co_u32 v24, vcc_lo, s38, v4
	s_lshl_b64 s[46:47], s[40:41], 3
	v_add_co_ci_u32_e32 v25, vcc_lo, s39, v3, vcc_lo
	s_lshl_b64 s[38:39], s[12:13], 3
	s_lshl_b64 s[40:41], s[26:27], 3
	s_add_u32 s27, s46, s2
	v_ashrrev_i32_e32 v2, 31, v1
	s_addc_u32 s42, s47, s3
	s_add_u32 s46, s20, s27
	s_addc_u32 s47, s21, s42
	s_lshl_b64 s[42:43], s[44:45], 3
	v_lshlrev_b64 v[2:3], 3, v[1:2]
	s_add_u32 s27, s4, s42
	s_addc_u32 s71, s5, s43
	s_add_u32 s72, s8, s42
	s_mul_i32 s42, s13, s44
	s_mul_hi_u32 s45, s12, s44
	s_addc_u32 s13, s9, s43
	s_add_i32 s43, s45, s42
	s_mul_i32 s42, s12, s44
	v_add_co_u32 v26, vcc_lo, s25, v2
	s_lshl_b64 s[42:43], s[42:43], 3
	v_add_co_ci_u32_e32 v27, vcc_lo, s53, v3, vcc_lo
	s_add_u32 s42, s42, s2
	s_addc_u32 s43, s43, s3
	v_add_co_u32 v28, vcc_lo, s46, v2
	s_add_u32 s42, s20, s42
	s_addc_u32 s43, s21, s43
	v_add_co_ci_u32_e32 v29, vcc_lo, s47, v3, vcc_lo
	s_add_u32 s2, s2, s38
	v_add_co_u32 v30, vcc_lo, s42, v2
	s_addc_u32 s3, s3, s39
	s_add_u32 s2, s20, s2
	v_add_co_ci_u32_e32 v31, vcc_lo, s43, v3, vcc_lo
	s_addc_u32 s3, s21, s3
	v_add_co_u32 v32, vcc_lo, s2, v2
	v_cmp_gt_i32_e64 s1, s19, v1
	v_add_co_ci_u32_e32 v33, vcc_lo, s3, v3, vcc_lo
	s_add_i32 s73, s52, 1
	s_sub_u32 s74, 0, s38
	s_mul_hi_i32 s29, s12, s60
	s_subb_u32 s75, 0, s39
	s_branch .LBB62_4
.LBB62_2:                               ;   in Loop: Header=BB62_4 Depth=1
	s_or_b32 exec_lo, exec_lo, s42
.LBB62_3:                               ;   in Loop: Header=BB62_4 Depth=1
	s_add_i32 s15, s15, s24
	s_delay_alu instid0(SALU_CYCLE_1)
	s_cmp_ge_u32 s15, s33
	s_cbranch_scc1 .LBB62_98
.LBB62_4:                               ; =>This Loop Header: Depth=1
                                        ;     Child Loop BB62_8 Depth 2
                                        ;       Child Loop BB62_9 Depth 3
                                        ;     Child Loop BB62_16 Depth 2
                                        ;       Child Loop BB62_17 Depth 3
                                        ;     Child Loop BB62_24 Depth 2
                                        ;       Child Loop BB62_25 Depth 3
                                        ;     Child Loop BB62_32 Depth 2
                                        ;       Child Loop BB62_33 Depth 3
                                        ;     Child Loop BB62_40 Depth 2
                                        ;       Child Loop BB62_41 Depth 3
                                        ;     Child Loop BB62_48 Depth 2
                                        ;       Child Loop BB62_49 Depth 3
                                        ;     Child Loop BB62_56 Depth 2
                                        ;       Child Loop BB62_57 Depth 3
                                        ;     Child Loop BB62_64 Depth 2
                                        ;       Child Loop BB62_66 Depth 3
                                        ;     Child Loop BB62_73 Depth 2
                                        ;       Child Loop BB62_74 Depth 3
                                        ;     Child Loop BB62_81 Depth 2
                                        ;       Child Loop BB62_82 Depth 3
                                        ;     Child Loop BB62_89 Depth 2
                                        ;       Child Loop BB62_90 Depth 3
                                        ;     Child Loop BB62_96 Depth 2
                                        ;       Child Loop BB62_97 Depth 3
	s_mul_i32 s2, s7, s15
	s_mul_hi_u32 s3, s6, s15
	s_mul_i32 s80, s6, s15
	s_add_i32 s51, s3, s2
	s_mul_i32 s2, s11, s15
	s_mul_hi_u32 s3, s10, s15
	s_mul_i32 s81, s10, s15
	s_add_i32 s50, s3, s2
	;; [unrolled: 4-line block ×3, first 2 shown]
	s_add_u32 s20, s4, s80
	s_addc_u32 s21, s5, s51
	s_mul_i32 s2, s15, s17
	s_mul_hi_u32 s3, s15, s16
	s_add_u32 s42, s8, s81
	s_addc_u32 s43, s9, s50
	s_add_i32 s3, s3, s2
	s_mul_i32 s2, s15, s16
	v_add_co_u32 v2, vcc_lo, v18, s79
	s_lshl_b64 s[2:3], s[2:3], 3
	v_add_co_ci_u32_e32 v3, vcc_lo, s78, v19, vcc_lo
	s_add_u32 s76, s25, s2
	s_addc_u32 s77, s53, s3
	s_and_not1_b32 vcc_lo, exec_lo, s14
	s_mov_b32 s2, -1
	s_cbranch_vccnz .LBB62_11
; %bb.5:                                ;   in Loop: Header=BB62_4 Depth=1
	s_and_saveexec_b32 s46, s0
	s_cbranch_execz .LBB62_10
; %bb.6:                                ;   in Loop: Header=BB62_4 Depth=1
	s_lshl_b64 s[2:3], s[22:23], 3
	v_dual_mov_b32 v5, v3 :: v_dual_mov_b32 v4, v2
	s_add_u32 s2, s76, s2
	v_mov_b32_e32 v12, v1
	s_addc_u32 s3, s77, s3
	s_add_u32 s47, s2, -8
	s_addc_u32 s48, s3, -1
	s_mov_b32 s49, 0
	s_branch .LBB62_8
.LBB62_7:                               ;   in Loop: Header=BB62_8 Depth=2
	v_add_nc_u32_e32 v12, s26, v12
	v_add_co_u32 v8, vcc_lo, s47, v8
	v_add_co_ci_u32_e32 v9, vcc_lo, s48, v9, vcc_lo
	s_delay_alu instid0(VALU_DEP_3) | instskip(SKIP_1) | instid1(VALU_DEP_1)
	v_cmp_le_i32_e32 vcc_lo, s52, v12
	v_add_co_u32 v4, s2, v4, s36
	v_add_co_ci_u32_e64 v5, s2, s37, v5, s2
	s_or_b32 s49, vcc_lo, s49
	s_waitcnt vmcnt(0)
	global_store_b64 v[8:9], v[6:7], off
	s_and_not1_b32 exec_lo, exec_lo, s49
	s_cbranch_execz .LBB62_10
.LBB62_8:                               ;   Parent Loop BB62_4 Depth=1
                                        ; =>  This Loop Header: Depth=2
                                        ;       Child Loop BB62_9 Depth 3
	v_mad_i64_i32 v[6:7], null, v12, s12, 0
	v_dual_mov_b32 v11, v5 :: v_dual_mov_b32 v10, v4
	s_mov_b64 s[2:3], s[42:43]
	s_mov_b64 s[44:45], s[20:21]
	s_mov_b32 s82, s30
	s_delay_alu instid0(VALU_DEP_2) | instskip(NEXT) | instid1(VALU_DEP_1)
	v_lshlrev_b64 v[8:9], 3, v[6:7]
	v_add_co_u32 v6, vcc_lo, s76, v8
	s_delay_alu instid0(VALU_DEP_2)
	v_add_co_ci_u32_e32 v7, vcc_lo, s77, v9, vcc_lo
	s_and_not1_b32 vcc_lo, exec_lo, s54
	global_load_b64 v[6:7], v[6:7], off
	s_cbranch_vccnz .LBB62_7
	.p2align	6
.LBB62_9:                               ;   Parent Loop BB62_4 Depth=1
                                        ;     Parent Loop BB62_8 Depth=2
                                        ; =>    This Inner Loop Header: Depth=3
	global_load_b64 v[13:14], v34, s[2:3]
	global_load_b64 v[15:16], v[10:11], off
	global_load_b64 v[35:36], v34, s[44:45]
	s_add_i32 s82, s82, -1
	s_add_u32 s44, s44, 8
	s_addc_u32 s45, s45, 0
	s_add_u32 s2, s2, 8
	s_addc_u32 s3, s3, 0
	s_cmp_eq_u32 s82, 0
	s_waitcnt vmcnt(1)
	v_mul_f64 v[37:38], v[13:14], v[15:16]
	v_mul_f64 v[13:14], v[6:7], v[13:14]
	s_waitcnt vmcnt(0)
	s_delay_alu instid0(VALU_DEP_2) | instskip(NEXT) | instid1(VALU_DEP_2)
	v_fma_f64 v[37:38], v[6:7], v[35:36], v[37:38]
	v_fma_f64 v[6:7], v[35:36], v[15:16], -v[13:14]
	global_store_b64 v[10:11], v[37:38], off offset:-8
	v_add_co_u32 v10, vcc_lo, v10, 8
	v_add_co_ci_u32_e32 v11, vcc_lo, 0, v11, vcc_lo
	s_cbranch_scc0 .LBB62_9
	s_branch .LBB62_7
.LBB62_10:                              ;   in Loop: Header=BB62_4 Depth=1
	s_or_b32 exec_lo, exec_lo, s46
	s_mov_b32 s2, 0
.LBB62_11:                              ;   in Loop: Header=BB62_4 Depth=1
	s_delay_alu instid0(SALU_CYCLE_1)
	s_and_not1_b32 vcc_lo, exec_lo, s2
	s_cbranch_vccnz .LBB62_3
; %bb.12:                               ;   in Loop: Header=BB62_4 Depth=1
	s_add_u32 s44, s67, s80
	s_addc_u32 s45, s68, s51
	s_add_u32 s46, s69, s81
	s_addc_u32 s47, s70, s50
	s_and_not1_b32 vcc_lo, exec_lo, s18
	s_mov_b32 s2, -1
	s_cbranch_vccnz .LBB62_19
; %bb.13:                               ;   in Loop: Header=BB62_4 Depth=1
	s_and_saveexec_b32 s82, s0
	s_cbranch_execz .LBB62_18
; %bb.14:                               ;   in Loop: Header=BB62_4 Depth=1
	s_lshl_b64 s[2:3], s[22:23], 3
	v_add_co_u32 v4, vcc_lo, v22, s79
	v_add_co_ci_u32_e32 v5, vcc_lo, s78, v23, vcc_lo
	s_add_u32 s2, s76, s2
	v_mov_b32_e32 v12, v1
	s_addc_u32 s3, s77, s3
	s_add_u32 s83, s2, -8
	s_addc_u32 s84, s3, -1
	s_mov_b32 s85, 0
	s_branch .LBB62_16
.LBB62_15:                              ;   in Loop: Header=BB62_16 Depth=2
	v_add_nc_u32_e32 v12, s26, v12
	v_add_co_u32 v8, vcc_lo, s76, v8
	v_add_co_ci_u32_e32 v9, vcc_lo, s77, v9, vcc_lo
	s_delay_alu instid0(VALU_DEP_3) | instskip(SKIP_1) | instid1(VALU_DEP_1)
	v_cmp_le_i32_e32 vcc_lo, s52, v12
	v_add_co_u32 v4, s2, v4, s36
	v_add_co_ci_u32_e64 v5, s2, s37, v5, s2
	s_or_b32 s85, vcc_lo, s85
	s_waitcnt vmcnt(0)
	global_store_b64 v[8:9], v[6:7], off
	s_and_not1_b32 exec_lo, exec_lo, s85
	s_cbranch_execz .LBB62_18
.LBB62_16:                              ;   Parent Loop BB62_4 Depth=1
                                        ; =>  This Loop Header: Depth=2
                                        ;       Child Loop BB62_17 Depth 3
	v_mad_i64_i32 v[6:7], null, v12, s12, 0
	v_dual_mov_b32 v11, v5 :: v_dual_mov_b32 v10, v4
	s_mov_b64 s[2:3], s[46:47]
	s_mov_b64 s[48:49], s[44:45]
	s_mov_b32 s86, s30
	s_delay_alu instid0(VALU_DEP_2) | instskip(NEXT) | instid1(VALU_DEP_1)
	v_lshlrev_b64 v[8:9], 3, v[6:7]
	v_add_co_u32 v6, vcc_lo, s83, v8
	s_delay_alu instid0(VALU_DEP_2)
	v_add_co_ci_u32_e32 v7, vcc_lo, s84, v9, vcc_lo
	s_and_not1_b32 vcc_lo, exec_lo, s54
	global_load_b64 v[6:7], v[6:7], off
	s_cbranch_vccnz .LBB62_15
	.p2align	6
.LBB62_17:                              ;   Parent Loop BB62_4 Depth=1
                                        ;     Parent Loop BB62_16 Depth=2
                                        ; =>    This Inner Loop Header: Depth=3
	global_load_b64 v[13:14], v34, s[2:3]
	global_load_b64 v[15:16], v[10:11], off offset:-8
	global_load_b64 v[35:36], v34, s[48:49]
	s_add_i32 s86, s86, -1
	s_add_u32 s48, s48, -8
	s_addc_u32 s49, s49, -1
	s_add_u32 s2, s2, -8
	s_addc_u32 s3, s3, -1
	s_cmp_eq_u32 s86, 0
	s_waitcnt vmcnt(1)
	v_mul_f64 v[37:38], v[13:14], v[15:16]
	s_waitcnt vmcnt(0)
	v_mul_f64 v[15:16], v[35:36], v[15:16]
	s_delay_alu instid0(VALU_DEP_2) | instskip(NEXT) | instid1(VALU_DEP_2)
	v_fma_f64 v[35:36], v[6:7], v[35:36], -v[37:38]
	v_fma_f64 v[6:7], v[6:7], v[13:14], v[15:16]
	v_add_co_u32 v13, vcc_lo, v10, -8
	v_add_co_ci_u32_e32 v14, vcc_lo, -1, v11, vcc_lo
	global_store_b64 v[10:11], v[35:36], off
	v_dual_mov_b32 v10, v13 :: v_dual_mov_b32 v11, v14
	s_cbranch_scc0 .LBB62_17
	s_branch .LBB62_15
.LBB62_18:                              ;   in Loop: Header=BB62_4 Depth=1
	s_or_b32 exec_lo, exec_lo, s82
	s_mov_b32 s2, 0
.LBB62_19:                              ;   in Loop: Header=BB62_4 Depth=1
	s_delay_alu instid0(SALU_CYCLE_1)
	s_and_not1_b32 vcc_lo, exec_lo, s2
	s_cbranch_vccnz .LBB62_3
; %bb.20:                               ;   in Loop: Header=BB62_4 Depth=1
	s_and_not1_b32 vcc_lo, exec_lo, s55
	s_mov_b32 s2, -1
	s_cbranch_vccnz .LBB62_27
; %bb.21:                               ;   in Loop: Header=BB62_4 Depth=1
	s_and_saveexec_b32 s82, s0
	s_cbranch_execz .LBB62_26
; %bb.22:                               ;   in Loop: Header=BB62_4 Depth=1
	v_mov_b32_e32 v10, v1
	s_mov_b32 s83, 0
	s_branch .LBB62_24
.LBB62_23:                              ;   in Loop: Header=BB62_24 Depth=2
	v_add_nc_u32_e32 v10, s26, v10
	v_add_co_u32 v2, s2, v2, s36
	s_delay_alu instid0(VALU_DEP_1) | instskip(NEXT) | instid1(VALU_DEP_3)
	v_add_co_ci_u32_e64 v3, s2, s37, v3, s2
	v_cmp_le_i32_e32 vcc_lo, s52, v10
	s_waitcnt vmcnt(0)
	global_store_b64 v[4:5], v[6:7], off
	s_or_b32 s83, vcc_lo, s83
	s_delay_alu instid0(SALU_CYCLE_1)
	s_and_not1_b32 exec_lo, exec_lo, s83
	s_cbranch_execz .LBB62_26
.LBB62_24:                              ;   Parent Loop BB62_4 Depth=1
                                        ; =>  This Loop Header: Depth=2
                                        ;       Child Loop BB62_25 Depth 3
	s_delay_alu instid0(VALU_DEP_1) | instskip(SKIP_4) | instid1(VALU_DEP_2)
	v_mad_i64_i32 v[4:5], null, v10, s12, 0
	v_dual_mov_b32 v9, v3 :: v_dual_mov_b32 v8, v2
	s_mov_b32 s84, s30
	s_mov_b64 s[2:3], s[20:21]
	s_mov_b64 s[48:49], s[42:43]
	v_lshlrev_b64 v[4:5], 3, v[4:5]
	s_delay_alu instid0(VALU_DEP_1) | instskip(NEXT) | instid1(VALU_DEP_2)
	v_add_co_u32 v4, vcc_lo, s76, v4
	v_add_co_ci_u32_e32 v5, vcc_lo, s77, v5, vcc_lo
	s_and_not1_b32 vcc_lo, exec_lo, s54
	global_load_b64 v[6:7], v[4:5], off
	s_cbranch_vccnz .LBB62_23
	.p2align	6
.LBB62_25:                              ;   Parent Loop BB62_4 Depth=1
                                        ;     Parent Loop BB62_24 Depth=2
                                        ; =>    This Inner Loop Header: Depth=3
	s_clause 0x1
	global_load_b64 v[11:12], v34, s[48:49]
	global_load_b64 v[13:14], v34, s[2:3]
	global_load_b64 v[15:16], v[8:9], off
	s_add_u32 s48, s48, 8
	s_addc_u32 s49, s49, 0
	s_add_u32 s2, s2, 8
	s_addc_u32 s3, s3, 0
	s_add_i32 s84, s84, -1
	s_delay_alu instid0(SALU_CYCLE_1) | instskip(SKIP_4) | instid1(VALU_DEP_2)
	s_cmp_eq_u32 s84, 0
	s_waitcnt vmcnt(2)
	v_mul_f64 v[35:36], v[6:7], v[11:12]
	s_waitcnt vmcnt(0)
	v_mul_f64 v[11:12], v[11:12], v[15:16]
	v_fma_f64 v[15:16], v[13:14], v[15:16], -v[35:36]
	s_delay_alu instid0(VALU_DEP_2)
	v_fma_f64 v[6:7], v[6:7], v[13:14], v[11:12]
	global_store_b64 v[8:9], v[15:16], off
	v_add_co_u32 v8, vcc_lo, v8, 8
	v_add_co_ci_u32_e32 v9, vcc_lo, 0, v9, vcc_lo
	s_cbranch_scc0 .LBB62_25
	s_branch .LBB62_23
.LBB62_26:                              ;   in Loop: Header=BB62_4 Depth=1
	s_or_b32 exec_lo, exec_lo, s82
	s_mov_b32 s2, 0
.LBB62_27:                              ;   in Loop: Header=BB62_4 Depth=1
	s_delay_alu instid0(SALU_CYCLE_1)
	s_and_not1_b32 vcc_lo, exec_lo, s2
	s_cbranch_vccnz .LBB62_3
; %bb.28:                               ;   in Loop: Header=BB62_4 Depth=1
	s_and_not1_b32 vcc_lo, exec_lo, s56
	s_mov_b32 s2, -1
	s_cbranch_vccnz .LBB62_35
; %bb.29:                               ;   in Loop: Header=BB62_4 Depth=1
	s_and_saveexec_b32 s82, s0
	s_cbranch_execz .LBB62_34
; %bb.30:                               ;   in Loop: Header=BB62_4 Depth=1
	v_add_co_u32 v2, vcc_lo, v24, s79
	v_add_co_ci_u32_e32 v3, vcc_lo, s78, v25, vcc_lo
	v_mov_b32_e32 v10, v1
	s_mov_b32 s83, 0
	s_branch .LBB62_32
.LBB62_31:                              ;   in Loop: Header=BB62_32 Depth=2
	v_add_nc_u32_e32 v10, s26, v10
	v_add_co_u32 v2, s2, v2, s36
	s_delay_alu instid0(VALU_DEP_1) | instskip(NEXT) | instid1(VALU_DEP_3)
	v_add_co_ci_u32_e64 v3, s2, s37, v3, s2
	v_cmp_le_i32_e32 vcc_lo, s52, v10
	s_waitcnt vmcnt(0)
	global_store_b64 v[4:5], v[6:7], off
	s_or_b32 s83, vcc_lo, s83
	s_delay_alu instid0(SALU_CYCLE_1)
	s_and_not1_b32 exec_lo, exec_lo, s83
	s_cbranch_execz .LBB62_34
.LBB62_32:                              ;   Parent Loop BB62_4 Depth=1
                                        ; =>  This Loop Header: Depth=2
                                        ;       Child Loop BB62_33 Depth 3
	s_delay_alu instid0(VALU_DEP_1) | instskip(SKIP_4) | instid1(VALU_DEP_2)
	v_mad_i64_i32 v[4:5], null, v10, s12, 0
	v_dual_mov_b32 v9, v3 :: v_dual_mov_b32 v8, v2
	s_mov_b64 s[2:3], s[46:47]
	s_mov_b64 s[48:49], s[44:45]
	s_mov_b32 s84, s31
	v_lshlrev_b64 v[4:5], 3, v[4:5]
	s_delay_alu instid0(VALU_DEP_1) | instskip(NEXT) | instid1(VALU_DEP_2)
	v_add_co_u32 v4, vcc_lo, s76, v4
	v_add_co_ci_u32_e32 v5, vcc_lo, s77, v5, vcc_lo
	s_and_not1_b32 vcc_lo, exec_lo, s54
	global_load_b64 v[6:7], v[4:5], off
	s_cbranch_vccnz .LBB62_31
	.p2align	6
.LBB62_33:                              ;   Parent Loop BB62_4 Depth=1
                                        ;     Parent Loop BB62_32 Depth=2
                                        ; =>    This Inner Loop Header: Depth=3
	s_clause 0x1
	global_load_b64 v[11:12], v34, s[2:3]
	global_load_b64 v[13:14], v34, s[48:49]
	global_load_b64 v[15:16], v[8:9], off
	s_add_i32 s84, s84, -1
	s_add_u32 s48, s48, -8
	s_addc_u32 s49, s49, -1
	s_add_u32 s2, s2, -8
	s_addc_u32 s3, s3, -1
	s_cmp_lt_u32 s84, 3
	s_waitcnt vmcnt(2)
	v_mul_f64 v[35:36], v[6:7], v[11:12]
	s_waitcnt vmcnt(0)
	v_mul_f64 v[11:12], v[11:12], v[15:16]
	s_delay_alu instid0(VALU_DEP_2) | instskip(NEXT) | instid1(VALU_DEP_2)
	v_fma_f64 v[15:16], v[13:14], v[15:16], -v[35:36]
	v_fma_f64 v[6:7], v[6:7], v[13:14], v[11:12]
	global_store_b64 v[8:9], v[15:16], off
	v_add_co_u32 v8, vcc_lo, v8, -8
	v_add_co_ci_u32_e32 v9, vcc_lo, -1, v9, vcc_lo
	s_cbranch_scc0 .LBB62_33
	s_branch .LBB62_31
.LBB62_34:                              ;   in Loop: Header=BB62_4 Depth=1
	s_or_b32 exec_lo, exec_lo, s82
	s_mov_b32 s2, 0
.LBB62_35:                              ;   in Loop: Header=BB62_4 Depth=1
	s_delay_alu instid0(SALU_CYCLE_1)
	s_and_not1_b32 vcc_lo, exec_lo, s2
	s_cbranch_vccnz .LBB62_3
; %bb.36:                               ;   in Loop: Header=BB62_4 Depth=1
	s_and_not1_b32 vcc_lo, exec_lo, s57
	s_mov_b32 s2, -1
	s_cbranch_vccnz .LBB62_43
; %bb.37:                               ;   in Loop: Header=BB62_4 Depth=1
	s_and_saveexec_b32 s82, s0
	s_cbranch_execz .LBB62_42
; %bb.38:                               ;   in Loop: Header=BB62_4 Depth=1
	s_lshl_b64 s[2:3], s[22:23], 3
	v_add_co_u32 v2, vcc_lo, v0, s79
	v_add_co_ci_u32_e32 v3, vcc_lo, s78, v17, vcc_lo
	s_add_u32 s2, s76, s2
	v_mov_b32_e32 v10, v1
	s_addc_u32 s3, s77, s3
	s_add_u32 s83, s2, -8
	s_addc_u32 s84, s3, -1
	s_mov_b32 s85, 0
	s_branch .LBB62_40
.LBB62_39:                              ;   in Loop: Header=BB62_40 Depth=2
	v_add_nc_u32_e32 v10, s26, v10
	v_add_co_u32 v2, s2, v2, s36
	s_delay_alu instid0(VALU_DEP_1) | instskip(NEXT) | instid1(VALU_DEP_3)
	v_add_co_ci_u32_e64 v3, s2, s37, v3, s2
	v_cmp_le_i32_e32 vcc_lo, s52, v10
	s_waitcnt vmcnt(0)
	global_store_b64 v[4:5], v[6:7], off
	s_or_b32 s85, vcc_lo, s85
	s_delay_alu instid0(SALU_CYCLE_1)
	s_and_not1_b32 exec_lo, exec_lo, s85
	s_cbranch_execz .LBB62_42
.LBB62_40:                              ;   Parent Loop BB62_4 Depth=1
                                        ; =>  This Loop Header: Depth=2
                                        ;       Child Loop BB62_41 Depth 3
	v_mad_i64_i32 v[4:5], null, v10, s12, 0
	v_dual_mov_b32 v9, v3 :: v_dual_mov_b32 v8, v2
	s_mov_b64 s[2:3], s[42:43]
	s_mov_b64 s[48:49], s[20:21]
	s_mov_b32 s86, s30
	s_delay_alu instid0(VALU_DEP_2) | instskip(NEXT) | instid1(VALU_DEP_1)
	v_lshlrev_b64 v[4:5], 3, v[4:5]
	v_add_co_u32 v4, vcc_lo, s83, v4
	s_delay_alu instid0(VALU_DEP_2)
	v_add_co_ci_u32_e32 v5, vcc_lo, s84, v5, vcc_lo
	s_and_not1_b32 vcc_lo, exec_lo, s54
	global_load_b64 v[6:7], v[4:5], off
	s_cbranch_vccnz .LBB62_39
	.p2align	6
.LBB62_41:                              ;   Parent Loop BB62_4 Depth=1
                                        ;     Parent Loop BB62_40 Depth=2
                                        ; =>    This Inner Loop Header: Depth=3
	global_load_b64 v[11:12], v[8:9], off
	s_clause 0x1
	global_load_b64 v[13:14], v34, s[48:49]
	global_load_b64 v[15:16], v34, s[2:3]
	s_add_i32 s86, s86, -1
	s_add_u32 s48, s48, 8
	s_addc_u32 s49, s49, 0
	s_add_u32 s2, s2, 8
	s_addc_u32 s3, s3, 0
	s_cmp_eq_u32 s86, 0
	s_waitcnt vmcnt(1)
	v_mul_f64 v[35:36], v[13:14], v[11:12]
	s_waitcnt vmcnt(0)
	v_mul_f64 v[11:12], v[15:16], v[11:12]
	s_delay_alu instid0(VALU_DEP_2) | instskip(NEXT) | instid1(VALU_DEP_2)
	v_fma_f64 v[15:16], v[6:7], v[15:16], v[35:36]
	v_fma_f64 v[6:7], v[6:7], v[13:14], -v[11:12]
	global_store_b64 v[8:9], v[15:16], off
	v_add_co_u32 v8, vcc_lo, v8, 8
	v_add_co_ci_u32_e32 v9, vcc_lo, 0, v9, vcc_lo
	s_cbranch_scc0 .LBB62_41
	s_branch .LBB62_39
.LBB62_42:                              ;   in Loop: Header=BB62_4 Depth=1
	s_or_b32 exec_lo, exec_lo, s82
	s_mov_b32 s2, 0
.LBB62_43:                              ;   in Loop: Header=BB62_4 Depth=1
	s_delay_alu instid0(SALU_CYCLE_1)
	s_and_not1_b32 vcc_lo, exec_lo, s2
	s_cbranch_vccnz .LBB62_3
; %bb.44:                               ;   in Loop: Header=BB62_4 Depth=1
	s_and_not1_b32 vcc_lo, exec_lo, s58
	s_mov_b32 s2, -1
	s_cbranch_vccnz .LBB62_51
; %bb.45:                               ;   in Loop: Header=BB62_4 Depth=1
	s_and_saveexec_b32 s82, s0
	s_cbranch_execz .LBB62_50
; %bb.46:                               ;   in Loop: Header=BB62_4 Depth=1
	s_lshl_b64 s[2:3], s[22:23], 3
	v_add_co_u32 v2, vcc_lo, v20, s79
	v_add_co_ci_u32_e32 v3, vcc_lo, s78, v21, vcc_lo
	s_add_u32 s2, s76, s2
	v_mov_b32_e32 v10, v1
	s_addc_u32 s3, s77, s3
	s_add_u32 s83, s2, -8
	s_addc_u32 s84, s3, -1
	s_mov_b32 s85, 0
	s_branch .LBB62_48
.LBB62_47:                              ;   in Loop: Header=BB62_48 Depth=2
	v_add_nc_u32_e32 v10, s26, v10
	v_add_co_u32 v2, s2, v2, s36
	s_delay_alu instid0(VALU_DEP_1) | instskip(NEXT) | instid1(VALU_DEP_3)
	v_add_co_ci_u32_e64 v3, s2, s37, v3, s2
	v_cmp_le_i32_e32 vcc_lo, s52, v10
	s_waitcnt vmcnt(0)
	global_store_b64 v[4:5], v[6:7], off
	s_or_b32 s85, vcc_lo, s85
	s_delay_alu instid0(SALU_CYCLE_1)
	s_and_not1_b32 exec_lo, exec_lo, s85
	s_cbranch_execz .LBB62_50
.LBB62_48:                              ;   Parent Loop BB62_4 Depth=1
                                        ; =>  This Loop Header: Depth=2
                                        ;       Child Loop BB62_49 Depth 3
	v_mad_i64_i32 v[4:5], null, v10, s12, 0
	v_dual_mov_b32 v9, v3 :: v_dual_mov_b32 v8, v2
	s_mov_b64 s[2:3], s[46:47]
	s_mov_b64 s[48:49], s[44:45]
	s_mov_b32 s86, s30
	s_delay_alu instid0(VALU_DEP_2) | instskip(NEXT) | instid1(VALU_DEP_1)
	v_lshlrev_b64 v[4:5], 3, v[4:5]
	v_add_co_u32 v4, vcc_lo, s83, v4
	s_delay_alu instid0(VALU_DEP_2)
	v_add_co_ci_u32_e32 v5, vcc_lo, s84, v5, vcc_lo
	s_and_not1_b32 vcc_lo, exec_lo, s54
	global_load_b64 v[6:7], v[4:5], off
	s_cbranch_vccnz .LBB62_47
	.p2align	6
.LBB62_49:                              ;   Parent Loop BB62_4 Depth=1
                                        ;     Parent Loop BB62_48 Depth=2
                                        ; =>    This Inner Loop Header: Depth=3
	global_load_b64 v[11:12], v[8:9], off
	s_clause 0x1
	global_load_b64 v[13:14], v34, s[48:49]
	global_load_b64 v[15:16], v34, s[2:3]
	s_add_i32 s86, s86, -1
	s_add_u32 s48, s48, -8
	s_addc_u32 s49, s49, -1
	s_add_u32 s2, s2, -8
	s_addc_u32 s3, s3, -1
	s_cmp_eq_u32 s86, 0
	s_waitcnt vmcnt(1)
	v_mul_f64 v[35:36], v[13:14], v[11:12]
	s_waitcnt vmcnt(0)
	v_mul_f64 v[11:12], v[15:16], v[11:12]
	s_delay_alu instid0(VALU_DEP_2) | instskip(NEXT) | instid1(VALU_DEP_2)
	v_fma_f64 v[15:16], v[6:7], v[15:16], v[35:36]
	v_fma_f64 v[6:7], v[6:7], v[13:14], -v[11:12]
	global_store_b64 v[8:9], v[15:16], off
	v_add_co_u32 v8, vcc_lo, v8, -8
	v_add_co_ci_u32_e32 v9, vcc_lo, -1, v9, vcc_lo
	s_cbranch_scc0 .LBB62_49
	s_branch .LBB62_47
.LBB62_50:                              ;   in Loop: Header=BB62_4 Depth=1
	s_or_b32 exec_lo, exec_lo, s82
	s_mov_b32 s2, 0
.LBB62_51:                              ;   in Loop: Header=BB62_4 Depth=1
	s_delay_alu instid0(SALU_CYCLE_1)
	s_and_not1_b32 vcc_lo, exec_lo, s2
	s_cbranch_vccnz .LBB62_3
; %bb.52:                               ;   in Loop: Header=BB62_4 Depth=1
	v_add_co_u32 v2, vcc_lo, v26, s79
	v_add_co_ci_u32_e32 v3, vcc_lo, s78, v27, vcc_lo
	s_and_not1_b32 vcc_lo, exec_lo, s59
	s_mov_b32 s2, -1
	s_cbranch_vccnz .LBB62_59
; %bb.53:                               ;   in Loop: Header=BB62_4 Depth=1
	s_and_saveexec_b32 s46, s1
	s_cbranch_execz .LBB62_58
; %bb.54:                               ;   in Loop: Header=BB62_4 Depth=1
	s_lshl_b64 s[2:3], s[28:29], 3
	v_dual_mov_b32 v5, v3 :: v_dual_mov_b32 v4, v2
	v_mov_b32_e32 v6, v1
	s_add_u32 s47, s76, s2
	s_addc_u32 s48, s77, s3
	s_mov_b32 s49, 0
	s_branch .LBB62_56
.LBB62_55:                              ;   in Loop: Header=BB62_56 Depth=2
	v_add_nc_u32_e32 v6, s26, v6
	v_add_co_u32 v9, vcc_lo, s47, v9
	v_add_co_ci_u32_e32 v10, vcc_lo, s48, v10, vcc_lo
	s_delay_alu instid0(VALU_DEP_3) | instskip(SKIP_1) | instid1(VALU_DEP_1)
	v_cmp_le_i32_e32 vcc_lo, s19, v6
	v_add_co_u32 v4, s2, v4, s40
	v_add_co_ci_u32_e64 v5, s2, s41, v5, s2
	s_or_b32 s49, vcc_lo, s49
	s_waitcnt vmcnt(0)
	global_store_b64 v[9:10], v[7:8], off
	s_and_not1_b32 exec_lo, exec_lo, s49
	s_cbranch_execz .LBB62_58
.LBB62_56:                              ;   Parent Loop BB62_4 Depth=1
                                        ; =>  This Loop Header: Depth=2
                                        ;       Child Loop BB62_57 Depth 3
	v_ashrrev_i32_e32 v7, 31, v6
	v_dual_mov_b32 v12, v5 :: v_dual_mov_b32 v11, v4
	s_mov_b64 s[2:3], s[42:43]
	s_mov_b64 s[44:45], s[20:21]
	s_delay_alu instid0(VALU_DEP_2) | instskip(SKIP_1) | instid1(VALU_DEP_1)
	v_lshlrev_b64 v[9:10], 3, v[6:7]
	s_mov_b32 s82, s60
	v_add_co_u32 v7, vcc_lo, s76, v9
	s_delay_alu instid0(VALU_DEP_2)
	v_add_co_ci_u32_e32 v8, vcc_lo, s77, v10, vcc_lo
	s_and_not1_b32 vcc_lo, exec_lo, s62
	global_load_b64 v[7:8], v[7:8], off
	s_cbranch_vccnz .LBB62_55
	.p2align	6
.LBB62_57:                              ;   Parent Loop BB62_4 Depth=1
                                        ;     Parent Loop BB62_56 Depth=2
                                        ; =>    This Inner Loop Header: Depth=3
	s_delay_alu instid0(VALU_DEP_1) | instskip(NEXT) | instid1(VALU_DEP_2)
	v_add_co_u32 v13, vcc_lo, v11, s38
	v_add_co_ci_u32_e32 v14, vcc_lo, s39, v12, vcc_lo
	s_add_i32 s82, s82, -1
	global_load_b64 v[15:16], v34, s[2:3]
	global_load_b64 v[35:36], v[13:14], off
	global_load_b64 v[37:38], v34, s[44:45]
	s_add_u32 s44, s44, 8
	s_addc_u32 s45, s45, 0
	s_add_u32 s2, s2, 8
	s_addc_u32 s3, s3, 0
	s_cmp_eq_u32 s82, 0
	s_waitcnt vmcnt(1)
	v_mul_f64 v[39:40], v[15:16], v[35:36]
	v_mul_f64 v[15:16], v[7:8], v[15:16]
	s_waitcnt vmcnt(0)
	s_delay_alu instid0(VALU_DEP_2) | instskip(NEXT) | instid1(VALU_DEP_2)
	v_fma_f64 v[39:40], v[7:8], v[37:38], v[39:40]
	v_fma_f64 v[7:8], v[37:38], v[35:36], -v[15:16]
	global_store_b64 v[11:12], v[39:40], off
	v_dual_mov_b32 v11, v13 :: v_dual_mov_b32 v12, v14
	s_cbranch_scc0 .LBB62_57
	s_branch .LBB62_55
.LBB62_58:                              ;   in Loop: Header=BB62_4 Depth=1
	s_or_b32 exec_lo, exec_lo, s46
	s_mov_b32 s2, 0
.LBB62_59:                              ;   in Loop: Header=BB62_4 Depth=1
	s_delay_alu instid0(SALU_CYCLE_1)
	s_and_not1_b32 vcc_lo, exec_lo, s2
	s_cbranch_vccnz .LBB62_3
; %bb.60:                               ;   in Loop: Header=BB62_4 Depth=1
	v_add_co_u32 v4, vcc_lo, v30, s79
	v_add_co_ci_u32_e32 v5, vcc_lo, s78, v31, vcc_lo
	v_add_co_u32 v6, vcc_lo, v28, s79
	s_add_u32 s44, s27, s80
	v_add_co_ci_u32_e32 v7, vcc_lo, s78, v29, vcc_lo
	s_addc_u32 s45, s71, s51
	s_add_u32 s46, s72, s81
	s_addc_u32 s47, s13, s50
	s_and_not1_b32 vcc_lo, exec_lo, s61
	s_mov_b32 s2, -1
	s_cbranch_vccnz .LBB62_68
; %bb.61:                               ;   in Loop: Header=BB62_4 Depth=1
	s_and_saveexec_b32 s80, s1
	s_cbranch_execz .LBB62_67
; %bb.62:                               ;   in Loop: Header=BB62_4 Depth=1
	s_lshl_b64 s[2:3], s[28:29], 3
	v_dual_mov_b32 v9, v5 :: v_dual_mov_b32 v8, v4
	v_dual_mov_b32 v11, v7 :: v_dual_mov_b32 v10, v6
	v_mov_b32_e32 v12, v1
	s_add_u32 s81, s76, s2
	s_addc_u32 s82, s77, s3
	s_mov_b32 s83, 0
	s_branch .LBB62_64
.LBB62_63:                              ;   in Loop: Header=BB62_64 Depth=2
	v_add_co_u32 v15, vcc_lo, s76, v15
	v_add_nc_u32_e32 v12, s26, v12
	v_add_co_ci_u32_e32 v16, vcc_lo, s77, v16, vcc_lo
	v_add_co_u32 v10, vcc_lo, v10, s40
	v_add_co_ci_u32_e32 v11, vcc_lo, s41, v11, vcc_lo
	s_delay_alu instid0(VALU_DEP_4) | instskip(SKIP_1) | instid1(VALU_DEP_1)
	v_cmp_le_i32_e32 vcc_lo, s19, v12
	v_add_co_u32 v8, s2, v8, s40
	v_add_co_ci_u32_e64 v9, s2, s41, v9, s2
	s_or_b32 s83, vcc_lo, s83
	s_waitcnt vmcnt(0)
	global_store_b64 v[15:16], v[13:14], off
	s_and_not1_b32 exec_lo, exec_lo, s83
	s_cbranch_execz .LBB62_67
.LBB62_64:                              ;   Parent Loop BB62_4 Depth=1
                                        ; =>  This Loop Header: Depth=2
                                        ;       Child Loop BB62_66 Depth 3
	v_ashrrev_i32_e32 v13, 31, v12
	s_delay_alu instid0(VALU_DEP_1) | instskip(NEXT) | instid1(VALU_DEP_1)
	v_lshlrev_b64 v[15:16], 3, v[12:13]
	v_add_co_u32 v13, vcc_lo, s81, v15
	s_delay_alu instid0(VALU_DEP_2)
	v_add_co_ci_u32_e32 v14, vcc_lo, s82, v16, vcc_lo
	s_and_not1_b32 vcc_lo, exec_lo, s62
	global_load_b64 v[13:14], v[13:14], off
	s_cbranch_vccnz .LBB62_63
; %bb.65:                               ;   in Loop: Header=BB62_64 Depth=2
	s_mov_b64 s[2:3], 0
	s_mov_b64 s[48:49], s[46:47]
	;; [unrolled: 1-line block ×3, first 2 shown]
	s_mov_b32 s84, s60
	.p2align	6
.LBB62_66:                              ;   Parent Loop BB62_4 Depth=1
                                        ;     Parent Loop BB62_64 Depth=2
                                        ; =>    This Inner Loop Header: Depth=3
	v_add_co_u32 v35, vcc_lo, v8, s2
	v_add_co_ci_u32_e32 v36, vcc_lo, s3, v9, vcc_lo
	s_add_i32 s84, s84, -1
	s_clause 0x1
	global_load_b64 v[37:38], v34, s[50:51]
	global_load_b64 v[39:40], v34, s[48:49]
	global_load_b64 v[35:36], v[35:36], off
	s_waitcnt vmcnt(0)
	v_mul_f64 v[41:42], v[39:40], v[35:36]
	v_mul_f64 v[35:36], v[37:38], v[35:36]
	s_delay_alu instid0(VALU_DEP_2) | instskip(NEXT) | instid1(VALU_DEP_2)
	v_fma_f64 v[37:38], v[13:14], v[37:38], -v[41:42]
	v_fma_f64 v[13:14], v[13:14], v[39:40], v[35:36]
	v_add_co_u32 v35, vcc_lo, v10, s2
	s_sub_u32 s2, s2, s38
	v_add_co_ci_u32_e32 v36, vcc_lo, s3, v11, vcc_lo
	s_subb_u32 s3, s3, s39
	s_add_u32 s50, s50, -8
	s_addc_u32 s51, s51, -1
	s_add_u32 s48, s48, -8
	s_addc_u32 s49, s49, -1
	s_cmp_eq_u32 s84, 0
	global_store_b64 v[35:36], v[37:38], off
	s_cbranch_scc0 .LBB62_66
	s_branch .LBB62_63
.LBB62_67:                              ;   in Loop: Header=BB62_4 Depth=1
	s_or_b32 exec_lo, exec_lo, s80
	s_mov_b32 s2, 0
.LBB62_68:                              ;   in Loop: Header=BB62_4 Depth=1
	s_delay_alu instid0(SALU_CYCLE_1)
	s_and_not1_b32 vcc_lo, exec_lo, s2
	s_cbranch_vccnz .LBB62_3
; %bb.69:                               ;   in Loop: Header=BB62_4 Depth=1
	s_and_not1_b32 vcc_lo, exec_lo, s63
	s_mov_b32 s2, -1
	s_cbranch_vccnz .LBB62_76
; %bb.70:                               ;   in Loop: Header=BB62_4 Depth=1
	s_and_saveexec_b32 s50, s1
	s_cbranch_execz .LBB62_75
; %bb.71:                               ;   in Loop: Header=BB62_4 Depth=1
	v_add_co_u32 v8, vcc_lo, v32, s79
	v_add_co_ci_u32_e32 v9, vcc_lo, s78, v33, vcc_lo
	v_mov_b32_e32 v10, v1
	s_mov_b32 s51, 0
	s_branch .LBB62_73
.LBB62_72:                              ;   in Loop: Header=BB62_73 Depth=2
	v_add_nc_u32_e32 v10, s26, v10
	v_add_co_u32 v8, s2, v8, s40
	s_delay_alu instid0(VALU_DEP_1) | instskip(NEXT) | instid1(VALU_DEP_3)
	v_add_co_ci_u32_e64 v9, s2, s41, v9, s2
	v_cmp_le_i32_e32 vcc_lo, s19, v10
	s_waitcnt vmcnt(0)
	global_store_b64 v[11:12], v[13:14], off
	s_or_b32 s51, vcc_lo, s51
	s_delay_alu instid0(SALU_CYCLE_1)
	s_and_not1_b32 exec_lo, exec_lo, s51
	s_cbranch_execz .LBB62_75
.LBB62_73:                              ;   Parent Loop BB62_4 Depth=1
                                        ; =>  This Loop Header: Depth=2
                                        ;       Child Loop BB62_74 Depth 3
	s_delay_alu instid0(VALU_DEP_1) | instskip(SKIP_3) | instid1(VALU_DEP_2)
	v_ashrrev_i32_e32 v11, 31, v10
	v_dual_mov_b32 v16, v9 :: v_dual_mov_b32 v15, v8
	s_mov_b32 s78, s60
	s_mov_b64 s[2:3], s[20:21]
	v_lshlrev_b64 v[11:12], 3, v[10:11]
	s_mov_b64 s[48:49], s[42:43]
	s_delay_alu instid0(VALU_DEP_1) | instskip(NEXT) | instid1(VALU_DEP_2)
	v_add_co_u32 v11, vcc_lo, s76, v11
	v_add_co_ci_u32_e32 v12, vcc_lo, s77, v12, vcc_lo
	s_and_not1_b32 vcc_lo, exec_lo, s62
	global_load_b64 v[13:14], v[11:12], off
	s_cbranch_vccnz .LBB62_72
	.p2align	6
.LBB62_74:                              ;   Parent Loop BB62_4 Depth=1
                                        ;     Parent Loop BB62_73 Depth=2
                                        ; =>    This Inner Loop Header: Depth=3
	s_clause 0x1
	global_load_b64 v[35:36], v34, s[48:49]
	global_load_b64 v[37:38], v34, s[2:3]
	global_load_b64 v[39:40], v[15:16], off
	s_add_u32 s48, s48, 8
	s_addc_u32 s49, s49, 0
	s_add_u32 s2, s2, 8
	s_addc_u32 s3, s3, 0
	s_add_i32 s78, s78, -1
	s_delay_alu instid0(SALU_CYCLE_1) | instskip(SKIP_4) | instid1(VALU_DEP_2)
	s_cmp_eq_u32 s78, 0
	s_waitcnt vmcnt(2)
	v_mul_f64 v[41:42], v[13:14], v[35:36]
	s_waitcnt vmcnt(0)
	v_mul_f64 v[35:36], v[35:36], v[39:40]
	v_fma_f64 v[39:40], v[37:38], v[39:40], -v[41:42]
	s_delay_alu instid0(VALU_DEP_2)
	v_fma_f64 v[13:14], v[13:14], v[37:38], v[35:36]
	global_store_b64 v[15:16], v[39:40], off
	v_add_co_u32 v15, vcc_lo, v15, s38
	v_add_co_ci_u32_e32 v16, vcc_lo, s39, v16, vcc_lo
	s_cbranch_scc0 .LBB62_74
	s_branch .LBB62_72
.LBB62_75:                              ;   in Loop: Header=BB62_4 Depth=1
	s_or_b32 exec_lo, exec_lo, s50
	s_mov_b32 s2, 0
.LBB62_76:                              ;   in Loop: Header=BB62_4 Depth=1
	s_delay_alu instid0(SALU_CYCLE_1)
	s_and_not1_b32 vcc_lo, exec_lo, s2
	s_cbranch_vccnz .LBB62_3
; %bb.77:                               ;   in Loop: Header=BB62_4 Depth=1
	s_and_not1_b32 vcc_lo, exec_lo, s64
	s_mov_b32 s2, -1
	s_cbranch_vccnz .LBB62_84
; %bb.78:                               ;   in Loop: Header=BB62_4 Depth=1
	s_and_saveexec_b32 s50, s1
	s_cbranch_execz .LBB62_83
; %bb.79:                               ;   in Loop: Header=BB62_4 Depth=1
	v_mov_b32_e32 v8, v1
	s_mov_b32 s51, 0
	s_branch .LBB62_81
.LBB62_80:                              ;   in Loop: Header=BB62_81 Depth=2
	v_add_nc_u32_e32 v8, s26, v8
	v_add_co_u32 v6, s2, v6, s40
	s_delay_alu instid0(VALU_DEP_1) | instskip(NEXT) | instid1(VALU_DEP_3)
	v_add_co_ci_u32_e64 v7, s2, s41, v7, s2
	v_cmp_le_i32_e32 vcc_lo, s19, v8
	s_waitcnt vmcnt(0)
	global_store_b64 v[9:10], v[11:12], off
	s_or_b32 s51, vcc_lo, s51
	s_delay_alu instid0(SALU_CYCLE_1)
	s_and_not1_b32 exec_lo, exec_lo, s51
	s_cbranch_execz .LBB62_83
.LBB62_81:                              ;   Parent Loop BB62_4 Depth=1
                                        ; =>  This Loop Header: Depth=2
                                        ;       Child Loop BB62_82 Depth 3
	s_delay_alu instid0(VALU_DEP_1) | instskip(SKIP_3) | instid1(VALU_DEP_2)
	v_ashrrev_i32_e32 v9, 31, v8
	v_dual_mov_b32 v14, v7 :: v_dual_mov_b32 v13, v6
	s_mov_b64 s[2:3], s[46:47]
	s_mov_b64 s[48:49], s[44:45]
	v_lshlrev_b64 v[9:10], 3, v[8:9]
	s_mov_b32 s78, s73
	s_delay_alu instid0(VALU_DEP_1) | instskip(NEXT) | instid1(VALU_DEP_2)
	v_add_co_u32 v9, vcc_lo, s76, v9
	v_add_co_ci_u32_e32 v10, vcc_lo, s77, v10, vcc_lo
	s_and_not1_b32 vcc_lo, exec_lo, s62
	global_load_b64 v[11:12], v[9:10], off
	s_cbranch_vccnz .LBB62_80
	.p2align	6
.LBB62_82:                              ;   Parent Loop BB62_4 Depth=1
                                        ;     Parent Loop BB62_81 Depth=2
                                        ; =>    This Inner Loop Header: Depth=3
	s_clause 0x1
	global_load_b64 v[15:16], v34, s[2:3]
	global_load_b64 v[35:36], v34, s[48:49]
	global_load_b64 v[37:38], v[13:14], off
	s_add_i32 s78, s78, -1
	s_add_u32 s48, s48, -8
	s_addc_u32 s49, s49, -1
	s_add_u32 s2, s2, -8
	s_addc_u32 s3, s3, -1
	s_cmp_lt_u32 s78, 3
	s_waitcnt vmcnt(2)
	v_mul_f64 v[39:40], v[11:12], v[15:16]
	s_waitcnt vmcnt(0)
	v_mul_f64 v[15:16], v[15:16], v[37:38]
	s_delay_alu instid0(VALU_DEP_2) | instskip(NEXT) | instid1(VALU_DEP_2)
	v_fma_f64 v[37:38], v[35:36], v[37:38], -v[39:40]
	v_fma_f64 v[11:12], v[11:12], v[35:36], v[15:16]
	global_store_b64 v[13:14], v[37:38], off
	v_add_co_u32 v13, vcc_lo, v13, s74
	v_add_co_ci_u32_e32 v14, vcc_lo, s75, v14, vcc_lo
	s_cbranch_scc0 .LBB62_82
	s_branch .LBB62_80
.LBB62_83:                              ;   in Loop: Header=BB62_4 Depth=1
	s_or_b32 exec_lo, exec_lo, s50
	s_mov_b32 s2, 0
.LBB62_84:                              ;   in Loop: Header=BB62_4 Depth=1
	s_delay_alu instid0(SALU_CYCLE_1)
	s_and_not1_b32 vcc_lo, exec_lo, s2
	s_cbranch_vccnz .LBB62_3
; %bb.85:                               ;   in Loop: Header=BB62_4 Depth=1
	s_and_not1_b32 vcc_lo, exec_lo, s65
	s_mov_b32 s2, -1
	s_cbranch_vccnz .LBB62_92
; %bb.86:                               ;   in Loop: Header=BB62_4 Depth=1
	s_and_saveexec_b32 s50, s1
	s_cbranch_execz .LBB62_91
; %bb.87:                               ;   in Loop: Header=BB62_4 Depth=1
	s_lshl_b64 s[2:3], s[28:29], 3
	v_mov_b32_e32 v6, v1
	s_add_u32 s51, s76, s2
	s_addc_u32 s78, s77, s3
	s_mov_b32 s79, 0
	s_branch .LBB62_89
.LBB62_88:                              ;   in Loop: Header=BB62_89 Depth=2
	v_add_nc_u32_e32 v6, s26, v6
	v_add_co_u32 v2, s2, v2, s40
	s_delay_alu instid0(VALU_DEP_1) | instskip(NEXT) | instid1(VALU_DEP_3)
	v_add_co_ci_u32_e64 v3, s2, s41, v3, s2
	v_cmp_le_i32_e32 vcc_lo, s19, v6
	s_waitcnt vmcnt(0)
	global_store_b64 v[7:8], v[9:10], off
	s_or_b32 s79, vcc_lo, s79
	s_delay_alu instid0(SALU_CYCLE_1)
	s_and_not1_b32 exec_lo, exec_lo, s79
	s_cbranch_execz .LBB62_91
.LBB62_89:                              ;   Parent Loop BB62_4 Depth=1
                                        ; =>  This Loop Header: Depth=2
                                        ;       Child Loop BB62_90 Depth 3
	v_ashrrev_i32_e32 v7, 31, v6
	v_dual_mov_b32 v12, v3 :: v_dual_mov_b32 v11, v2
	s_mov_b64 s[2:3], s[42:43]
	s_mov_b64 s[48:49], s[20:21]
	s_delay_alu instid0(VALU_DEP_2) | instskip(SKIP_1) | instid1(VALU_DEP_1)
	v_lshlrev_b64 v[7:8], 3, v[6:7]
	s_mov_b32 s80, s60
	v_add_co_u32 v7, vcc_lo, s51, v7
	s_delay_alu instid0(VALU_DEP_2)
	v_add_co_ci_u32_e32 v8, vcc_lo, s78, v8, vcc_lo
	s_and_not1_b32 vcc_lo, exec_lo, s62
	global_load_b64 v[9:10], v[7:8], off
	s_cbranch_vccnz .LBB62_88
	.p2align	6
.LBB62_90:                              ;   Parent Loop BB62_4 Depth=1
                                        ;     Parent Loop BB62_89 Depth=2
                                        ; =>    This Inner Loop Header: Depth=3
	global_load_b64 v[13:14], v[11:12], off
	s_clause 0x1
	global_load_b64 v[15:16], v34, s[48:49]
	global_load_b64 v[35:36], v34, s[2:3]
	s_add_i32 s80, s80, -1
	s_add_u32 s48, s48, 8
	s_addc_u32 s49, s49, 0
	s_add_u32 s2, s2, 8
	s_addc_u32 s3, s3, 0
	s_cmp_eq_u32 s80, 0
	s_waitcnt vmcnt(1)
	v_mul_f64 v[37:38], v[15:16], v[13:14]
	s_waitcnt vmcnt(0)
	v_mul_f64 v[13:14], v[35:36], v[13:14]
	s_delay_alu instid0(VALU_DEP_2) | instskip(NEXT) | instid1(VALU_DEP_2)
	v_fma_f64 v[35:36], v[9:10], v[35:36], v[37:38]
	v_fma_f64 v[9:10], v[9:10], v[15:16], -v[13:14]
	global_store_b64 v[11:12], v[35:36], off
	v_add_co_u32 v11, vcc_lo, v11, s38
	v_add_co_ci_u32_e32 v12, vcc_lo, s39, v12, vcc_lo
	s_cbranch_scc0 .LBB62_90
	s_branch .LBB62_88
.LBB62_91:                              ;   in Loop: Header=BB62_4 Depth=1
	s_or_b32 exec_lo, exec_lo, s50
	s_mov_b32 s2, 0
.LBB62_92:                              ;   in Loop: Header=BB62_4 Depth=1
	s_delay_alu instid0(SALU_CYCLE_1)
	s_and_not1_b32 vcc_lo, exec_lo, s2
	s_cbranch_vccnz .LBB62_3
; %bb.93:                               ;   in Loop: Header=BB62_4 Depth=1
	s_and_saveexec_b32 s42, s66
	s_cbranch_execz .LBB62_2
; %bb.94:                               ;   in Loop: Header=BB62_4 Depth=1
	s_lshl_b64 s[2:3], s[28:29], 3
	v_mov_b32_e32 v2, v1
	s_add_u32 s43, s76, s2
	s_addc_u32 s48, s77, s3
	s_mov_b32 s49, 0
	s_branch .LBB62_96
.LBB62_95:                              ;   in Loop: Header=BB62_96 Depth=2
	v_add_nc_u32_e32 v2, s26, v2
	v_add_co_u32 v4, s2, v4, s40
	s_delay_alu instid0(VALU_DEP_1) | instskip(NEXT) | instid1(VALU_DEP_3)
	v_add_co_ci_u32_e64 v5, s2, s41, v5, s2
	v_cmp_le_i32_e32 vcc_lo, s19, v2
	s_waitcnt vmcnt(0)
	global_store_b64 v[6:7], v[8:9], off
	s_or_b32 s49, vcc_lo, s49
	s_delay_alu instid0(SALU_CYCLE_1)
	s_and_not1_b32 exec_lo, exec_lo, s49
	s_cbranch_execz .LBB62_2
.LBB62_96:                              ;   Parent Loop BB62_4 Depth=1
                                        ; =>  This Loop Header: Depth=2
                                        ;       Child Loop BB62_97 Depth 3
	v_ashrrev_i32_e32 v3, 31, v2
	v_dual_mov_b32 v11, v5 :: v_dual_mov_b32 v10, v4
	s_mov_b64 s[2:3], s[46:47]
	s_mov_b64 s[20:21], s[44:45]
	s_delay_alu instid0(VALU_DEP_2) | instskip(SKIP_1) | instid1(VALU_DEP_1)
	v_lshlrev_b64 v[6:7], 3, v[2:3]
	s_mov_b32 s50, s60
	v_add_co_u32 v6, vcc_lo, s43, v6
	s_delay_alu instid0(VALU_DEP_2)
	v_add_co_ci_u32_e32 v7, vcc_lo, s48, v7, vcc_lo
	s_and_not1_b32 vcc_lo, exec_lo, s62
	global_load_b64 v[8:9], v[6:7], off
	s_cbranch_vccnz .LBB62_95
	.p2align	6
.LBB62_97:                              ;   Parent Loop BB62_4 Depth=1
                                        ;     Parent Loop BB62_96 Depth=2
                                        ; =>    This Inner Loop Header: Depth=3
	global_load_b64 v[12:13], v[10:11], off
	s_clause 0x1
	global_load_b64 v[14:15], v34, s[20:21]
	global_load_b64 v[35:36], v34, s[2:3]
	s_add_i32 s50, s50, -1
	s_add_u32 s20, s20, -8
	s_addc_u32 s21, s21, -1
	s_add_u32 s2, s2, -8
	s_addc_u32 s3, s3, -1
	s_cmp_eq_u32 s50, 0
	s_waitcnt vmcnt(1)
	v_mul_f64 v[37:38], v[14:15], v[12:13]
	s_waitcnt vmcnt(0)
	v_mul_f64 v[12:13], v[35:36], v[12:13]
	s_delay_alu instid0(VALU_DEP_2) | instskip(NEXT) | instid1(VALU_DEP_2)
	v_fma_f64 v[35:36], v[8:9], v[35:36], v[37:38]
	v_fma_f64 v[8:9], v[8:9], v[14:15], -v[12:13]
	global_store_b64 v[10:11], v[35:36], off
	v_add_co_u32 v10, vcc_lo, v10, s74
	v_add_co_ci_u32_e32 v11, vcc_lo, s75, v11, vcc_lo
	s_cbranch_scc0 .LBB62_97
	s_branch .LBB62_95
.LBB62_98:
	s_nop 0
	s_sendmsg sendmsg(MSG_DEALLOC_VGPRS)
	s_endpgm
	.section	.rodata,"a",@progbits
	.p2align	6, 0x0
	.amdhsa_kernel _ZN9rocsolver6v33100L11lasr_kernelIddPdiEEv13rocblas_side_14rocblas_pivot_15rocblas_direct_T2_S6_PT0_lS8_lT1_lS6_lS6_
		.amdhsa_group_segment_fixed_size 0
		.amdhsa_private_segment_fixed_size 0
		.amdhsa_kernarg_size 352
		.amdhsa_user_sgpr_count 14
		.amdhsa_user_sgpr_dispatch_ptr 0
		.amdhsa_user_sgpr_queue_ptr 0
		.amdhsa_user_sgpr_kernarg_segment_ptr 1
		.amdhsa_user_sgpr_dispatch_id 0
		.amdhsa_user_sgpr_private_segment_size 0
		.amdhsa_wavefront_size32 1
		.amdhsa_uses_dynamic_stack 0
		.amdhsa_enable_private_segment 0
		.amdhsa_system_sgpr_workgroup_id_x 1
		.amdhsa_system_sgpr_workgroup_id_y 0
		.amdhsa_system_sgpr_workgroup_id_z 1
		.amdhsa_system_sgpr_workgroup_info 0
		.amdhsa_system_vgpr_workitem_id 0
		.amdhsa_next_free_vgpr 43
		.amdhsa_next_free_sgpr 87
		.amdhsa_reserve_vcc 1
		.amdhsa_float_round_mode_32 0
		.amdhsa_float_round_mode_16_64 0
		.amdhsa_float_denorm_mode_32 3
		.amdhsa_float_denorm_mode_16_64 3
		.amdhsa_dx10_clamp 1
		.amdhsa_ieee_mode 1
		.amdhsa_fp16_overflow 0
		.amdhsa_workgroup_processor_mode 1
		.amdhsa_memory_ordered 1
		.amdhsa_forward_progress 0
		.amdhsa_shared_vgpr_count 0
		.amdhsa_exception_fp_ieee_invalid_op 0
		.amdhsa_exception_fp_denorm_src 0
		.amdhsa_exception_fp_ieee_div_zero 0
		.amdhsa_exception_fp_ieee_overflow 0
		.amdhsa_exception_fp_ieee_underflow 0
		.amdhsa_exception_fp_ieee_inexact 0
		.amdhsa_exception_int_div_zero 0
	.end_amdhsa_kernel
	.section	.text._ZN9rocsolver6v33100L11lasr_kernelIddPdiEEv13rocblas_side_14rocblas_pivot_15rocblas_direct_T2_S6_PT0_lS8_lT1_lS6_lS6_,"axG",@progbits,_ZN9rocsolver6v33100L11lasr_kernelIddPdiEEv13rocblas_side_14rocblas_pivot_15rocblas_direct_T2_S6_PT0_lS8_lT1_lS6_lS6_,comdat
.Lfunc_end62:
	.size	_ZN9rocsolver6v33100L11lasr_kernelIddPdiEEv13rocblas_side_14rocblas_pivot_15rocblas_direct_T2_S6_PT0_lS8_lT1_lS6_lS6_, .Lfunc_end62-_ZN9rocsolver6v33100L11lasr_kernelIddPdiEEv13rocblas_side_14rocblas_pivot_15rocblas_direct_T2_S6_PT0_lS8_lT1_lS6_lS6_
                                        ; -- End function
	.section	.AMDGPU.csdata,"",@progbits
; Kernel info:
; codeLenInByte = 4836
; NumSgprs: 89
; NumVgprs: 43
; ScratchSize: 0
; MemoryBound: 0
; FloatMode: 240
; IeeeMode: 1
; LDSByteSize: 0 bytes/workgroup (compile time only)
; SGPRBlocks: 11
; VGPRBlocks: 5
; NumSGPRsForWavesPerEU: 89
; NumVGPRsForWavesPerEU: 43
; Occupancy: 16
; WaveLimiterHint : 0
; COMPUTE_PGM_RSRC2:SCRATCH_EN: 0
; COMPUTE_PGM_RSRC2:USER_SGPR: 14
; COMPUTE_PGM_RSRC2:TRAP_HANDLER: 0
; COMPUTE_PGM_RSRC2:TGID_X_EN: 1
; COMPUTE_PGM_RSRC2:TGID_Y_EN: 0
; COMPUTE_PGM_RSRC2:TGID_Z_EN: 1
; COMPUTE_PGM_RSRC2:TIDIG_COMP_CNT: 0
	.section	.text._ZN9rocsolver6v33100L11scal_kernelIddiEEvT1_T_PT0_S2_,"axG",@progbits,_ZN9rocsolver6v33100L11scal_kernelIddiEEvT1_T_PT0_S2_,comdat
	.globl	_ZN9rocsolver6v33100L11scal_kernelIddiEEvT1_T_PT0_S2_ ; -- Begin function _ZN9rocsolver6v33100L11scal_kernelIddiEEvT1_T_PT0_S2_
	.p2align	8
	.type	_ZN9rocsolver6v33100L11scal_kernelIddiEEvT1_T_PT0_S2_,@function
_ZN9rocsolver6v33100L11scal_kernelIddiEEvT1_T_PT0_S2_: ; @_ZN9rocsolver6v33100L11scal_kernelIddiEEvT1_T_PT0_S2_
; %bb.0:
	s_load_b32 s10, s[0:1], 0x0
	s_waitcnt lgkmcnt(0)
	s_cmp_lt_i32 s10, 1
	s_cbranch_scc1 .LBB63_10
; %bb.1:
	s_clause 0x3
	s_load_b32 s2, s[0:1], 0x2c
	s_load_b32 s3, s[0:1], 0x20
	;; [unrolled: 1-line block ×3, first 2 shown]
	s_load_b128 s[4:7], s[0:1], 0x8
	s_waitcnt lgkmcnt(0)
	s_and_b32 s1, s2, 0xffff
	s_delay_alu instid0(SALU_CYCLE_1) | instskip(SKIP_3) | instid1(VALU_DEP_1)
	v_mad_u64_u32 v[1:2], null, s15, s1, v[0:1]
	s_mul_i32 s2, s3, s1
	s_cmp_eq_u32 s8, 1
	s_mov_b32 s1, -1
	v_cmp_gt_i32_e64 s0, s10, v1
	s_cbranch_scc1 .LBB63_6
; %bb.2:
	s_delay_alu instid0(VALU_DEP_1)
	s_and_saveexec_b32 s3, s0
	s_cbranch_execz .LBB63_5
; %bb.3:
	v_mad_i64_i32 v[2:3], null, s8, v1, 0
	v_mov_b32_e32 v0, v1
	s_mul_hi_i32 s9, s8, s2
	s_mul_i32 s8, s8, s2
	s_mov_b32 s11, 0
	s_lshl_b64 s[8:9], s[8:9], 3
	s_delay_alu instid0(VALU_DEP_2) | instskip(NEXT) | instid1(VALU_DEP_1)
	v_lshlrev_b64 v[2:3], 3, v[2:3]
	v_add_co_u32 v2, vcc_lo, s6, v2
	s_delay_alu instid0(VALU_DEP_2)
	v_add_co_ci_u32_e32 v3, vcc_lo, s7, v3, vcc_lo
.LBB63_4:                               ; =>This Inner Loop Header: Depth=1
	global_load_b64 v[4:5], v[2:3], off
	v_add_nc_u32_e32 v0, s2, v0
	s_delay_alu instid0(VALU_DEP_1)
	v_cmp_le_i32_e32 vcc_lo, s10, v0
	s_or_b32 s11, vcc_lo, s11
	s_waitcnt vmcnt(0)
	v_mul_f64 v[4:5], v[4:5], s[4:5]
	global_store_b64 v[2:3], v[4:5], off
	v_add_co_u32 v2, s1, v2, s8
	s_delay_alu instid0(VALU_DEP_1)
	v_add_co_ci_u32_e64 v3, s1, s9, v3, s1
	s_and_not1_b32 exec_lo, exec_lo, s11
	s_cbranch_execnz .LBB63_4
.LBB63_5:
	s_or_b32 exec_lo, exec_lo, s3
	s_mov_b32 s1, 0
.LBB63_6:
	s_delay_alu instid0(SALU_CYCLE_1)
	s_and_not1_b32 vcc_lo, exec_lo, s1
	s_cbranch_vccnz .LBB63_10
; %bb.7:
	s_delay_alu instid0(VALU_DEP_1)
	s_and_saveexec_b32 s1, s0
	s_cbranch_execz .LBB63_10
; %bb.8:
	v_ashrrev_i32_e32 v2, 31, v1
	s_ashr_i32 s3, s2, 31
	s_mov_b32 s1, 0
	s_delay_alu instid0(VALU_DEP_1) | instskip(NEXT) | instid1(VALU_DEP_1)
	v_lshlrev_b64 v[2:3], 3, v[1:2]
	v_add_co_u32 v2, vcc_lo, s6, v2
	s_delay_alu instid0(VALU_DEP_2)
	v_add_co_ci_u32_e32 v3, vcc_lo, s7, v3, vcc_lo
	s_lshl_b64 s[6:7], s[2:3], 3
.LBB63_9:                               ; =>This Inner Loop Header: Depth=1
	global_load_b64 v[4:5], v[2:3], off
	v_add_nc_u32_e32 v1, s2, v1
	s_delay_alu instid0(VALU_DEP_1)
	v_cmp_le_i32_e32 vcc_lo, s10, v1
	s_or_b32 s1, vcc_lo, s1
	s_waitcnt vmcnt(0)
	v_mul_f64 v[4:5], v[4:5], s[4:5]
	global_store_b64 v[2:3], v[4:5], off
	v_add_co_u32 v2, s0, v2, s6
	s_delay_alu instid0(VALU_DEP_1)
	v_add_co_ci_u32_e64 v3, s0, s7, v3, s0
	s_and_not1_b32 exec_lo, exec_lo, s1
	s_cbranch_execnz .LBB63_9
.LBB63_10:
	s_nop 0
	s_sendmsg sendmsg(MSG_DEALLOC_VGPRS)
	s_endpgm
	.section	.rodata,"a",@progbits
	.p2align	6, 0x0
	.amdhsa_kernel _ZN9rocsolver6v33100L11scal_kernelIddiEEvT1_T_PT0_S2_
		.amdhsa_group_segment_fixed_size 0
		.amdhsa_private_segment_fixed_size 0
		.amdhsa_kernarg_size 288
		.amdhsa_user_sgpr_count 15
		.amdhsa_user_sgpr_dispatch_ptr 0
		.amdhsa_user_sgpr_queue_ptr 0
		.amdhsa_user_sgpr_kernarg_segment_ptr 1
		.amdhsa_user_sgpr_dispatch_id 0
		.amdhsa_user_sgpr_private_segment_size 0
		.amdhsa_wavefront_size32 1
		.amdhsa_uses_dynamic_stack 0
		.amdhsa_enable_private_segment 0
		.amdhsa_system_sgpr_workgroup_id_x 1
		.amdhsa_system_sgpr_workgroup_id_y 0
		.amdhsa_system_sgpr_workgroup_id_z 0
		.amdhsa_system_sgpr_workgroup_info 0
		.amdhsa_system_vgpr_workitem_id 0
		.amdhsa_next_free_vgpr 6
		.amdhsa_next_free_sgpr 16
		.amdhsa_reserve_vcc 1
		.amdhsa_float_round_mode_32 0
		.amdhsa_float_round_mode_16_64 0
		.amdhsa_float_denorm_mode_32 3
		.amdhsa_float_denorm_mode_16_64 3
		.amdhsa_dx10_clamp 1
		.amdhsa_ieee_mode 1
		.amdhsa_fp16_overflow 0
		.amdhsa_workgroup_processor_mode 1
		.amdhsa_memory_ordered 1
		.amdhsa_forward_progress 0
		.amdhsa_shared_vgpr_count 0
		.amdhsa_exception_fp_ieee_invalid_op 0
		.amdhsa_exception_fp_denorm_src 0
		.amdhsa_exception_fp_ieee_div_zero 0
		.amdhsa_exception_fp_ieee_overflow 0
		.amdhsa_exception_fp_ieee_underflow 0
		.amdhsa_exception_fp_ieee_inexact 0
		.amdhsa_exception_int_div_zero 0
	.end_amdhsa_kernel
	.section	.text._ZN9rocsolver6v33100L11scal_kernelIddiEEvT1_T_PT0_S2_,"axG",@progbits,_ZN9rocsolver6v33100L11scal_kernelIddiEEvT1_T_PT0_S2_,comdat
.Lfunc_end63:
	.size	_ZN9rocsolver6v33100L11scal_kernelIddiEEvT1_T_PT0_S2_, .Lfunc_end63-_ZN9rocsolver6v33100L11scal_kernelIddiEEvT1_T_PT0_S2_
                                        ; -- End function
	.section	.AMDGPU.csdata,"",@progbits
; Kernel info:
; codeLenInByte = 404
; NumSgprs: 18
; NumVgprs: 6
; ScratchSize: 0
; MemoryBound: 0
; FloatMode: 240
; IeeeMode: 1
; LDSByteSize: 0 bytes/workgroup (compile time only)
; SGPRBlocks: 2
; VGPRBlocks: 0
; NumSGPRsForWavesPerEU: 18
; NumVGPRsForWavesPerEU: 6
; Occupancy: 16
; WaveLimiterHint : 0
; COMPUTE_PGM_RSRC2:SCRATCH_EN: 0
; COMPUTE_PGM_RSRC2:USER_SGPR: 15
; COMPUTE_PGM_RSRC2:TRAP_HANDLER: 0
; COMPUTE_PGM_RSRC2:TGID_X_EN: 1
; COMPUTE_PGM_RSRC2:TGID_Y_EN: 0
; COMPUTE_PGM_RSRC2:TGID_Z_EN: 0
; COMPUTE_PGM_RSRC2:TIDIG_COMP_CNT: 0
	.section	.text._ZN9rocsolver6v33100L17bdsqr_lower2upperIddPdS2_EEviiiPT0_lS4_lT1_iilT2_iilPiS4_lS7_,"axG",@progbits,_ZN9rocsolver6v33100L17bdsqr_lower2upperIddPdS2_EEviiiPT0_lS4_lT1_iilT2_iilPiS4_lS7_,comdat
	.globl	_ZN9rocsolver6v33100L17bdsqr_lower2upperIddPdS2_EEviiiPT0_lS4_lT1_iilT2_iilPiS4_lS7_ ; -- Begin function _ZN9rocsolver6v33100L17bdsqr_lower2upperIddPdS2_EEviiiPT0_lS4_lT1_iilT2_iilPiS4_lS7_
	.p2align	8
	.type	_ZN9rocsolver6v33100L17bdsqr_lower2upperIddPdS2_EEviiiPT0_lS4_lT1_iilT2_iilPiS4_lS7_,@function
_ZN9rocsolver6v33100L17bdsqr_lower2upperIddPdS2_EEviiiPT0_lS4_lT1_iilT2_iilPiS4_lS7_: ; @_ZN9rocsolver6v33100L17bdsqr_lower2upperIddPdS2_EEviiiPT0_lS4_lT1_iilT2_iilPiS4_lS7_
; %bb.0:
	s_load_b64 s[2:3], s[0:1], 0x78
	s_mov_b32 s24, s15
	s_ashr_i32 s25, s15, 31
	s_delay_alu instid0(SALU_CYCLE_1)
	s_lshl_b64 s[4:5], s[24:25], 2
	s_waitcnt lgkmcnt(0)
	s_add_u32 s2, s2, s4
	s_addc_u32 s3, s3, s5
	s_load_b32 s2, s[2:3], 0x8
	s_waitcnt lgkmcnt(0)
	s_cmp_lg_u32 s2, 0
	s_cbranch_scc1 .LBB64_34
; %bb.1:
	s_clause 0x1
	s_load_b256 s[4:11], s[0:1], 0x30
	s_load_b128 s[12:15], s[0:1], 0x68
	s_mov_b64 s[20:21], 0
	s_mov_b64 s[22:23], 0
	s_waitcnt lgkmcnt(0)
	s_cmp_eq_u64 s[4:5], 0
	s_cbranch_scc1 .LBB64_3
; %bb.2:
	s_mul_i32 s2, s24, s9
	s_mul_hi_u32 s3, s24, s8
	s_mul_i32 s9, s25, s8
	s_add_i32 s2, s3, s2
	s_delay_alu instid0(SALU_CYCLE_1)
	s_add_i32 s3, s2, s9
	s_mul_i32 s2, s24, s8
	s_ashr_i32 s9, s6, 31
	s_lshl_b64 s[2:3], s[2:3], 3
	s_mov_b32 s8, s6
	s_add_u32 s4, s4, s2
	s_addc_u32 s5, s5, s3
	s_lshl_b64 s[2:3], s[8:9], 3
	s_delay_alu instid0(SALU_CYCLE_1)
	s_add_u32 s22, s4, s2
	s_addc_u32 s23, s5, s3
.LBB64_3:
	s_load_b64 s[2:3], s[0:1], 0x50
	s_cmp_eq_u64 s[10:11], 0
	s_cbranch_scc1 .LBB64_5
; %bb.4:
	s_load_b64 s[4:5], s[0:1], 0x58
	s_waitcnt lgkmcnt(0)
	s_ashr_i32 s9, s2, 31
	s_mul_i32 s5, s24, s5
	s_mul_hi_u32 s6, s24, s4
	s_mul_i32 s8, s25, s4
	s_add_i32 s5, s6, s5
	s_mul_i32 s4, s24, s4
	s_add_i32 s5, s5, s8
	s_mov_b32 s8, s2
	s_lshl_b64 s[4:5], s[4:5], 3
	s_delay_alu instid0(SALU_CYCLE_1) | instskip(SKIP_2) | instid1(SALU_CYCLE_1)
	s_add_u32 s2, s10, s4
	s_addc_u32 s6, s11, s5
	s_lshl_b64 s[4:5], s[8:9], 3
	s_add_u32 s20, s2, s4
	s_addc_u32 s21, s6, s5
.LBB64_5:
	s_load_b128 s[16:19], s[0:1], 0x0
	s_waitcnt lgkmcnt(0)
	s_mul_i32 s2, s24, s15
	s_mul_hi_u32 s4, s24, s14
	s_delay_alu instid0(SALU_CYCLE_1) | instskip(SKIP_1) | instid1(SALU_CYCLE_1)
	s_add_i32 s2, s4, s2
	s_mul_i32 s4, s25, s14
	s_add_i32 s5, s2, s4
	s_mul_i32 s4, s24, s14
	s_mov_b32 s2, exec_lo
	s_lshl_b64 s[4:5], s[4:5], 3
	s_delay_alu instid0(SALU_CYCLE_1)
	s_add_u32 s19, s12, s4
	s_addc_u32 s30, s13, s5
	v_cmpx_eq_u32_e32 0, v0
	s_cbranch_execz .LBB64_22
; %bb.6:
	s_load_b256 s[8:15], s[0:1], 0x10
	s_waitcnt lgkmcnt(0)
	s_mul_i32 s4, s24, s11
	s_mul_hi_u32 s5, s24, s10
	s_mul_i32 s6, s25, s10
	s_add_i32 s4, s5, s4
	s_delay_alu instid0(SALU_CYCLE_1) | instskip(SKIP_1) | instid1(SALU_CYCLE_1)
	s_add_i32 s5, s4, s6
	s_mul_i32 s4, s24, s10
	s_lshl_b64 s[26:27], s[4:5], 3
	s_delay_alu instid0(SALU_CYCLE_1)
	s_add_u32 s4, s8, s26
	s_addc_u32 s5, s9, s27
	s_add_i32 s10, s16, -1
	s_load_b64 s[28:29], s[4:5], 0x0
	s_cmp_lt_i32 s16, 2
	s_waitcnt lgkmcnt(0)
	v_dual_mov_b32 v1, s28 :: v_dual_mov_b32 v2, s29
	s_cbranch_scc1 .LBB64_21
; %bb.7:
	s_mul_i32 s6, s24, s15
	s_mul_hi_u32 s11, s24, s14
	v_dual_mov_b32 v1, s28 :: v_dual_mov_b32 v2, s29
	s_add_i32 s6, s11, s6
	s_mul_i32 s11, s25, s14
	s_mul_i32 s14, s24, s14
	s_add_i32 s15, s6, s11
	v_mov_b32_e32 v9, 0
	s_lshl_b64 s[14:15], s[14:15], 3
	s_mov_b32 s11, 0
	s_add_u32 s24, s14, s12
	s_addc_u32 s25, s15, s13
	s_or_b32 s6, s18, s17
	s_load_b64 s[34:35], s[24:25], 0x0
	s_cmp_lg_u32 s6, 0
	s_mov_b32 s13, 0
	s_cselect_b32 s6, -1, 0
	s_add_u32 s14, s19, 32
	s_addc_u32 s15, s30, 0
	s_add_u32 s8, s26, s8
	s_addc_u32 s9, s27, s9
	;; [unrolled: 2-line block ×4, first 2 shown]
	s_mov_b64 s[26:27], s[14:15]
	s_waitcnt lgkmcnt(0)
	v_dual_mov_b32 v3, s34 :: v_dual_mov_b32 v4, s35
	s_branch .LBB64_9
.LBB64_8:                               ;   in Loop: Header=BB64_9 Depth=1
	s_waitcnt vmcnt(0)
	v_mul_f64 v[1:2], v[7:8], v[1:2]
	s_add_i32 s11, s11, 1
	s_add_u32 s26, s26, 8
	s_addc_u32 s27, s27, 0
	s_add_u32 s8, s8, 8
	s_addc_u32 s9, s9, 0
	;; [unrolled: 2-line block ×3, first 2 shown]
	s_cmp_lg_u32 s10, s11
	s_cbranch_scc0 .LBB64_21
.LBB64_9:                               ; =>This Inner Loop Header: Depth=1
	s_delay_alu instid0(VALU_DEP_1)
	v_cmp_eq_f64_e32 vcc_lo, 0, v[3:4]
	v_mov_b32_e32 v5, 0
	v_mov_b32_e32 v6, 0
	s_cbranch_vccnz .LBB64_13
; %bb.10:                               ;   in Loop: Header=BB64_9 Depth=1
	s_delay_alu instid0(VALU_DEP_4)
	v_cmp_neq_f64_e32 vcc_lo, 0, v[1:2]
	s_cbranch_vccz .LBB64_14
; %bb.11:                               ;   in Loop: Header=BB64_9 Depth=1
	v_cmp_ngt_f64_e64 s12, |v[3:4]|, |v[1:2]|
	s_delay_alu instid0(VALU_DEP_1)
	s_and_b32 vcc_lo, exec_lo, s12
	s_cbranch_vccz .LBB64_15
; %bb.12:                               ;   in Loop: Header=BB64_9 Depth=1
	v_div_scale_f64 v[5:6], null, v[1:2], v[1:2], -v[3:4]
	v_div_scale_f64 v[12:13], vcc_lo, -v[3:4], v[1:2], -v[3:4]
	s_delay_alu instid0(VALU_DEP_2) | instskip(SKIP_2) | instid1(VALU_DEP_1)
	v_rcp_f64_e32 v[7:8], v[5:6]
	s_waitcnt_depctr 0xfff
	v_fma_f64 v[10:11], -v[5:6], v[7:8], 1.0
	v_fma_f64 v[7:8], v[7:8], v[10:11], v[7:8]
	s_delay_alu instid0(VALU_DEP_1) | instskip(NEXT) | instid1(VALU_DEP_1)
	v_fma_f64 v[10:11], -v[5:6], v[7:8], 1.0
	v_fma_f64 v[7:8], v[7:8], v[10:11], v[7:8]
	s_delay_alu instid0(VALU_DEP_1) | instskip(NEXT) | instid1(VALU_DEP_1)
	v_mul_f64 v[10:11], v[12:13], v[7:8]
	v_fma_f64 v[5:6], -v[5:6], v[10:11], v[12:13]
	s_delay_alu instid0(VALU_DEP_1) | instskip(NEXT) | instid1(VALU_DEP_1)
	v_div_fmas_f64 v[5:6], v[5:6], v[7:8], v[10:11]
	v_div_fixup_f64 v[5:6], v[5:6], v[1:2], -v[3:4]
	s_delay_alu instid0(VALU_DEP_1) | instskip(NEXT) | instid1(VALU_DEP_1)
	v_fma_f64 v[7:8], v[5:6], v[5:6], 1.0
	v_cmp_gt_f64_e32 vcc_lo, 0x10000000, v[7:8]
	v_cndmask_b32_e64 v10, 0, 1, vcc_lo
	s_and_b32 s12, vcc_lo, exec_lo
	s_cselect_b32 s12, 0xffffff80, 0
	s_delay_alu instid0(VALU_DEP_1) | instskip(NEXT) | instid1(VALU_DEP_1)
	v_lshlrev_b32_e32 v10, 8, v10
	v_ldexp_f64 v[7:8], v[7:8], v10
	s_delay_alu instid0(VALU_DEP_1) | instskip(SKIP_4) | instid1(VALU_DEP_1)
	v_rsq_f64_e32 v[10:11], v[7:8]
	v_cmp_class_f64_e64 vcc_lo, v[7:8], 0x260
	s_waitcnt_depctr 0xfff
	v_mul_f64 v[12:13], v[7:8], v[10:11]
	v_mul_f64 v[10:11], v[10:11], 0.5
	v_fma_f64 v[14:15], -v[10:11], v[12:13], 0.5
	s_delay_alu instid0(VALU_DEP_1) | instskip(SKIP_1) | instid1(VALU_DEP_2)
	v_fma_f64 v[12:13], v[12:13], v[14:15], v[12:13]
	v_fma_f64 v[10:11], v[10:11], v[14:15], v[10:11]
	v_fma_f64 v[14:15], -v[12:13], v[12:13], v[7:8]
	s_delay_alu instid0(VALU_DEP_1) | instskip(NEXT) | instid1(VALU_DEP_1)
	v_fma_f64 v[12:13], v[14:15], v[10:11], v[12:13]
	v_fma_f64 v[14:15], -v[12:13], v[12:13], v[7:8]
	s_delay_alu instid0(VALU_DEP_1) | instskip(NEXT) | instid1(VALU_DEP_1)
	v_fma_f64 v[10:11], v[14:15], v[10:11], v[12:13]
	v_ldexp_f64 v[10:11], v[10:11], s12
	s_delay_alu instid0(VALU_DEP_1) | instskip(NEXT) | instid1(VALU_DEP_1)
	v_dual_cndmask_b32 v8, v11, v8 :: v_dual_cndmask_b32 v7, v10, v7
	v_div_scale_f64 v[10:11], null, v[7:8], v[7:8], 1.0
	s_delay_alu instid0(VALU_DEP_1) | instskip(SKIP_2) | instid1(VALU_DEP_1)
	v_rcp_f64_e32 v[12:13], v[10:11]
	s_waitcnt_depctr 0xfff
	v_fma_f64 v[14:15], -v[10:11], v[12:13], 1.0
	v_fma_f64 v[12:13], v[12:13], v[14:15], v[12:13]
	s_delay_alu instid0(VALU_DEP_1) | instskip(NEXT) | instid1(VALU_DEP_1)
	v_fma_f64 v[14:15], -v[10:11], v[12:13], 1.0
	v_fma_f64 v[12:13], v[12:13], v[14:15], v[12:13]
	v_div_scale_f64 v[14:15], vcc_lo, 1.0, v[7:8], 1.0
	s_delay_alu instid0(VALU_DEP_1) | instskip(NEXT) | instid1(VALU_DEP_1)
	v_mul_f64 v[16:17], v[14:15], v[12:13]
	v_fma_f64 v[10:11], -v[10:11], v[16:17], v[14:15]
	s_delay_alu instid0(VALU_DEP_1) | instskip(NEXT) | instid1(VALU_DEP_1)
	v_div_fmas_f64 v[10:11], v[10:11], v[12:13], v[16:17]
	v_div_fixup_f64 v[7:8], v[10:11], v[7:8], 1.0
	s_delay_alu instid0(VALU_DEP_1)
	v_mul_f64 v[5:6], v[5:6], v[7:8]
	s_cbranch_execz .LBB64_16
	s_branch .LBB64_17
.LBB64_13:                              ;   in Loop: Header=BB64_9 Depth=1
	v_mov_b32_e32 v7, 0
	v_mov_b32_e32 v8, 0x3ff00000
	s_branch .LBB64_19
.LBB64_14:                              ;   in Loop: Header=BB64_9 Depth=1
                                        ; implicit-def: $vgpr1_vgpr2
                                        ; implicit-def: $vgpr5_vgpr6
                                        ; implicit-def: $vgpr7_vgpr8
	s_cbranch_execnz .LBB64_18
	s_branch .LBB64_19
.LBB64_15:                              ;   in Loop: Header=BB64_9 Depth=1
                                        ; implicit-def: $vgpr5_vgpr6
                                        ; implicit-def: $vgpr7_vgpr8
.LBB64_16:                              ;   in Loop: Header=BB64_9 Depth=1
	v_div_scale_f64 v[5:6], null, v[3:4], v[3:4], -v[1:2]
	v_div_scale_f64 v[12:13], vcc_lo, -v[1:2], v[3:4], -v[1:2]
	s_delay_alu instid0(VALU_DEP_2) | instskip(SKIP_2) | instid1(VALU_DEP_1)
	v_rcp_f64_e32 v[7:8], v[5:6]
	s_waitcnt_depctr 0xfff
	v_fma_f64 v[10:11], -v[5:6], v[7:8], 1.0
	v_fma_f64 v[7:8], v[7:8], v[10:11], v[7:8]
	s_delay_alu instid0(VALU_DEP_1) | instskip(NEXT) | instid1(VALU_DEP_1)
	v_fma_f64 v[10:11], -v[5:6], v[7:8], 1.0
	v_fma_f64 v[7:8], v[7:8], v[10:11], v[7:8]
	s_delay_alu instid0(VALU_DEP_1) | instskip(NEXT) | instid1(VALU_DEP_1)
	v_mul_f64 v[10:11], v[12:13], v[7:8]
	v_fma_f64 v[5:6], -v[5:6], v[10:11], v[12:13]
	s_delay_alu instid0(VALU_DEP_1) | instskip(NEXT) | instid1(VALU_DEP_1)
	v_div_fmas_f64 v[5:6], v[5:6], v[7:8], v[10:11]
	v_div_fixup_f64 v[7:8], v[5:6], v[3:4], -v[1:2]
	s_delay_alu instid0(VALU_DEP_1) | instskip(NEXT) | instid1(VALU_DEP_1)
	v_fma_f64 v[5:6], v[7:8], v[7:8], 1.0
	v_cmp_gt_f64_e32 vcc_lo, 0x10000000, v[5:6]
	v_cndmask_b32_e64 v10, 0, 1, vcc_lo
	s_and_b32 s12, vcc_lo, exec_lo
	s_cselect_b32 s12, 0xffffff80, 0
	s_delay_alu instid0(VALU_DEP_1) | instskip(NEXT) | instid1(VALU_DEP_1)
	v_lshlrev_b32_e32 v10, 8, v10
	v_ldexp_f64 v[5:6], v[5:6], v10
	s_delay_alu instid0(VALU_DEP_1) | instskip(SKIP_4) | instid1(VALU_DEP_1)
	v_rsq_f64_e32 v[10:11], v[5:6]
	v_cmp_class_f64_e64 vcc_lo, v[5:6], 0x260
	s_waitcnt_depctr 0xfff
	v_mul_f64 v[12:13], v[5:6], v[10:11]
	v_mul_f64 v[10:11], v[10:11], 0.5
	v_fma_f64 v[14:15], -v[10:11], v[12:13], 0.5
	s_delay_alu instid0(VALU_DEP_1) | instskip(SKIP_1) | instid1(VALU_DEP_2)
	v_fma_f64 v[12:13], v[12:13], v[14:15], v[12:13]
	v_fma_f64 v[10:11], v[10:11], v[14:15], v[10:11]
	v_fma_f64 v[14:15], -v[12:13], v[12:13], v[5:6]
	s_delay_alu instid0(VALU_DEP_1) | instskip(NEXT) | instid1(VALU_DEP_1)
	v_fma_f64 v[12:13], v[14:15], v[10:11], v[12:13]
	v_fma_f64 v[14:15], -v[12:13], v[12:13], v[5:6]
	s_delay_alu instid0(VALU_DEP_1) | instskip(NEXT) | instid1(VALU_DEP_1)
	v_fma_f64 v[10:11], v[14:15], v[10:11], v[12:13]
	v_ldexp_f64 v[10:11], v[10:11], s12
	s_delay_alu instid0(VALU_DEP_1) | instskip(NEXT) | instid1(VALU_DEP_1)
	v_dual_cndmask_b32 v6, v11, v6 :: v_dual_cndmask_b32 v5, v10, v5
	v_div_scale_f64 v[10:11], null, v[5:6], v[5:6], 1.0
	s_delay_alu instid0(VALU_DEP_1) | instskip(SKIP_2) | instid1(VALU_DEP_1)
	v_rcp_f64_e32 v[12:13], v[10:11]
	s_waitcnt_depctr 0xfff
	v_fma_f64 v[14:15], -v[10:11], v[12:13], 1.0
	v_fma_f64 v[12:13], v[12:13], v[14:15], v[12:13]
	s_delay_alu instid0(VALU_DEP_1) | instskip(NEXT) | instid1(VALU_DEP_1)
	v_fma_f64 v[14:15], -v[10:11], v[12:13], 1.0
	v_fma_f64 v[12:13], v[12:13], v[14:15], v[12:13]
	v_div_scale_f64 v[14:15], vcc_lo, 1.0, v[5:6], 1.0
	s_delay_alu instid0(VALU_DEP_1) | instskip(NEXT) | instid1(VALU_DEP_1)
	v_mul_f64 v[16:17], v[14:15], v[12:13]
	v_fma_f64 v[10:11], -v[10:11], v[16:17], v[14:15]
	s_delay_alu instid0(VALU_DEP_1) | instskip(NEXT) | instid1(VALU_DEP_1)
	v_div_fmas_f64 v[10:11], v[10:11], v[12:13], v[16:17]
	v_div_fixup_f64 v[5:6], v[10:11], v[5:6], 1.0
	s_delay_alu instid0(VALU_DEP_1)
	v_mul_f64 v[7:8], v[7:8], v[5:6]
.LBB64_17:                              ;   in Loop: Header=BB64_9 Depth=1
	s_delay_alu instid0(VALU_DEP_1) | instskip(NEXT) | instid1(VALU_DEP_1)
	v_mul_f64 v[10:11], v[3:4], v[5:6]
	v_fma_f64 v[1:2], v[1:2], v[7:8], -v[10:11]
	s_branch .LBB64_19
.LBB64_18:                              ;   in Loop: Header=BB64_9 Depth=1
	v_xor_b32_e32 v4, 0x80000000, v4
	v_mov_b32_e32 v7, 0
	v_dual_mov_b32 v8, 0 :: v_dual_mov_b32 v5, 0
	v_dual_mov_b32 v6, 0x3ff00000 :: v_dual_mov_b32 v1, v3
	s_delay_alu instid0(VALU_DEP_4)
	v_mov_b32_e32 v2, v4
.LBB64_19:                              ;   in Loop: Header=BB64_9 Depth=1
	global_load_b64 v[10:11], v9, s[8:9]
	global_store_b64 v9, v[1:2], s[8:9] offset:-8
	global_load_b64 v[3:4], v9, s[24:25]
	s_and_not1_b32 vcc_lo, exec_lo, s6
	s_waitcnt vmcnt(1)
	v_mul_f64 v[1:2], v[10:11], -v[5:6]
	global_store_b64 v9, v[1:2], s[24:25] offset:-8
	global_load_b64 v[1:2], v9, s[8:9]
	s_cbranch_vccnz .LBB64_8
; %bb.20:                               ;   in Loop: Header=BB64_9 Depth=1
	s_add_i32 s12, s16, s11
	s_delay_alu instid0(SALU_CYCLE_1) | instskip(NEXT) | instid1(SALU_CYCLE_1)
	s_lshl_b64 s[28:29], s[12:13], 3
	s_add_u32 s28, s14, s28
	s_addc_u32 s29, s15, s29
	s_clause 0x1
	global_store_b64 v9, v[7:8], s[26:27]
	global_store_b64 v9, v[5:6], s[28:29]
	s_branch .LBB64_8
.LBB64_21:
	s_ashr_i32 s11, s10, 31
	v_mov_b32_e32 v3, 0
	s_lshl_b64 s[8:9], s[10:11], 3
	s_delay_alu instid0(SALU_CYCLE_1)
	s_add_u32 s4, s4, s8
	s_addc_u32 s5, s5, s9
	global_store_b64 v3, v[1:2], s[4:5]
.LBB64_22:
	s_or_b32 exec_lo, exec_lo, s2
	s_delay_alu instid0(SALU_CYCLE_1)
	s_mov_b32 s24, exec_lo
	s_waitcnt_vscnt null, 0x0
	s_barrier
	buffer_gl0_inv
	v_cmpx_gt_i32_e64 s17, v0
	s_cbranch_execz .LBB64_28
; %bb.23:
	s_load_b32 s2, s[0:1], 0x8c
	s_add_i32 s25, s16, -1
	s_cmp_gt_i32 s16, 1
	s_mul_i32 s12, s25, s7
	s_cselect_b32 s26, -1, 0
	v_dual_mov_b32 v8, 0 :: v_dual_mov_b32 v1, v0
	s_mov_b32 s10, s7
	s_mov_b32 s5, 0
	s_mov_b32 s4, s16
	s_waitcnt lgkmcnt(0)
	s_and_b32 s27, s2, 0xffff
	s_add_u32 s8, s19, 32
	s_addc_u32 s9, s30, 0
	s_ashr_i32 s13, s12, 31
	s_ashr_i32 s11, s7, 31
	s_lshl_b64 s[6:7], s[4:5], 3
	s_lshl_b64 s[10:11], s[10:11], 3
	;; [unrolled: 1-line block ×3, first 2 shown]
	s_branch .LBB64_25
.LBB64_24:                              ;   in Loop: Header=BB64_25 Depth=1
	v_add_nc_u32_e32 v1, s27, v1
	v_add_co_u32 v2, s2, v2, s12
	s_delay_alu instid0(VALU_DEP_1) | instskip(NEXT) | instid1(VALU_DEP_3)
	v_add_co_ci_u32_e64 v3, s2, s13, v3, s2
	v_cmp_le_i32_e32 vcc_lo, s17, v1
	s_waitcnt vmcnt(0) lgkmcnt(0)
	flat_store_b64 v[2:3], v[4:5]
	s_or_b32 s5, vcc_lo, s5
	s_delay_alu instid0(SALU_CYCLE_1)
	s_and_not1_b32 exec_lo, exec_lo, s5
	s_cbranch_execz .LBB64_28
.LBB64_25:                              ; =>This Loop Header: Depth=1
                                        ;     Child Loop BB64_27 Depth 2
	v_ashrrev_i32_e32 v2, 31, v1
	s_delay_alu instid0(VALU_DEP_1) | instskip(NEXT) | instid1(VALU_DEP_1)
	v_lshlrev_b64 v[2:3], 3, v[1:2]
	v_add_co_u32 v2, vcc_lo, s22, v2
	s_delay_alu instid0(VALU_DEP_2)
	v_add_co_ci_u32_e32 v3, vcc_lo, s23, v3, vcc_lo
	s_and_not1_b32 vcc_lo, exec_lo, s26
	flat_load_b64 v[4:5], v[2:3]
	s_cbranch_vccnz .LBB64_24
; %bb.26:                               ;   in Loop: Header=BB64_25 Depth=1
	v_dual_mov_b32 v7, v3 :: v_dual_mov_b32 v6, v2
	s_mov_b32 s2, s25
	s_mov_b64 s[14:15], s[8:9]
	.p2align	6
.LBB64_27:                              ;   Parent Loop BB64_25 Depth=1
                                        ; =>  This Inner Loop Header: Depth=2
	s_delay_alu instid0(VALU_DEP_1) | instskip(NEXT) | instid1(VALU_DEP_2)
	v_add_co_u32 v9, vcc_lo, v6, s10
	v_add_co_ci_u32_e32 v10, vcc_lo, s11, v7, vcc_lo
	s_add_u32 s28, s14, s6
	s_addc_u32 s29, s15, s7
	global_load_b64 v[11:12], v8, s[28:29]
	flat_load_b64 v[13:14], v[9:10]
	global_load_b64 v[15:16], v8, s[14:15]
	s_add_u32 s14, s14, 8
	s_addc_u32 s15, s15, 0
	s_add_i32 s2, s2, -1
	s_delay_alu instid0(SALU_CYCLE_1) | instskip(SKIP_4) | instid1(VALU_DEP_2)
	s_cmp_lg_u32 s2, 0
	s_waitcnt vmcnt(1) lgkmcnt(0)
	v_mul_f64 v[17:18], v[13:14], v[11:12]
	v_mul_f64 v[11:12], v[4:5], v[11:12]
	s_waitcnt vmcnt(0)
	v_fma_f64 v[17:18], v[4:5], v[15:16], -v[17:18]
	s_delay_alu instid0(VALU_DEP_2)
	v_fma_f64 v[4:5], v[13:14], v[15:16], v[11:12]
	flat_store_b64 v[6:7], v[17:18]
	v_dual_mov_b32 v6, v9 :: v_dual_mov_b32 v7, v10
	s_cbranch_scc1 .LBB64_27
	s_branch .LBB64_24
.LBB64_28:
	s_or_b32 exec_lo, exec_lo, s24
	s_delay_alu instid0(SALU_CYCLE_1)
	s_mov_b32 s2, exec_lo
	v_cmpx_gt_i32_e64 s18, v0
	s_cbranch_execz .LBB64_34
; %bb.29:
	s_load_b32 s0, s[0:1], 0x8c
	s_add_i32 s4, s16, -1
	v_mul_lo_u32 v1, v0, s3
	s_cmp_gt_i32 s16, 1
	v_mov_b32_e32 v9, 0
	s_cselect_b32 s2, -1, 0
	s_mov_b32 s17, 0
	s_waitcnt lgkmcnt(0)
	s_and_b32 s12, s0, 0xffff
	s_add_u32 s6, s19, 32
	s_addc_u32 s7, s30, 0
	s_ashr_i32 s5, s4, 31
	s_mul_i32 s13, s3, s12
	s_lshl_b64 s[8:9], s[16:17], 3
	s_lshl_b64 s[10:11], s[4:5], 3
	s_branch .LBB64_31
.LBB64_30:                              ;   in Loop: Header=BB64_31 Depth=1
	v_add_nc_u32_e32 v0, s12, v0
	v_add_co_u32 v2, s0, v3, s10
	s_delay_alu instid0(VALU_DEP_1) | instskip(NEXT) | instid1(VALU_DEP_3)
	v_add_co_ci_u32_e64 v3, s0, s11, v4, s0
	v_cmp_le_i32_e32 vcc_lo, s18, v0
	v_add_nc_u32_e32 v1, s13, v1
	s_waitcnt vmcnt(0) lgkmcnt(0)
	flat_store_b64 v[2:3], v[5:6]
	s_or_b32 s17, vcc_lo, s17
	s_delay_alu instid0(SALU_CYCLE_1)
	s_and_not1_b32 exec_lo, exec_lo, s17
	s_cbranch_execz .LBB64_34
.LBB64_31:                              ; =>This Loop Header: Depth=1
                                        ;     Child Loop BB64_33 Depth 2
	v_mul_lo_u32 v2, v0, s3
	s_delay_alu instid0(VALU_DEP_1) | instskip(NEXT) | instid1(VALU_DEP_1)
	v_ashrrev_i32_e32 v3, 31, v2
	v_lshlrev_b64 v[3:4], 3, v[2:3]
	s_delay_alu instid0(VALU_DEP_1) | instskip(NEXT) | instid1(VALU_DEP_2)
	v_add_co_u32 v3, vcc_lo, s20, v3
	v_add_co_ci_u32_e32 v4, vcc_lo, s21, v4, vcc_lo
	s_and_not1_b32 vcc_lo, exec_lo, s2
	flat_load_b64 v[5:6], v[3:4]
	s_cbranch_vccnz .LBB64_30
; %bb.32:                               ;   in Loop: Header=BB64_31 Depth=1
	v_ashrrev_i32_e32 v2, 31, v1
	s_mov_b32 s5, s4
	s_mov_b64 s[0:1], s[6:7]
	s_delay_alu instid0(VALU_DEP_1) | instskip(NEXT) | instid1(VALU_DEP_1)
	v_lshlrev_b64 v[7:8], 3, v[1:2]
	v_add_co_u32 v7, vcc_lo, s20, v7
	s_delay_alu instid0(VALU_DEP_2)
	v_add_co_ci_u32_e32 v8, vcc_lo, s21, v8, vcc_lo
	.p2align	6
.LBB64_33:                              ;   Parent Loop BB64_31 Depth=1
                                        ; =>  This Inner Loop Header: Depth=2
	s_add_u32 s14, s0, s8
	s_addc_u32 s15, s1, s9
	flat_load_b64 v[10:11], v[7:8] offset:8
	s_clause 0x1
	global_load_b64 v[12:13], v9, s[0:1]
	global_load_b64 v[14:15], v9, s[14:15]
	s_add_u32 s0, s0, 8
	s_addc_u32 s1, s1, 0
	s_add_i32 s5, s5, -1
	s_delay_alu instid0(SALU_CYCLE_1) | instskip(SKIP_3) | instid1(VALU_DEP_2)
	s_cmp_lg_u32 s5, 0
	s_waitcnt vmcnt(0) lgkmcnt(0)
	v_mul_f64 v[16:17], v[10:11], v[14:15]
	v_mul_f64 v[14:15], v[5:6], v[14:15]
	v_fma_f64 v[16:17], v[5:6], v[12:13], -v[16:17]
	s_delay_alu instid0(VALU_DEP_2)
	v_fma_f64 v[5:6], v[10:11], v[12:13], v[14:15]
	v_add_co_u32 v10, vcc_lo, v7, 8
	v_add_co_ci_u32_e32 v11, vcc_lo, 0, v8, vcc_lo
	flat_store_b64 v[7:8], v[16:17]
	v_dual_mov_b32 v7, v10 :: v_dual_mov_b32 v8, v11
	s_cbranch_scc1 .LBB64_33
	s_branch .LBB64_30
.LBB64_34:
	s_endpgm
	.section	.rodata,"a",@progbits
	.p2align	6, 0x0
	.amdhsa_kernel _ZN9rocsolver6v33100L17bdsqr_lower2upperIddPdS2_EEviiiPT0_lS4_lT1_iilT2_iilPiS4_lS7_
		.amdhsa_group_segment_fixed_size 0
		.amdhsa_private_segment_fixed_size 0
		.amdhsa_kernarg_size 384
		.amdhsa_user_sgpr_count 14
		.amdhsa_user_sgpr_dispatch_ptr 0
		.amdhsa_user_sgpr_queue_ptr 0
		.amdhsa_user_sgpr_kernarg_segment_ptr 1
		.amdhsa_user_sgpr_dispatch_id 0
		.amdhsa_user_sgpr_private_segment_size 0
		.amdhsa_wavefront_size32 1
		.amdhsa_uses_dynamic_stack 0
		.amdhsa_enable_private_segment 0
		.amdhsa_system_sgpr_workgroup_id_x 1
		.amdhsa_system_sgpr_workgroup_id_y 1
		.amdhsa_system_sgpr_workgroup_id_z 0
		.amdhsa_system_sgpr_workgroup_info 0
		.amdhsa_system_vgpr_workitem_id 0
		.amdhsa_next_free_vgpr 19
		.amdhsa_next_free_sgpr 36
		.amdhsa_reserve_vcc 1
		.amdhsa_float_round_mode_32 0
		.amdhsa_float_round_mode_16_64 0
		.amdhsa_float_denorm_mode_32 3
		.amdhsa_float_denorm_mode_16_64 3
		.amdhsa_dx10_clamp 1
		.amdhsa_ieee_mode 1
		.amdhsa_fp16_overflow 0
		.amdhsa_workgroup_processor_mode 1
		.amdhsa_memory_ordered 1
		.amdhsa_forward_progress 0
		.amdhsa_shared_vgpr_count 0
		.amdhsa_exception_fp_ieee_invalid_op 0
		.amdhsa_exception_fp_denorm_src 0
		.amdhsa_exception_fp_ieee_div_zero 0
		.amdhsa_exception_fp_ieee_overflow 0
		.amdhsa_exception_fp_ieee_underflow 0
		.amdhsa_exception_fp_ieee_inexact 0
		.amdhsa_exception_int_div_zero 0
	.end_amdhsa_kernel
	.section	.text._ZN9rocsolver6v33100L17bdsqr_lower2upperIddPdS2_EEviiiPT0_lS4_lT1_iilT2_iilPiS4_lS7_,"axG",@progbits,_ZN9rocsolver6v33100L17bdsqr_lower2upperIddPdS2_EEviiiPT0_lS4_lT1_iilT2_iilPiS4_lS7_,comdat
.Lfunc_end64:
	.size	_ZN9rocsolver6v33100L17bdsqr_lower2upperIddPdS2_EEviiiPT0_lS4_lT1_iilT2_iilPiS4_lS7_, .Lfunc_end64-_ZN9rocsolver6v33100L17bdsqr_lower2upperIddPdS2_EEviiiPT0_lS4_lT1_iilT2_iilPiS4_lS7_
                                        ; -- End function
	.section	.AMDGPU.csdata,"",@progbits
; Kernel info:
; codeLenInByte = 2448
; NumSgprs: 38
; NumVgprs: 19
; ScratchSize: 0
; MemoryBound: 0
; FloatMode: 240
; IeeeMode: 1
; LDSByteSize: 0 bytes/workgroup (compile time only)
; SGPRBlocks: 4
; VGPRBlocks: 2
; NumSGPRsForWavesPerEU: 38
; NumVGPRsForWavesPerEU: 19
; Occupancy: 16
; WaveLimiterHint : 0
; COMPUTE_PGM_RSRC2:SCRATCH_EN: 0
; COMPUTE_PGM_RSRC2:USER_SGPR: 14
; COMPUTE_PGM_RSRC2:TRAP_HANDLER: 0
; COMPUTE_PGM_RSRC2:TGID_X_EN: 1
; COMPUTE_PGM_RSRC2:TGID_Y_EN: 1
; COMPUTE_PGM_RSRC2:TGID_Z_EN: 0
; COMPUTE_PGM_RSRC2:TIDIG_COMP_CNT: 0
	.section	.text._ZN9rocsolver6v33100L13bdsqr_computeILi256EddPdS2_S2_EEviiiiPT1_lS4_lT2_iilT3_iilT4_iiliS3_S3_S3_S3_PiS4_ilS8_,"axG",@progbits,_ZN9rocsolver6v33100L13bdsqr_computeILi256EddPdS2_S2_EEviiiiPT1_lS4_lT2_iilT3_iilT4_iiliS3_S3_S3_S3_PiS4_ilS8_,comdat
	.globl	_ZN9rocsolver6v33100L13bdsqr_computeILi256EddPdS2_S2_EEviiiiPT1_lS4_lT2_iilT3_iilT4_iiliS3_S3_S3_S3_PiS4_ilS8_ ; -- Begin function _ZN9rocsolver6v33100L13bdsqr_computeILi256EddPdS2_S2_EEviiiiPT1_lS4_lT2_iilT3_iilT4_iiliS3_S3_S3_S3_PiS4_ilS8_
	.p2align	8
	.type	_ZN9rocsolver6v33100L13bdsqr_computeILi256EddPdS2_S2_EEviiiiPT1_lS4_lT2_iilT3_iilT4_iiliS3_S3_S3_S3_PiS4_ilS8_,@function
_ZN9rocsolver6v33100L13bdsqr_computeILi256EddPdS2_S2_EEviiiiPT1_lS4_lT2_iilT3_iilT4_iiliS3_S3_S3_S3_PiS4_ilS8_: ; @_ZN9rocsolver6v33100L13bdsqr_computeILi256EddPdS2_S2_EEviiiiPT1_lS4_lT2_iilT3_iilT4_iiliS3_S3_S3_S3_PiS4_ilS8_
; %bb.0:
	s_load_b128 s[4:7], s[0:1], 0xb8
	s_mov_b32 s42, s15
	s_ashr_i32 s43, s15, 31
	s_delay_alu instid0(SALU_CYCLE_1)
	s_lshl_b64 s[2:3], s[42:43], 2
	s_waitcnt lgkmcnt(0)
	s_add_u32 s2, s6, s2
	s_addc_u32 s3, s7, s3
	s_load_b32 s2, s[2:3], 0x8
	s_waitcnt lgkmcnt(0)
	s_cmp_lg_u32 s2, 0
	s_cbranch_scc1 .LBB65_183
; %bb.1:
	s_load_b256 s[16:23], s[0:1], 0x30
	s_mov_b64 s[12:13], 0
	s_mov_b64 s[34:35], 0
	s_waitcnt lgkmcnt(0)
	s_cmp_eq_u64 s[16:17], 0
	s_cbranch_scc1 .LBB65_3
; %bb.2:
	s_mul_i32 s2, s42, s21
	s_mul_hi_u32 s3, s42, s20
	s_mul_i32 s6, s43, s20
	s_add_i32 s2, s3, s2
	s_ashr_i32 s7, s18, 31
	s_add_i32 s3, s2, s6
	s_mul_i32 s2, s42, s20
	s_mov_b32 s6, s18
	s_lshl_b64 s[2:3], s[2:3], 3
	s_delay_alu instid0(SALU_CYCLE_1) | instskip(SKIP_2) | instid1(SALU_CYCLE_1)
	s_add_u32 s8, s16, s2
	s_addc_u32 s9, s17, s3
	s_lshl_b64 s[2:3], s[6:7], 3
	s_add_u32 s34, s8, s2
	s_addc_u32 s35, s9, s3
.LBB65_3:
	s_clause 0x1
	s_load_b64 s[16:17], s[0:1], 0x50
	s_load_b128 s[8:11], s[0:1], 0x58
	s_cmp_eq_u64 s[22:23], 0
	s_cbranch_scc1 .LBB65_5
; %bb.4:
	s_waitcnt lgkmcnt(0)
	s_mul_i32 s2, s42, s9
	s_mul_hi_u32 s3, s42, s8
	s_mul_i32 s6, s43, s8
	s_add_i32 s2, s3, s2
	s_ashr_i32 s7, s16, 31
	s_add_i32 s3, s2, s6
	s_mul_i32 s2, s42, s8
	s_mov_b32 s6, s16
	s_lshl_b64 s[2:3], s[2:3], 3
	s_delay_alu instid0(SALU_CYCLE_1) | instskip(SKIP_2) | instid1(SALU_CYCLE_1)
	s_add_u32 s8, s22, s2
	s_addc_u32 s9, s23, s3
	s_lshl_b64 s[2:3], s[6:7], 3
	s_add_u32 s12, s8, s2
	s_addc_u32 s13, s9, s3
.LBB65_5:
	s_load_b64 s[36:37], s[0:1], 0x68
	s_waitcnt lgkmcnt(0)
	s_cmp_eq_u64 s[10:11], 0
	s_mov_b64 s[38:39], 0
	s_cbranch_scc1 .LBB65_7
; %bb.6:
	s_load_b64 s[2:3], s[0:1], 0x70
	s_waitcnt lgkmcnt(0)
	s_mul_i32 s3, s42, s3
	s_mul_hi_u32 s6, s42, s2
	s_mul_i32 s7, s43, s2
	s_add_i32 s3, s6, s3
	s_mul_i32 s2, s42, s2
	s_add_i32 s3, s3, s7
	s_ashr_i32 s7, s36, 31
	s_lshl_b64 s[2:3], s[2:3], 3
	s_mov_b32 s6, s36
	s_add_u32 s8, s10, s2
	s_addc_u32 s9, s11, s3
	s_lshl_b64 s[2:3], s[6:7], 3
	s_delay_alu instid0(SALU_CYCLE_1)
	s_add_u32 s38, s8, s2
	s_addc_u32 s39, s9, s3
.LBB65_7:
	s_load_b256 s[20:27], s[0:1], 0x90
	s_mul_i32 s2, s42, s5
	s_mul_hi_u32 s3, s42, s4
	s_delay_alu instid0(SALU_CYCLE_1) | instskip(SKIP_1) | instid1(SALU_CYCLE_1)
	s_add_i32 s2, s3, s2
	s_mul_i32 s3, s43, s4
	s_add_i32 s3, s2, s3
	s_mul_i32 s2, s42, s4
	s_delay_alu instid0(SALU_CYCLE_1)
	s_lshl_b64 s[44:45], s[2:3], 3
	s_waitcnt lgkmcnt(0)
	s_add_u32 s40, s26, s44
	s_addc_u32 s41, s27, s45
	s_load_b64 s[2:3], s[40:41], 0x10
	s_waitcnt lgkmcnt(0)
	v_cvt_i32_f64_e32 v14, s[2:3]
	s_delay_alu instid0(VALU_DEP_1)
	v_cmp_ge_i32_e32 vcc_lo, s14, v14
	s_cbranch_vccnz .LBB65_183
; %bb.8:
	s_clause 0x1
	s_load_b128 s[28:31], s[0:1], 0x0
	s_load_b256 s[4:11], s[0:1], 0x10
	v_dual_mov_b32 v24, 1 :: v_dual_lshlrev_b32 v15, 3, v0
	s_clause 0x3
	s_load_b32 s76, s[0:1], 0x78
	s_load_b64 s[90:91], s[0:1], 0x80
	s_load_b32 s77, s[0:1], 0xb0
	s_load_b32 s78, s[0:1], 0xcc
	v_mul_lo_u32 v16, v0, s19
	v_mul_lo_u32 v17, v0, s37
                                        ; implicit-def: $vgpr35 : SGPR spill to VGPR lane
	v_cmp_gt_u32_e64 s2, 0x80, v0
	v_cmp_gt_u32_e64 s3, 64, v0
	s_delay_alu instid0(VALU_DEP_4) | instskip(NEXT) | instid1(VALU_DEP_4)
	v_dual_mov_b32 v1, 0 :: v_dual_add_nc_u32 v18, -1, v16
	v_add_nc_u32_e32 v19, -1, v17
	s_waitcnt lgkmcnt(0)
	s_mul_i32 s15, s42, s28
	s_mul_i32 s7, s42, s7
	s_lshl_b32 s46, s15, 1
	s_mul_hi_u32 s16, s42, s6
	s_ashr_i32 s47, s46, 31
	s_mul_i32 s28, s43, s6
	s_lshl_b64 s[46:47], s[46:47], 2
	s_mul_i32 s6, s42, s6
	s_add_u32 s15, s24, s46
	s_addc_u32 s18, s25, s47
	s_add_i32 s7, s16, s7
	s_mul_i32 s11, s42, s11
	s_add_i32 s7, s7, s28
	s_mul_hi_u32 s16, s42, s10
	s_lshl_b64 s[6:7], s[6:7], 3
	s_mul_i32 s24, s43, s10
	s_add_u32 s28, s4, s6
	s_addc_u32 s33, s5, s7
	s_add_i32 s4, s16, s11
	s_mul_i32 s10, s42, s10
	s_add_i32 s11, s4, s24
	v_add_co_u32 v20, s16, s28, v15
	s_lshl_b64 s[46:47], s[10:11], 3
	v_add_co_ci_u32_e64 v21, null, s33, 0, s16
	s_add_u32 s36, s8, s46
	s_addc_u32 s74, s9, s47
	s_cmp_lg_u32 s29, 0
	v_add_co_u32 v22, s24, s36, v15
	s_cselect_b32 s75, -1, 0
	s_or_b32 s6, s31, s30
	v_cmp_gt_u32_e64 s4, 32, v0
	s_cmp_eq_u32 s6, 0
	v_cmp_eq_u32_e64 s5, 0, v0
	s_cselect_b32 s79, -1, 0
	s_cmp_lg_u64 s[34:35], 0
	v_add_co_ci_u32_e64 v23, null, s74, 0, s24
	s_cselect_b32 s6, -1, 0
	s_delay_alu instid0(SALU_CYCLE_1)
	s_and_b32 s80, s75, s6
	s_add_u32 s42, s0, 0xc8
	s_addc_u32 s43, s1, 0
	s_cmp_lg_u64 s[12:13], 0
	v_cmp_gt_i32_e64 s0, s29, v0
	s_cselect_b32 s6, -1, 0
	s_cmp_lg_u32 s30, 0
	v_cmp_gt_i32_e64 s1, s30, v0
	s_cselect_b32 s7, -1, 0
	s_delay_alu instid0(SALU_CYCLE_1)
	s_and_b32 s81, s7, s6
	s_cmp_lg_u64 s[38:39], 0
	v_cmp_gt_i32_e64 s6, s31, v0
	s_cselect_b32 s7, -1, 0
	s_cmp_lg_u32 s31, 0
	s_cselect_b32 s16, -1, 0
	s_delay_alu instid0(SALU_CYCLE_1)
	s_and_b32 s82, s16, s7
	s_add_u32 s83, s26, s44
	s_addc_u32 s84, s27, s45
	s_add_u32 s85, s83, 24
	s_addc_u32 s86, s84, 0
	s_add_u32 s87, s8, -8
	s_addc_u32 s88, s9, -1
	s_add_u32 s104, s87, s46
	s_addc_u32 s7, s88, s47
	s_delay_alu instid0(SALU_CYCLE_1)
	v_writelane_b32 v35, s7, 0
	s_add_u32 s7, s28, -8
	s_addc_u32 s92, s33, -1
	s_add_u32 s93, s83, 40
	s_addc_u32 s94, s84, 0
	v_writelane_b32 v35, s7, 1
	s_branch .LBB65_11
.LBB65_9:                               ;   in Loop: Header=BB65_11 Depth=1
	s_or_b32 exec_lo, exec_lo, s52
.LBB65_10:                              ;   in Loop: Header=BB65_11 Depth=1
	s_add_i32 s14, s78, s14
	s_delay_alu instid0(SALU_CYCLE_1)
	v_cmp_lt_i32_e32 vcc_lo, s14, v14
	s_cbranch_vccz .LBB65_183
.LBB65_11:                              ; =>This Loop Header: Depth=1
                                        ;     Child Loop BB65_15 Depth 2
                                        ;     Child Loop BB65_42 Depth 2
	;; [unrolled: 1-line block ×5, first 2 shown]
                                        ;       Child Loop BB65_168 Depth 3
                                        ;     Child Loop BB65_173 Depth 2
                                        ;       Child Loop BB65_175 Depth 3
                                        ;     Child Loop BB65_180 Depth 2
                                        ;       Child Loop BB65_182 Depth 3
	s_lshl_b32 s8, s14, 2
	s_delay_alu instid0(SALU_CYCLE_1) | instskip(NEXT) | instid1(SALU_CYCLE_1)
	s_ashr_i32 s9, s8, 31
	s_lshl_b64 s[8:9], s[8:9], 2
	s_delay_alu instid0(SALU_CYCLE_1)
	s_add_u32 s50, s15, s8
	s_addc_u32 s51, s18, s9
	global_load_b64 v[2:3], v1, s[50:51] offset:4
	s_waitcnt vmcnt(0)
	v_readfirstlane_b32 s46, v2
	v_readfirstlane_b32 s44, v3
	s_delay_alu instid0(VALU_DEP_1)
	s_cmp_le_i32 s44, s46
	s_cbranch_scc1 .LBB65_10
; %bb.12:                               ;   in Loop: Header=BB65_11 Depth=1
	global_load_b32 v2, v1, s[50:51] offset:12
	s_waitcnt vmcnt(0)
	v_cmp_le_i32_e32 vcc_lo, s76, v2
	s_cbranch_vccnz .LBB65_10
; %bb.13:                               ;   in Loop: Header=BB65_11 Depth=1
	v_mov_b32_e32 v2, 0
	v_mov_b32_e32 v3, 0
	s_sub_i32 s26, s44, s46
	s_ashr_i32 s47, s46, 31
	s_mov_b32 s9, exec_lo
	v_cmpx_ge_i32_e64 s26, v0
	s_cbranch_execz .LBB65_17
; %bb.14:                               ;   in Loop: Header=BB65_11 Depth=1
	s_lshl_b64 s[48:49], s[46:47], 3
	v_mov_b32_e32 v2, 0
	v_add_co_u32 v4, vcc_lo, v20, s48
	v_add_co_ci_u32_e32 v5, vcc_lo, s49, v21, vcc_lo
	v_dual_mov_b32 v3, 0 :: v_dual_mov_b32 v6, v0
	s_mov_b32 s16, 0
	.p2align	6
.LBB65_15:                              ;   Parent Loop BB65_11 Depth=1
                                        ; =>  This Inner Loop Header: Depth=2
	global_load_b64 v[7:8], v[4:5], off
	v_add_co_u32 v4, s7, 0x800, v4
	s_delay_alu instid0(VALU_DEP_1) | instskip(SKIP_3) | instid1(VALU_DEP_1)
	v_add_co_ci_u32_e64 v5, s7, 0, v5, s7
	s_waitcnt vmcnt(0)
	v_cmp_lt_f64_e64 vcc_lo, v[2:3], |v[7:8]|
	v_dual_cndmask_b32 v2, v2, v7 :: v_dual_and_b32 v9, 0x7fffffff, v8
	v_dual_cndmask_b32 v3, v3, v9 :: v_dual_add_nc_u32 v6, 0x100, v6
	s_delay_alu instid0(VALU_DEP_1) | instskip(NEXT) | instid1(VALU_DEP_1)
	v_cmp_lt_i32_e64 s8, s26, v6
	s_or_b32 s16, s8, s16
	s_delay_alu instid0(SALU_CYCLE_1)
	s_and_not1_b32 exec_lo, exec_lo, s16
	s_cbranch_execnz .LBB65_15
; %bb.16:                               ;   in Loop: Header=BB65_11 Depth=1
	s_or_b32 exec_lo, exec_lo, s16
.LBB65_17:                              ;   in Loop: Header=BB65_11 Depth=1
	s_delay_alu instid0(SALU_CYCLE_1)
	s_or_b32 exec_lo, exec_lo, s9
	s_cmp_lt_i32 s26, 1
	ds_store_b64 v15, v[2:3]
	s_waitcnt lgkmcnt(0)
	s_waitcnt_vscnt null, 0x0
	s_barrier
	buffer_gl0_inv
	s_cbranch_scc1 .LBB65_40
; %bb.18:                               ;   in Loop: Header=BB65_11 Depth=1
	s_and_saveexec_b32 s7, s2
	s_cbranch_execz .LBB65_22
; %bb.19:                               ;   in Loop: Header=BB65_11 Depth=1
	ds_load_b64 v[4:5], v15 offset:1024
	s_mov_b32 s8, exec_lo
	s_waitcnt lgkmcnt(0)
	v_cmpx_lt_f64_e32 v[2:3], v[4:5]
	s_cbranch_execz .LBB65_21
; %bb.20:                               ;   in Loop: Header=BB65_11 Depth=1
	v_dual_mov_b32 v2, v4 :: v_dual_mov_b32 v3, v5
	ds_store_b64 v15, v[4:5]
.LBB65_21:                              ;   in Loop: Header=BB65_11 Depth=1
	s_or_b32 exec_lo, exec_lo, s8
.LBB65_22:                              ;   in Loop: Header=BB65_11 Depth=1
	s_delay_alu instid0(SALU_CYCLE_1)
	s_or_b32 exec_lo, exec_lo, s7
	s_waitcnt lgkmcnt(0)
	s_barrier
	buffer_gl0_inv
	s_and_saveexec_b32 s7, s3
	s_cbranch_execz .LBB65_26
; %bb.23:                               ;   in Loop: Header=BB65_11 Depth=1
	ds_load_b64 v[4:5], v15 offset:512
	s_mov_b32 s8, exec_lo
	s_waitcnt lgkmcnt(0)
	v_cmpx_lt_f64_e32 v[2:3], v[4:5]
	s_cbranch_execz .LBB65_25
; %bb.24:                               ;   in Loop: Header=BB65_11 Depth=1
	v_dual_mov_b32 v2, v4 :: v_dual_mov_b32 v3, v5
	ds_store_b64 v15, v[4:5]
.LBB65_25:                              ;   in Loop: Header=BB65_11 Depth=1
	s_or_b32 exec_lo, exec_lo, s8
.LBB65_26:                              ;   in Loop: Header=BB65_11 Depth=1
	s_delay_alu instid0(SALU_CYCLE_1)
	s_or_b32 exec_lo, exec_lo, s7
	s_waitcnt lgkmcnt(0)
	s_barrier
	buffer_gl0_inv
	s_and_saveexec_b32 s7, s4
	s_cbranch_execz .LBB65_39
; %bb.27:                               ;   in Loop: Header=BB65_11 Depth=1
	ds_load_b64 v[4:5], v15 offset:256
	s_mov_b32 s8, exec_lo
	s_waitcnt lgkmcnt(0)
	v_cmpx_lt_f64_e32 v[2:3], v[4:5]
	s_cbranch_execz .LBB65_29
; %bb.28:                               ;   in Loop: Header=BB65_11 Depth=1
	v_dual_mov_b32 v2, v4 :: v_dual_mov_b32 v3, v5
	ds_store_b64 v15, v[4:5]
.LBB65_29:                              ;   in Loop: Header=BB65_11 Depth=1
	s_or_b32 exec_lo, exec_lo, s8
	ds_load_b64 v[4:5], v15 offset:128
	s_mov_b32 s8, exec_lo
	s_waitcnt lgkmcnt(0)
	v_cmpx_lt_f64_e32 v[2:3], v[4:5]
	s_cbranch_execz .LBB65_31
; %bb.30:                               ;   in Loop: Header=BB65_11 Depth=1
	v_dual_mov_b32 v2, v4 :: v_dual_mov_b32 v3, v5
	ds_store_b64 v15, v[4:5]
.LBB65_31:                              ;   in Loop: Header=BB65_11 Depth=1
	s_or_b32 exec_lo, exec_lo, s8
	;; [unrolled: 10-line block ×5, first 2 shown]
	ds_load_b64 v[4:5], v15 offset:8
	s_waitcnt lgkmcnt(0)
	v_cmp_lt_f64_e32 vcc_lo, v[2:3], v[4:5]
	s_and_b32 exec_lo, exec_lo, vcc_lo
	s_cbranch_execz .LBB65_39
; %bb.38:                               ;   in Loop: Header=BB65_11 Depth=1
	ds_store_b64 v15, v[4:5]
.LBB65_39:                              ;   in Loop: Header=BB65_11 Depth=1
	s_or_b32 exec_lo, exec_lo, s7
.LBB65_40:                              ;   in Loop: Header=BB65_11 Depth=1
	v_mov_b32_e32 v2, 0
	v_mov_b32_e32 v3, 0
	s_mov_b32 s9, exec_lo
	s_waitcnt lgkmcnt(0)
	s_barrier
	buffer_gl0_inv
	v_cmpx_gt_i32_e64 s26, v0
	s_cbranch_execz .LBB65_44
; %bb.41:                               ;   in Loop: Header=BB65_11 Depth=1
	s_lshl_b64 s[48:49], s[46:47], 3
	v_mov_b32_e32 v2, 0
	v_add_co_u32 v4, vcc_lo, v22, s48
	v_add_co_ci_u32_e32 v5, vcc_lo, s49, v23, vcc_lo
	v_dual_mov_b32 v3, 0 :: v_dual_mov_b32 v6, v0
	s_mov_b32 s16, 0
	.p2align	6
.LBB65_42:                              ;   Parent Loop BB65_11 Depth=1
                                        ; =>  This Inner Loop Header: Depth=2
	global_load_b64 v[7:8], v[4:5], off
	v_add_co_u32 v4, s7, 0x800, v4
	s_delay_alu instid0(VALU_DEP_1) | instskip(SKIP_3) | instid1(VALU_DEP_1)
	v_add_co_ci_u32_e64 v5, s7, 0, v5, s7
	s_waitcnt vmcnt(0)
	v_cmp_lt_f64_e64 vcc_lo, v[2:3], |v[7:8]|
	v_dual_cndmask_b32 v2, v2, v7 :: v_dual_and_b32 v9, 0x7fffffff, v8
	v_dual_cndmask_b32 v3, v3, v9 :: v_dual_add_nc_u32 v6, 0x100, v6
	s_delay_alu instid0(VALU_DEP_1) | instskip(NEXT) | instid1(VALU_DEP_1)
	v_cmp_le_i32_e64 s8, s26, v6
	s_or_b32 s16, s8, s16
	s_delay_alu instid0(SALU_CYCLE_1)
	s_and_not1_b32 exec_lo, exec_lo, s16
	s_cbranch_execnz .LBB65_42
; %bb.43:                               ;   in Loop: Header=BB65_11 Depth=1
	s_or_b32 exec_lo, exec_lo, s16
.LBB65_44:                              ;   in Loop: Header=BB65_11 Depth=1
	s_delay_alu instid0(SALU_CYCLE_1)
	s_or_b32 exec_lo, exec_lo, s9
	s_cmp_lt_i32 s26, 2
	ds_store_b64 v15, v[2:3] offset:8
	s_waitcnt lgkmcnt(0)
	s_barrier
	buffer_gl0_inv
	s_cbranch_scc1 .LBB65_67
; %bb.45:                               ;   in Loop: Header=BB65_11 Depth=1
	s_and_saveexec_b32 s7, s2
	s_cbranch_execz .LBB65_49
; %bb.46:                               ;   in Loop: Header=BB65_11 Depth=1
	ds_load_b64 v[4:5], v15 offset:1032
	s_mov_b32 s8, exec_lo
	s_waitcnt lgkmcnt(0)
	v_cmpx_lt_f64_e32 v[2:3], v[4:5]
	s_cbranch_execz .LBB65_48
; %bb.47:                               ;   in Loop: Header=BB65_11 Depth=1
	v_dual_mov_b32 v2, v4 :: v_dual_mov_b32 v3, v5
	ds_store_b64 v15, v[4:5] offset:8
.LBB65_48:                              ;   in Loop: Header=BB65_11 Depth=1
	s_or_b32 exec_lo, exec_lo, s8
.LBB65_49:                              ;   in Loop: Header=BB65_11 Depth=1
	s_delay_alu instid0(SALU_CYCLE_1)
	s_or_b32 exec_lo, exec_lo, s7
	s_waitcnt lgkmcnt(0)
	s_barrier
	buffer_gl0_inv
	s_and_saveexec_b32 s7, s3
	s_cbranch_execz .LBB65_53
; %bb.50:                               ;   in Loop: Header=BB65_11 Depth=1
	ds_load_b64 v[4:5], v15 offset:520
	s_mov_b32 s8, exec_lo
	s_waitcnt lgkmcnt(0)
	v_cmpx_lt_f64_e32 v[2:3], v[4:5]
	s_cbranch_execz .LBB65_52
; %bb.51:                               ;   in Loop: Header=BB65_11 Depth=1
	v_dual_mov_b32 v2, v4 :: v_dual_mov_b32 v3, v5
	ds_store_b64 v15, v[4:5] offset:8
.LBB65_52:                              ;   in Loop: Header=BB65_11 Depth=1
	s_or_b32 exec_lo, exec_lo, s8
.LBB65_53:                              ;   in Loop: Header=BB65_11 Depth=1
	s_delay_alu instid0(SALU_CYCLE_1)
	s_or_b32 exec_lo, exec_lo, s7
	s_waitcnt lgkmcnt(0)
	s_barrier
	buffer_gl0_inv
	s_and_saveexec_b32 s7, s4
	s_cbranch_execz .LBB65_66
; %bb.54:                               ;   in Loop: Header=BB65_11 Depth=1
	ds_load_b64 v[4:5], v15 offset:264
	s_mov_b32 s8, exec_lo
	s_waitcnt lgkmcnt(0)
	v_cmpx_lt_f64_e32 v[2:3], v[4:5]
	s_cbranch_execz .LBB65_56
; %bb.55:                               ;   in Loop: Header=BB65_11 Depth=1
	v_dual_mov_b32 v2, v4 :: v_dual_mov_b32 v3, v5
	ds_store_b64 v15, v[4:5] offset:8
.LBB65_56:                              ;   in Loop: Header=BB65_11 Depth=1
	s_or_b32 exec_lo, exec_lo, s8
	ds_load_b64 v[4:5], v15 offset:136
	s_mov_b32 s8, exec_lo
	s_waitcnt lgkmcnt(0)
	v_cmpx_lt_f64_e32 v[2:3], v[4:5]
	s_cbranch_execz .LBB65_58
; %bb.57:                               ;   in Loop: Header=BB65_11 Depth=1
	v_dual_mov_b32 v2, v4 :: v_dual_mov_b32 v3, v5
	ds_store_b64 v15, v[4:5] offset:8
.LBB65_58:                              ;   in Loop: Header=BB65_11 Depth=1
	s_or_b32 exec_lo, exec_lo, s8
	;; [unrolled: 10-line block ×5, first 2 shown]
	ds_load_b64 v[4:5], v15 offset:16
	s_waitcnt lgkmcnt(0)
	v_cmp_lt_f64_e32 vcc_lo, v[2:3], v[4:5]
	s_and_b32 exec_lo, exec_lo, vcc_lo
	s_cbranch_execz .LBB65_66
; %bb.65:                               ;   in Loop: Header=BB65_11 Depth=1
	ds_store_b64 v15, v[4:5] offset:8
.LBB65_66:                              ;   in Loop: Header=BB65_11 Depth=1
	s_or_b32 exec_lo, exec_lo, s7
.LBB65_67:                              ;   in Loop: Header=BB65_11 Depth=1
	s_lshl_b64 s[8:9], s[46:47], 3
	s_waitcnt lgkmcnt(0)
	s_add_u32 s16, s36, s8
	s_addc_u32 s95, s74, s9
	s_add_u32 s60, s28, s8
	s_addc_u32 s61, s33, s9
	s_barrier
	buffer_gl0_inv
	s_and_saveexec_b32 s52, s5
	s_cbranch_execz .LBB65_82
; %bb.68:                               ;   in Loop: Header=BB65_11 Depth=1
	s_ashr_i32 s45, s44, 31
	s_delay_alu instid0(SALU_CYCLE_1) | instskip(NEXT) | instid1(SALU_CYCLE_1)
	s_lshl_b64 s[48:49], s[44:45], 3
	s_add_u32 s48, s28, s48
	s_addc_u32 s49, s33, s49
	s_clause 0x1
	global_load_b64 v[3:4], v1, s[60:61]
	global_load_b64 v[5:6], v1, s[48:49]
	s_ashr_i32 s27, s26, 31
	s_delay_alu instid0(SALU_CYCLE_1) | instskip(NEXT) | instid1(SALU_CYCLE_1)
	s_lshl_b64 s[48:49], s[26:27], 3
	s_add_u32 s24, s60, s48
	s_addc_u32 s25, s61, s49
	s_waitcnt vmcnt(0)
	v_cmp_ge_f64_e64 s7, |v[3:4]|, |v[5:6]|
	s_delay_alu instid0(VALU_DEP_1)
	s_and_b32 s27, s7, exec_lo
	s_cselect_b32 s49, s61, s25
	s_cselect_b32 s48, s60, s24
	v_cndmask_b32_e64 v2, 0, 1, s7
	global_load_b64 v[7:8], v1, s[48:49]
	s_cmp_lt_i32 s26, 1
	ds_store_b32 v1, v2 offset:2064
	s_waitcnt vmcnt(0)
	v_and_b32_e32 v8, 0x7fffffff, v8
	s_cbranch_scc1 .LBB65_75
; %bb.69:                               ;   in Loop: Header=BB65_11 Depth=1
	s_delay_alu instid0(VALU_DEP_1)
	v_dual_mov_b32 v10, v8 :: v_dual_mov_b32 v9, v7
	s_not_b32 s24, s46
	s_mov_b32 s45, 0
	s_add_i32 s27, s24, s44
	s_branch .LBB65_71
.LBB65_70:                              ;   in Loop: Header=BB65_71 Depth=2
	v_add_f64 v[11:12], v[9:10], |v[11:12]|
	s_add_i32 s45, s45, 1
	s_and_b32 s24, s7, exec_lo
	s_cselect_b32 s54, s45, s27
	s_mov_b32 s53, 0
	s_ashr_i32 s55, s54, 31
	s_delay_alu instid0(SALU_CYCLE_1) | instskip(NEXT) | instid1(SALU_CYCLE_1)
	s_lshl_b64 s[54:55], s[54:55], 3
	s_add_u32 s54, s60, s54
	s_addc_u32 s55, s61, s55
	s_add_i32 s27, s27, -1
	global_load_b64 v[29:30], v1, s[54:55]
	s_cmp_eq_u32 s27, -1
	s_cselect_b32 s54, -1, 0
	v_div_scale_f64 v[25:26], null, v[11:12], v[11:12], v[9:10]
	s_delay_alu instid0(VALU_DEP_1) | instskip(SKIP_2) | instid1(VALU_DEP_1)
	v_rcp_f64_e32 v[27:28], v[25:26]
	s_waitcnt_depctr 0xfff
	v_fma_f64 v[31:32], -v[25:26], v[27:28], 1.0
	v_fma_f64 v[27:28], v[27:28], v[31:32], v[27:28]
	s_delay_alu instid0(VALU_DEP_1) | instskip(NEXT) | instid1(VALU_DEP_1)
	v_fma_f64 v[31:32], -v[25:26], v[27:28], 1.0
	v_fma_f64 v[27:28], v[27:28], v[31:32], v[27:28]
	v_div_scale_f64 v[31:32], vcc_lo, v[9:10], v[11:12], v[9:10]
	s_delay_alu instid0(VALU_DEP_1) | instskip(NEXT) | instid1(VALU_DEP_1)
	v_mul_f64 v[33:34], v[31:32], v[27:28]
	v_fma_f64 v[25:26], -v[25:26], v[33:34], v[31:32]
	s_delay_alu instid0(VALU_DEP_1) | instskip(NEXT) | instid1(VALU_DEP_1)
	v_div_fmas_f64 v[25:26], v[25:26], v[27:28], v[33:34]
	v_div_fixup_f64 v[9:10], v[25:26], v[11:12], v[9:10]
	s_waitcnt vmcnt(0)
	s_delay_alu instid0(VALU_DEP_1) | instskip(NEXT) | instid1(VALU_DEP_1)
	v_mul_f64 v[9:10], v[9:10], |v[29:30]|
	v_cmp_lt_f64_e32 vcc_lo, v[9:10], v[7:8]
	v_dual_cndmask_b32 v8, v8, v10 :: v_dual_cndmask_b32 v7, v7, v9
	s_and_not1_b32 vcc_lo, exec_lo, s54
	s_cbranch_vccz .LBB65_73
.LBB65_71:                              ;   Parent Loop BB65_11 Depth=1
                                        ; =>  This Inner Loop Header: Depth=2
	s_and_b32 s24, s7, exec_lo
	s_cselect_b32 s48, s45, s27
	v_mul_f64 v[25:26], v[9:10], s[20:21]
	s_ashr_i32 s49, s48, 31
	s_delay_alu instid0(SALU_CYCLE_1) | instskip(NEXT) | instid1(SALU_CYCLE_1)
	s_lshl_b64 s[48:49], s[48:49], 3
	s_add_u32 s48, s16, s48
	s_addc_u32 s49, s95, s49
	global_load_b64 v[11:12], v1, s[48:49]
	s_waitcnt vmcnt(0)
	v_cmp_nle_f64_e64 s24, |v[11:12]|, v[25:26]
	s_delay_alu instid0(VALU_DEP_1)
	s_and_b32 vcc_lo, exec_lo, s24
	s_cbranch_vccnz .LBB65_70
; %bb.72:                               ;   in Loop: Header=BB65_11 Depth=1
	s_mov_b32 s53, -1
                                        ; implicit-def: $vgpr9_vgpr10
                                        ; implicit-def: $sgpr27
                                        ; implicit-def: $sgpr45
                                        ; implicit-def: $vgpr7_vgpr8
.LBB65_73:                              ;   in Loop: Header=BB65_11 Depth=1
	s_delay_alu instid0(SALU_CYCLE_1)
	s_and_b32 vcc_lo, exec_lo, s53
	s_cbranch_vccz .LBB65_75
; %bb.74:                               ;   in Loop: Header=BB65_11 Depth=1
	v_dual_mov_b32 v2, v1 :: v_dual_mov_b32 v7, 0
	v_mov_b32_e32 v8, 0xbff00000
	global_store_b64 v1, v[1:2], s[48:49]
.LBB65_75:                              ;   in Loop: Header=BB65_11 Depth=1
	s_delay_alu instid0(VALU_DEP_1)
	v_cmp_nle_f64_e32 vcc_lo, 0, v[7:8]
	v_and_b32_e32 v2, 0x7fffffff, v4
	v_and_b32_e32 v4, 0x7fffffff, v6
	ds_store_b64 v1, v[7:8] offset:2056
	ds_store_b8 v1, v1 offset:2068
	s_cbranch_vccnz .LBB65_82
; %bb.76:                               ;   in Loop: Header=BB65_11 Depth=1
	ds_load_b128 v[9:12], v1
	s_mov_b32 s27, -1
	s_waitcnt lgkmcnt(0)
	v_cmp_lt_f64_e32 vcc_lo, v[9:10], v[11:12]
	v_dual_cndmask_b32 v10, v10, v12 :: v_dual_cndmask_b32 v9, v9, v11
	s_delay_alu instid0(VALU_DEP_1) | instskip(NEXT) | instid1(VALU_DEP_1)
	v_div_scale_f64 v[11:12], null, v[9:10], v[9:10], v[7:8]
	v_rcp_f64_e32 v[25:26], v[11:12]
	s_waitcnt_depctr 0xfff
	v_fma_f64 v[27:28], -v[11:12], v[25:26], 1.0
	s_delay_alu instid0(VALU_DEP_1) | instskip(NEXT) | instid1(VALU_DEP_1)
	v_fma_f64 v[25:26], v[25:26], v[27:28], v[25:26]
	v_fma_f64 v[27:28], -v[11:12], v[25:26], 1.0
	s_delay_alu instid0(VALU_DEP_1) | instskip(SKIP_1) | instid1(VALU_DEP_1)
	v_fma_f64 v[25:26], v[25:26], v[27:28], v[25:26]
	v_div_scale_f64 v[27:28], vcc_lo, v[7:8], v[9:10], v[7:8]
	v_mul_f64 v[29:30], v[27:28], v[25:26]
	s_delay_alu instid0(VALU_DEP_1) | instskip(NEXT) | instid1(VALU_DEP_1)
	v_fma_f64 v[11:12], -v[11:12], v[29:30], v[27:28]
	v_div_fmas_f64 v[11:12], v[11:12], v[25:26], v[29:30]
	s_delay_alu instid0(VALU_DEP_1) | instskip(NEXT) | instid1(VALU_DEP_1)
	v_div_fixup_f64 v[9:10], v[11:12], v[9:10], v[7:8]
	v_cmp_ge_f64_e32 vcc_lo, s[22:23], v[9:10]
	s_cbranch_vccnz .LBB65_79
; %bb.77:                               ;   in Loop: Header=BB65_11 Depth=1
	v_cndmask_b32_e64 v4, v4, v2, s7
	v_cndmask_b32_e64 v3, v5, v3, s7
	s_mov_b32 s27, 0
	s_delay_alu instid0(VALU_DEP_1)
	v_cmp_lt_f64_e32 vcc_lo, 0, v[3:4]
	s_cbranch_vccz .LBB65_79
; %bb.78:                               ;   in Loop: Header=BB65_11 Depth=1
	v_mul_f64 v[5:6], v[7:8], v[7:8]
	s_delay_alu instid0(VALU_DEP_1) | instskip(SKIP_1) | instid1(VALU_DEP_2)
	v_div_scale_f64 v[7:8], null, v[3:4], v[3:4], v[5:6]
	v_div_scale_f64 v[25:26], vcc_lo, v[5:6], v[3:4], v[5:6]
	v_rcp_f64_e32 v[9:10], v[7:8]
	s_waitcnt_depctr 0xfff
	v_fma_f64 v[11:12], -v[7:8], v[9:10], 1.0
	s_delay_alu instid0(VALU_DEP_1) | instskip(NEXT) | instid1(VALU_DEP_1)
	v_fma_f64 v[9:10], v[9:10], v[11:12], v[9:10]
	v_fma_f64 v[11:12], -v[7:8], v[9:10], 1.0
	s_delay_alu instid0(VALU_DEP_1) | instskip(NEXT) | instid1(VALU_DEP_1)
	v_fma_f64 v[9:10], v[9:10], v[11:12], v[9:10]
	v_mul_f64 v[11:12], v[25:26], v[9:10]
	s_delay_alu instid0(VALU_DEP_1) | instskip(NEXT) | instid1(VALU_DEP_1)
	v_fma_f64 v[7:8], -v[7:8], v[11:12], v[25:26]
	v_div_fmas_f64 v[7:8], v[7:8], v[9:10], v[11:12]
	s_delay_alu instid0(VALU_DEP_1) | instskip(NEXT) | instid1(VALU_DEP_1)
	v_div_fixup_f64 v[5:6], v[7:8], v[3:4], v[5:6]
	v_div_scale_f64 v[7:8], null, v[3:4], v[3:4], v[5:6]
	s_delay_alu instid0(VALU_DEP_1) | instskip(SKIP_2) | instid1(VALU_DEP_1)
	v_rcp_f64_e32 v[9:10], v[7:8]
	s_waitcnt_depctr 0xfff
	v_fma_f64 v[11:12], -v[7:8], v[9:10], 1.0
	v_fma_f64 v[9:10], v[9:10], v[11:12], v[9:10]
	s_delay_alu instid0(VALU_DEP_1) | instskip(NEXT) | instid1(VALU_DEP_1)
	v_fma_f64 v[11:12], -v[7:8], v[9:10], 1.0
	v_fma_f64 v[9:10], v[9:10], v[11:12], v[9:10]
	v_div_scale_f64 v[11:12], vcc_lo, v[5:6], v[3:4], v[5:6]
	s_delay_alu instid0(VALU_DEP_1) | instskip(NEXT) | instid1(VALU_DEP_1)
	v_mul_f64 v[25:26], v[11:12], v[9:10]
	v_fma_f64 v[7:8], -v[7:8], v[25:26], v[11:12]
	s_delay_alu instid0(VALU_DEP_1) | instskip(NEXT) | instid1(VALU_DEP_1)
	v_div_fmas_f64 v[7:8], v[7:8], v[9:10], v[25:26]
	v_div_fixup_f64 v[2:3], v[7:8], v[3:4], v[5:6]
	s_delay_alu instid0(VALU_DEP_1)
	v_cmp_gt_f64_e64 s27, s[90:91], v[2:3]
.LBB65_79:                              ;   in Loop: Header=BB65_11 Depth=1
	s_delay_alu instid0(VALU_DEP_1)
	s_and_b32 vcc_lo, exec_lo, s27
	s_cbranch_vccz .LBB65_81
; %bb.80:                               ;   in Loop: Header=BB65_11 Depth=1
	v_mov_b32_e32 v2, v1
	ds_store_b64 v1, v[1:2] offset:2056
.LBB65_81:                              ;   in Loop: Header=BB65_11 Depth=1
	ds_store_b8 v1, v24 offset:2068
.LBB65_82:                              ;   in Loop: Header=BB65_11 Depth=1
	s_or_b32 exec_lo, exec_lo, s52
	s_waitcnt lgkmcnt(0)
	s_waitcnt_vscnt null, 0x0
	s_barrier
	buffer_gl0_inv
	ds_load_u8 v2, v1 offset:2068
	s_mov_b32 s7, -1
	s_waitcnt lgkmcnt(0)
	v_cmp_eq_u32_e32 vcc_lo, 0, v2
	s_cbranch_vccz .LBB65_86
; %bb.83:                               ;   in Loop: Header=BB65_11 Depth=1
	s_and_saveexec_b32 s7, s5
	s_cbranch_execz .LBB65_85
; %bb.84:                               ;   in Loop: Header=BB65_11 Depth=1
	global_store_b32 v1, v1, s[50:51]
.LBB65_85:                              ;   in Loop: Header=BB65_11 Depth=1
	s_or_b32 exec_lo, exec_lo, s7
	s_mov_b32 s7, 0
.LBB65_86:                              ;   in Loop: Header=BB65_11 Depth=1
	s_delay_alu instid0(SALU_CYCLE_1)
	s_and_not1_b32 vcc_lo, exec_lo, s7
	s_cbranch_vccnz .LBB65_10
; %bb.87:                               ;   in Loop: Header=BB65_11 Depth=1
	ds_load_b32 v2, v1 offset:2064
	s_waitcnt lgkmcnt(0)
	v_readfirstlane_b32 s48, v2
	s_and_saveexec_b32 s7, s5
	s_cbranch_execz .LBB65_89
; %bb.88:                               ;   in Loop: Header=BB65_11 Depth=1
	s_delay_alu instid0(VALU_DEP_1) | instskip(SKIP_1) | instid1(SALU_CYCLE_1)
	s_cmp_eq_u32 s48, 0
	s_cselect_b32 s24, -1, 1
	v_mov_b32_e32 v2, s24
	global_store_b32 v1, v2, s[50:51]
.LBB65_89:                              ;   in Loop: Header=BB65_11 Depth=1
	s_or_b32 exec_lo, exec_lo, s7
	s_add_i32 s56, s26, 1
	s_mul_i32 s50, s46, s77
	s_sub_i32 s54, 1, s48
	s_ashr_i32 s51, s50, 31
	s_sub_i32 s52, s48, s54
	s_lshl_b32 s7, s56, 1
	s_and_b32 s24, s75, exec_lo
	s_cselect_b32 s27, s7, 0
	s_and_saveexec_b32 s7, s5
	s_cbranch_execz .LBB65_160
; %bb.90:                               ;   in Loop: Header=BB65_11 Depth=1
	s_cmp_lg_u32 s48, 0
	v_mov_b32_e32 v4, 0
	s_cselect_b32 s45, -1, 0
	v_mov_b32_e32 v5, 0
	s_and_b32 s24, s45, exec_lo
	s_cselect_b32 s58, 0, s26
	s_delay_alu instid0(SALU_CYCLE_1) | instskip(NEXT) | instid1(SALU_CYCLE_1)
	s_ashr_i32 s59, s58, 31
	s_lshl_b64 s[62:63], s[58:59], 3
	s_delay_alu instid0(SALU_CYCLE_1)
	s_add_u32 s60, s60, s62
	s_addc_u32 s61, s61, s63
	global_load_b64 v[6:7], v1, s[60:61]
	s_waitcnt vmcnt(0)
	v_cmp_eq_f64_e32 vcc_lo, 0, v[6:7]
	s_cbranch_vccnz .LBB65_92
; %bb.91:                               ;   in Loop: Header=BB65_11 Depth=1
	ds_load_b64 v[2:3], v1 offset:2056
	s_waitcnt lgkmcnt(0)
	v_div_scale_f64 v[4:5], null, v[6:7], v[6:7], v[2:3]
	s_delay_alu instid0(VALU_DEP_1) | instskip(SKIP_2) | instid1(VALU_DEP_1)
	v_rcp_f64_e32 v[8:9], v[4:5]
	s_waitcnt_depctr 0xfff
	v_fma_f64 v[10:11], -v[4:5], v[8:9], 1.0
	v_fma_f64 v[8:9], v[8:9], v[10:11], v[8:9]
	s_delay_alu instid0(VALU_DEP_1) | instskip(NEXT) | instid1(VALU_DEP_1)
	v_fma_f64 v[10:11], -v[4:5], v[8:9], 1.0
	v_fma_f64 v[8:9], v[8:9], v[10:11], v[8:9]
	v_div_scale_f64 v[10:11], vcc_lo, v[2:3], v[6:7], v[2:3]
	s_delay_alu instid0(VALU_DEP_1) | instskip(NEXT) | instid1(VALU_DEP_1)
	v_mul_f64 v[12:13], v[10:11], v[8:9]
	v_fma_f64 v[4:5], -v[4:5], v[12:13], v[10:11]
	s_delay_alu instid0(VALU_DEP_1) | instskip(SKIP_1) | instid1(VALU_DEP_2)
	v_div_fmas_f64 v[4:5], v[4:5], v[8:9], v[12:13]
	v_cmp_lt_f64_e32 vcc_lo, 0, v[6:7]
	v_div_fixup_f64 v[4:5], v[4:5], v[6:7], v[2:3]
	v_cndmask_b32_e64 v8, 0, 1, vcc_lo
	v_cmp_gt_f64_e32 vcc_lo, 0, v[6:7]
	v_add_f64 v[2:3], |v[6:7]|, -v[2:3]
	s_delay_alu instid0(VALU_DEP_3) | instskip(NEXT) | instid1(VALU_DEP_1)
	v_subrev_co_ci_u32_e32 v8, vcc_lo, 0, v8, vcc_lo
	v_cvt_f64_i32_e32 v[8:9], v8
	s_delay_alu instid0(VALU_DEP_1) | instskip(NEXT) | instid1(VALU_DEP_1)
	v_add_f64 v[4:5], v[4:5], v[8:9]
	v_mul_f64 v[4:5], v[2:3], v[4:5]
.LBB65_92:                              ;   in Loop: Header=BB65_11 Depth=1
	s_cmp_gt_i32 s26, 0
	s_cbranch_scc1 .LBB65_94
; %bb.93:                               ;   in Loop: Header=BB65_11 Depth=1
	s_add_i32 s53, s26, -1
	s_cbranch_execz .LBB65_95
	s_branch .LBB65_159
.LBB65_94:                              ;   in Loop: Header=BB65_11 Depth=1
                                        ; implicit-def: $sgpr53
.LBB65_95:                              ;   in Loop: Header=BB65_11 Depth=1
	s_ashr_i32 s49, s48, 31
	s_sub_u32 s53, 0, s48
	s_subb_u32 s57, 0, s49
	s_add_u32 s62, s58, s48
	s_addc_u32 s63, s59, s49
	v_mov_b32_e32 v12, 0
	s_lshl_b64 s[64:65], s[62:63], 3
	v_mov_b32_e32 v13, 0
	s_add_u32 s66, s16, s64
	s_addc_u32 s67, s95, s65
	global_load_b64 v[8:9], v1, s[66:67] offset:-8
	s_waitcnt vmcnt(0)
	v_cmp_eq_f64_e32 vcc_lo, 0, v[8:9]
	s_cbranch_vccnz .LBB65_99
; %bb.96:                               ;   in Loop: Header=BB65_11 Depth=1
	v_cmp_eq_f64_e32 vcc_lo, 0, v[4:5]
	v_mov_b32_e32 v10, 0
	v_mov_b32_e32 v11, 0
	s_cbranch_vccnz .LBB65_100
; %bb.97:                               ;   in Loop: Header=BB65_11 Depth=1
	v_cmp_gt_f64_e64 s24, |v[8:9]|, |v[4:5]|
	s_delay_alu instid0(VALU_DEP_1)
	s_and_b32 vcc_lo, exec_lo, s24
	s_cbranch_vccnz .LBB65_101
; %bb.98:                               ;   in Loop: Header=BB65_11 Depth=1
	v_div_scale_f64 v[2:3], null, v[4:5], v[4:5], -v[8:9]
	v_div_scale_f64 v[25:26], vcc_lo, -v[8:9], v[4:5], -v[8:9]
	s_mov_b32 s55, 0
	s_delay_alu instid0(VALU_DEP_2) | instskip(SKIP_2) | instid1(VALU_DEP_1)
	v_rcp_f64_e32 v[10:11], v[2:3]
	s_waitcnt_depctr 0xfff
	v_fma_f64 v[12:13], -v[2:3], v[10:11], 1.0
	v_fma_f64 v[10:11], v[10:11], v[12:13], v[10:11]
	s_delay_alu instid0(VALU_DEP_1) | instskip(NEXT) | instid1(VALU_DEP_1)
	v_fma_f64 v[12:13], -v[2:3], v[10:11], 1.0
	v_fma_f64 v[10:11], v[10:11], v[12:13], v[10:11]
	s_delay_alu instid0(VALU_DEP_1) | instskip(NEXT) | instid1(VALU_DEP_1)
	v_mul_f64 v[12:13], v[25:26], v[10:11]
	v_fma_f64 v[2:3], -v[2:3], v[12:13], v[25:26]
	s_delay_alu instid0(VALU_DEP_1) | instskip(NEXT) | instid1(VALU_DEP_1)
	v_div_fmas_f64 v[2:3], v[2:3], v[10:11], v[12:13]
	v_div_fixup_f64 v[2:3], v[2:3], v[4:5], -v[8:9]
	s_delay_alu instid0(VALU_DEP_1) | instskip(NEXT) | instid1(VALU_DEP_1)
	v_fma_f64 v[10:11], v[2:3], v[2:3], 1.0
	v_cmp_gt_f64_e32 vcc_lo, 0x10000000, v[10:11]
	v_cndmask_b32_e64 v12, 0, 1, vcc_lo
	s_and_b32 s24, vcc_lo, exec_lo
	s_cselect_b32 s24, 0xffffff80, 0
	s_delay_alu instid0(VALU_DEP_1) | instskip(NEXT) | instid1(VALU_DEP_1)
	v_lshlrev_b32_e32 v12, 8, v12
	v_ldexp_f64 v[10:11], v[10:11], v12
	s_delay_alu instid0(VALU_DEP_1) | instskip(SKIP_4) | instid1(VALU_DEP_1)
	v_rsq_f64_e32 v[12:13], v[10:11]
	v_cmp_class_f64_e64 vcc_lo, v[10:11], 0x260
	s_waitcnt_depctr 0xfff
	v_mul_f64 v[25:26], v[10:11], v[12:13]
	v_mul_f64 v[12:13], v[12:13], 0.5
	v_fma_f64 v[27:28], -v[12:13], v[25:26], 0.5
	s_delay_alu instid0(VALU_DEP_1) | instskip(SKIP_1) | instid1(VALU_DEP_2)
	v_fma_f64 v[25:26], v[25:26], v[27:28], v[25:26]
	v_fma_f64 v[12:13], v[12:13], v[27:28], v[12:13]
	v_fma_f64 v[27:28], -v[25:26], v[25:26], v[10:11]
	s_delay_alu instid0(VALU_DEP_1) | instskip(NEXT) | instid1(VALU_DEP_1)
	v_fma_f64 v[25:26], v[27:28], v[12:13], v[25:26]
	v_fma_f64 v[27:28], -v[25:26], v[25:26], v[10:11]
	s_delay_alu instid0(VALU_DEP_1) | instskip(NEXT) | instid1(VALU_DEP_1)
	v_fma_f64 v[12:13], v[27:28], v[12:13], v[25:26]
	v_ldexp_f64 v[12:13], v[12:13], s24
	s_delay_alu instid0(VALU_DEP_1) | instskip(NEXT) | instid1(VALU_DEP_1)
	v_dual_cndmask_b32 v11, v13, v11 :: v_dual_cndmask_b32 v10, v12, v10
	v_div_scale_f64 v[12:13], null, v[10:11], v[10:11], 1.0
	s_delay_alu instid0(VALU_DEP_1) | instskip(SKIP_2) | instid1(VALU_DEP_1)
	v_rcp_f64_e32 v[25:26], v[12:13]
	s_waitcnt_depctr 0xfff
	v_fma_f64 v[27:28], -v[12:13], v[25:26], 1.0
	v_fma_f64 v[25:26], v[25:26], v[27:28], v[25:26]
	s_delay_alu instid0(VALU_DEP_1) | instskip(NEXT) | instid1(VALU_DEP_1)
	v_fma_f64 v[27:28], -v[12:13], v[25:26], 1.0
	v_fma_f64 v[25:26], v[25:26], v[27:28], v[25:26]
	v_div_scale_f64 v[27:28], vcc_lo, 1.0, v[10:11], 1.0
	s_delay_alu instid0(VALU_DEP_1) | instskip(NEXT) | instid1(VALU_DEP_1)
	v_mul_f64 v[29:30], v[27:28], v[25:26]
	v_fma_f64 v[12:13], -v[12:13], v[29:30], v[27:28]
	s_delay_alu instid0(VALU_DEP_1) | instskip(NEXT) | instid1(VALU_DEP_1)
	v_div_fmas_f64 v[12:13], v[12:13], v[25:26], v[29:30]
	v_div_fixup_f64 v[10:11], v[12:13], v[10:11], 1.0
	s_delay_alu instid0(VALU_DEP_1)
	v_mul_f64 v[12:13], v[2:3], v[10:11]
	s_branch .LBB65_102
.LBB65_99:                              ;   in Loop: Header=BB65_11 Depth=1
	v_mov_b32_e32 v10, 0
	v_mov_b32_e32 v11, 0x3ff00000
	s_branch .LBB65_104
.LBB65_100:                             ;   in Loop: Header=BB65_11 Depth=1
	v_mov_b32_e32 v12, 0
	v_mov_b32_e32 v13, 0x3ff00000
	s_branch .LBB65_104
.LBB65_101:                             ;   in Loop: Header=BB65_11 Depth=1
	s_mov_b32 s55, -1
                                        ; implicit-def: $vgpr12_vgpr13
                                        ; implicit-def: $vgpr10_vgpr11
.LBB65_102:                             ;   in Loop: Header=BB65_11 Depth=1
	s_delay_alu instid0(SALU_CYCLE_1)
	s_and_not1_b32 vcc_lo, exec_lo, s55
	s_cbranch_vccnz .LBB65_104
; %bb.103:                              ;   in Loop: Header=BB65_11 Depth=1
	v_div_scale_f64 v[2:3], null, v[8:9], v[8:9], -v[4:5]
	v_div_scale_f64 v[25:26], vcc_lo, -v[4:5], v[8:9], -v[4:5]
	s_delay_alu instid0(VALU_DEP_2) | instskip(SKIP_2) | instid1(VALU_DEP_1)
	v_rcp_f64_e32 v[10:11], v[2:3]
	s_waitcnt_depctr 0xfff
	v_fma_f64 v[12:13], -v[2:3], v[10:11], 1.0
	v_fma_f64 v[10:11], v[10:11], v[12:13], v[10:11]
	s_delay_alu instid0(VALU_DEP_1) | instskip(NEXT) | instid1(VALU_DEP_1)
	v_fma_f64 v[12:13], -v[2:3], v[10:11], 1.0
	v_fma_f64 v[10:11], v[10:11], v[12:13], v[10:11]
	s_delay_alu instid0(VALU_DEP_1) | instskip(NEXT) | instid1(VALU_DEP_1)
	v_mul_f64 v[12:13], v[25:26], v[10:11]
	v_fma_f64 v[2:3], -v[2:3], v[12:13], v[25:26]
	s_delay_alu instid0(VALU_DEP_1) | instskip(NEXT) | instid1(VALU_DEP_1)
	v_div_fmas_f64 v[2:3], v[2:3], v[10:11], v[12:13]
	v_div_fixup_f64 v[2:3], v[2:3], v[8:9], -v[4:5]
	s_delay_alu instid0(VALU_DEP_1) | instskip(NEXT) | instid1(VALU_DEP_1)
	v_fma_f64 v[4:5], v[2:3], v[2:3], 1.0
	v_cmp_gt_f64_e32 vcc_lo, 0x10000000, v[4:5]
	v_cndmask_b32_e64 v10, 0, 1, vcc_lo
	s_and_b32 s24, vcc_lo, exec_lo
	s_cselect_b32 s24, 0xffffff80, 0
	s_delay_alu instid0(VALU_DEP_1) | instskip(NEXT) | instid1(VALU_DEP_1)
	v_lshlrev_b32_e32 v10, 8, v10
	v_ldexp_f64 v[4:5], v[4:5], v10
	s_delay_alu instid0(VALU_DEP_1) | instskip(SKIP_4) | instid1(VALU_DEP_1)
	v_rsq_f64_e32 v[10:11], v[4:5]
	v_cmp_class_f64_e64 vcc_lo, v[4:5], 0x260
	s_waitcnt_depctr 0xfff
	v_mul_f64 v[12:13], v[4:5], v[10:11]
	v_mul_f64 v[10:11], v[10:11], 0.5
	v_fma_f64 v[25:26], -v[10:11], v[12:13], 0.5
	s_delay_alu instid0(VALU_DEP_1) | instskip(SKIP_1) | instid1(VALU_DEP_2)
	v_fma_f64 v[12:13], v[12:13], v[25:26], v[12:13]
	v_fma_f64 v[10:11], v[10:11], v[25:26], v[10:11]
	v_fma_f64 v[25:26], -v[12:13], v[12:13], v[4:5]
	s_delay_alu instid0(VALU_DEP_1) | instskip(NEXT) | instid1(VALU_DEP_1)
	v_fma_f64 v[12:13], v[25:26], v[10:11], v[12:13]
	v_fma_f64 v[25:26], -v[12:13], v[12:13], v[4:5]
	s_delay_alu instid0(VALU_DEP_1) | instskip(NEXT) | instid1(VALU_DEP_1)
	v_fma_f64 v[10:11], v[25:26], v[10:11], v[12:13]
	v_ldexp_f64 v[10:11], v[10:11], s24
	s_delay_alu instid0(VALU_DEP_1) | instskip(NEXT) | instid1(VALU_DEP_1)
	v_dual_cndmask_b32 v5, v11, v5 :: v_dual_cndmask_b32 v4, v10, v4
	v_div_scale_f64 v[10:11], null, v[4:5], v[4:5], 1.0
	s_delay_alu instid0(VALU_DEP_1) | instskip(SKIP_2) | instid1(VALU_DEP_1)
	v_rcp_f64_e32 v[12:13], v[10:11]
	s_waitcnt_depctr 0xfff
	v_fma_f64 v[25:26], -v[10:11], v[12:13], 1.0
	v_fma_f64 v[12:13], v[12:13], v[25:26], v[12:13]
	s_delay_alu instid0(VALU_DEP_1) | instskip(NEXT) | instid1(VALU_DEP_1)
	v_fma_f64 v[25:26], -v[10:11], v[12:13], 1.0
	v_fma_f64 v[12:13], v[12:13], v[25:26], v[12:13]
	v_div_scale_f64 v[25:26], vcc_lo, 1.0, v[4:5], 1.0
	s_delay_alu instid0(VALU_DEP_1) | instskip(NEXT) | instid1(VALU_DEP_1)
	v_mul_f64 v[27:28], v[25:26], v[12:13]
	v_fma_f64 v[10:11], -v[10:11], v[27:28], v[25:26]
	s_delay_alu instid0(VALU_DEP_1) | instskip(NEXT) | instid1(VALU_DEP_1)
	v_div_fmas_f64 v[10:11], v[10:11], v[12:13], v[27:28]
	v_div_fixup_f64 v[12:13], v[10:11], v[4:5], 1.0
	s_delay_alu instid0(VALU_DEP_1)
	v_mul_f64 v[10:11], v[2:3], v[12:13]
.LBB65_104:                             ;   in Loop: Header=BB65_11 Depth=1
	s_delay_alu instid0(VALU_DEP_1)
	v_mul_f64 v[2:3], v[6:7], v[12:13]
	s_lshl_b64 s[68:69], s[50:51], 3
	s_and_b32 s24, s75, s45
	s_add_u32 s25, s40, s68
	s_addc_u32 s59, s41, s69
	s_add_u32 s55, s25, 32
	s_addc_u32 s59, s59, 0
	s_sub_u32 s70, s48, s53
	s_subb_u32 s71, s49, s57
	v_cndmask_b32_e64 v25, 0, 1, s24
	s_lshl_b64 s[72:73], s[70:71], 3
	s_delay_alu instid0(SALU_CYCLE_1) | instskip(SKIP_2) | instid1(VALU_DEP_2)
	s_add_u32 s72, s60, s72
	s_addc_u32 s73, s61, s73
	s_and_not1_b32 vcc_lo, exec_lo, s24
	v_fma_f64 v[2:3], v[8:9], v[10:11], v[2:3]
	global_store_b64 v1, v[2:3], s[66:67] offset:-8
	global_load_b64 v[2:3], v1, s[72:73] offset:-8
	s_waitcnt vmcnt(0)
	v_mul_f64 v[4:5], v[10:11], v[2:3]
	global_store_b64 v1, v[4:5], s[72:73] offset:-8
	s_cbranch_vccnz .LBB65_106
; %bb.105:                              ;   in Loop: Header=BB65_11 Depth=1
	s_add_u32 s96, s55, s64
	s_addc_u32 s97, s59, s65
	s_ashr_i32 s57, s56, 31
	s_delay_alu instid0(SALU_CYCLE_1) | instskip(NEXT) | instid1(SALU_CYCLE_1)
	s_lshl_b64 s[98:99], s[56:57], 3
	s_add_u32 s98, s96, s98
	s_addc_u32 s99, s97, s99
	s_clause 0x1
	global_store_b64 v1, v[10:11], s[96:97] offset:-8
	global_store_b64 v1, v[12:13], s[98:99] offset:-8
.LBB65_106:                             ;   in Loop: Header=BB65_11 Depth=1
	s_cmp_lg_u32 s48, 1
	s_cselect_b32 s97, -1, 0
	s_cmp_eq_u32 s48, 1
	s_cselect_b32 s24, -1, 0
	s_delay_alu instid0(SALU_CYCLE_1) | instskip(NEXT) | instid1(SALU_CYCLE_1)
	s_or_b32 s96, s79, s24
	s_and_b32 vcc_lo, exec_lo, s96
	s_cbranch_vccnz .LBB65_108
; %bb.107:                              ;   in Loop: Header=BB65_11 Depth=1
	s_ashr_i32 s24, s27, 31
	s_add_u32 s98, s62, s27
	s_addc_u32 s99, s63, s24
	s_delay_alu instid0(SALU_CYCLE_1) | instskip(NEXT) | instid1(SALU_CYCLE_1)
	s_lshl_b64 s[98:99], s[98:99], 3
	s_add_u32 s98, s55, s98
	s_addc_u32 s99, s59, s99
	s_ashr_i32 s57, s56, 31
	s_delay_alu instid0(SALU_CYCLE_1) | instskip(NEXT) | instid1(SALU_CYCLE_1)
	s_lshl_b64 s[100:101], s[56:57], 3
	s_add_u32 s100, s98, s100
	s_addc_u32 s101, s99, s101
	s_clause 0x1
	global_store_b64 v1, v[10:11], s[98:99] offset:-8
	global_store_b64 v1, v[12:13], s[100:101] offset:-8
.LBB65_108:                             ;   in Loop: Header=BB65_11 Depth=1
	v_mul_f64 v[2:3], v[2:3], -v[12:13]
	v_mul_f64 v[4:5], v[8:9], v[12:13]
	s_delay_alu instid0(VALU_DEP_2) | instskip(NEXT) | instid1(VALU_DEP_2)
	v_cmp_eq_f64_e32 vcc_lo, 0, v[2:3]
	v_fma_f64 v[4:5], v[6:7], v[10:11], -v[4:5]
	v_mov_b32_e32 v6, 0
	v_mov_b32_e32 v7, 0
	s_cbranch_vccnz .LBB65_112
; %bb.109:                              ;   in Loop: Header=BB65_11 Depth=1
	s_delay_alu instid0(VALU_DEP_3)
	v_cmp_eq_f64_e32 vcc_lo, 0, v[4:5]
	s_cbranch_vccnz .LBB65_113
; %bb.110:                              ;   in Loop: Header=BB65_11 Depth=1
	v_cmp_gt_f64_e64 s24, |v[2:3]|, |v[4:5]|
	s_delay_alu instid0(VALU_DEP_1)
	s_and_b32 vcc_lo, exec_lo, s24
	s_cbranch_vccnz .LBB65_114
; %bb.111:                              ;   in Loop: Header=BB65_11 Depth=1
	v_div_scale_f64 v[6:7], null, v[4:5], v[4:5], -v[2:3]
	v_div_scale_f64 v[12:13], vcc_lo, -v[2:3], v[4:5], -v[2:3]
	s_mov_b32 s53, 0
	s_delay_alu instid0(VALU_DEP_2) | instskip(SKIP_2) | instid1(VALU_DEP_1)
	v_rcp_f64_e32 v[8:9], v[6:7]
	s_waitcnt_depctr 0xfff
	v_fma_f64 v[10:11], -v[6:7], v[8:9], 1.0
	v_fma_f64 v[8:9], v[8:9], v[10:11], v[8:9]
	s_delay_alu instid0(VALU_DEP_1) | instskip(NEXT) | instid1(VALU_DEP_1)
	v_fma_f64 v[10:11], -v[6:7], v[8:9], 1.0
	v_fma_f64 v[8:9], v[8:9], v[10:11], v[8:9]
	s_delay_alu instid0(VALU_DEP_1) | instskip(NEXT) | instid1(VALU_DEP_1)
	v_mul_f64 v[10:11], v[12:13], v[8:9]
	v_fma_f64 v[6:7], -v[6:7], v[10:11], v[12:13]
	s_delay_alu instid0(VALU_DEP_1) | instskip(NEXT) | instid1(VALU_DEP_1)
	v_div_fmas_f64 v[6:7], v[6:7], v[8:9], v[10:11]
	v_div_fixup_f64 v[6:7], v[6:7], v[4:5], -v[2:3]
	s_delay_alu instid0(VALU_DEP_1) | instskip(NEXT) | instid1(VALU_DEP_1)
	v_fma_f64 v[8:9], v[6:7], v[6:7], 1.0
	v_cmp_gt_f64_e32 vcc_lo, 0x10000000, v[8:9]
	v_cndmask_b32_e64 v10, 0, 1, vcc_lo
	s_and_b32 s24, vcc_lo, exec_lo
	s_cselect_b32 s24, 0xffffff80, 0
	s_delay_alu instid0(VALU_DEP_1) | instskip(NEXT) | instid1(VALU_DEP_1)
	v_lshlrev_b32_e32 v10, 8, v10
	v_ldexp_f64 v[8:9], v[8:9], v10
	s_delay_alu instid0(VALU_DEP_1) | instskip(SKIP_4) | instid1(VALU_DEP_1)
	v_rsq_f64_e32 v[10:11], v[8:9]
	v_cmp_class_f64_e64 vcc_lo, v[8:9], 0x260
	s_waitcnt_depctr 0xfff
	v_mul_f64 v[12:13], v[8:9], v[10:11]
	v_mul_f64 v[10:11], v[10:11], 0.5
	v_fma_f64 v[26:27], -v[10:11], v[12:13], 0.5
	s_delay_alu instid0(VALU_DEP_1) | instskip(SKIP_1) | instid1(VALU_DEP_2)
	v_fma_f64 v[12:13], v[12:13], v[26:27], v[12:13]
	v_fma_f64 v[10:11], v[10:11], v[26:27], v[10:11]
	v_fma_f64 v[26:27], -v[12:13], v[12:13], v[8:9]
	s_delay_alu instid0(VALU_DEP_1) | instskip(NEXT) | instid1(VALU_DEP_1)
	v_fma_f64 v[12:13], v[26:27], v[10:11], v[12:13]
	v_fma_f64 v[26:27], -v[12:13], v[12:13], v[8:9]
	s_delay_alu instid0(VALU_DEP_1) | instskip(NEXT) | instid1(VALU_DEP_1)
	v_fma_f64 v[10:11], v[26:27], v[10:11], v[12:13]
	v_ldexp_f64 v[10:11], v[10:11], s24
	s_delay_alu instid0(VALU_DEP_1) | instskip(NEXT) | instid1(VALU_DEP_1)
	v_dual_cndmask_b32 v9, v11, v9 :: v_dual_cndmask_b32 v8, v10, v8
	v_div_scale_f64 v[10:11], null, v[8:9], v[8:9], 1.0
	s_delay_alu instid0(VALU_DEP_1) | instskip(SKIP_2) | instid1(VALU_DEP_1)
	v_rcp_f64_e32 v[12:13], v[10:11]
	s_waitcnt_depctr 0xfff
	v_fma_f64 v[26:27], -v[10:11], v[12:13], 1.0
	v_fma_f64 v[12:13], v[12:13], v[26:27], v[12:13]
	s_delay_alu instid0(VALU_DEP_1) | instskip(NEXT) | instid1(VALU_DEP_1)
	v_fma_f64 v[26:27], -v[10:11], v[12:13], 1.0
	v_fma_f64 v[12:13], v[12:13], v[26:27], v[12:13]
	v_div_scale_f64 v[26:27], vcc_lo, 1.0, v[8:9], 1.0
	s_delay_alu instid0(VALU_DEP_1) | instskip(NEXT) | instid1(VALU_DEP_1)
	v_mul_f64 v[28:29], v[26:27], v[12:13]
	v_fma_f64 v[10:11], -v[10:11], v[28:29], v[26:27]
	s_delay_alu instid0(VALU_DEP_1) | instskip(NEXT) | instid1(VALU_DEP_1)
	v_div_fmas_f64 v[10:11], v[10:11], v[12:13], v[28:29]
	v_div_fixup_f64 v[8:9], v[10:11], v[8:9], 1.0
	s_delay_alu instid0(VALU_DEP_1)
	v_mul_f64 v[6:7], v[6:7], v[8:9]
	s_branch .LBB65_115
.LBB65_112:                             ;   in Loop: Header=BB65_11 Depth=1
	v_mov_b32_e32 v8, 0
	v_mov_b32_e32 v9, 0x3ff00000
	s_branch .LBB65_119
.LBB65_113:                             ;   in Loop: Header=BB65_11 Depth=1
                                        ; implicit-def: $vgpr4_vgpr5
                                        ; implicit-def: $vgpr6_vgpr7
                                        ; implicit-def: $vgpr8_vgpr9
	s_cbranch_execnz .LBB65_118
	s_branch .LBB65_119
.LBB65_114:                             ;   in Loop: Header=BB65_11 Depth=1
	s_mov_b32 s53, -1
                                        ; implicit-def: $vgpr6_vgpr7
                                        ; implicit-def: $vgpr8_vgpr9
.LBB65_115:                             ;   in Loop: Header=BB65_11 Depth=1
	s_delay_alu instid0(SALU_CYCLE_1)
	s_and_not1_b32 vcc_lo, exec_lo, s53
	s_cbranch_vccnz .LBB65_117
; %bb.116:                              ;   in Loop: Header=BB65_11 Depth=1
	v_div_scale_f64 v[6:7], null, v[2:3], v[2:3], -v[4:5]
	v_div_scale_f64 v[12:13], vcc_lo, -v[4:5], v[2:3], -v[4:5]
	s_delay_alu instid0(VALU_DEP_2) | instskip(SKIP_2) | instid1(VALU_DEP_1)
	v_rcp_f64_e32 v[8:9], v[6:7]
	s_waitcnt_depctr 0xfff
	v_fma_f64 v[10:11], -v[6:7], v[8:9], 1.0
	v_fma_f64 v[8:9], v[8:9], v[10:11], v[8:9]
	s_delay_alu instid0(VALU_DEP_1) | instskip(NEXT) | instid1(VALU_DEP_1)
	v_fma_f64 v[10:11], -v[6:7], v[8:9], 1.0
	v_fma_f64 v[8:9], v[8:9], v[10:11], v[8:9]
	s_delay_alu instid0(VALU_DEP_1) | instskip(NEXT) | instid1(VALU_DEP_1)
	v_mul_f64 v[10:11], v[12:13], v[8:9]
	v_fma_f64 v[6:7], -v[6:7], v[10:11], v[12:13]
	s_delay_alu instid0(VALU_DEP_1) | instskip(NEXT) | instid1(VALU_DEP_1)
	v_div_fmas_f64 v[6:7], v[6:7], v[8:9], v[10:11]
	v_div_fixup_f64 v[8:9], v[6:7], v[2:3], -v[4:5]
	s_delay_alu instid0(VALU_DEP_1) | instskip(NEXT) | instid1(VALU_DEP_1)
	v_fma_f64 v[6:7], v[8:9], v[8:9], 1.0
	v_cmp_gt_f64_e32 vcc_lo, 0x10000000, v[6:7]
	v_cndmask_b32_e64 v10, 0, 1, vcc_lo
	s_and_b32 s24, vcc_lo, exec_lo
	s_cselect_b32 s24, 0xffffff80, 0
	s_delay_alu instid0(VALU_DEP_1) | instskip(NEXT) | instid1(VALU_DEP_1)
	v_lshlrev_b32_e32 v10, 8, v10
	v_ldexp_f64 v[6:7], v[6:7], v10
	s_delay_alu instid0(VALU_DEP_1) | instskip(SKIP_4) | instid1(VALU_DEP_1)
	v_rsq_f64_e32 v[10:11], v[6:7]
	v_cmp_class_f64_e64 vcc_lo, v[6:7], 0x260
	s_waitcnt_depctr 0xfff
	v_mul_f64 v[12:13], v[6:7], v[10:11]
	v_mul_f64 v[10:11], v[10:11], 0.5
	v_fma_f64 v[26:27], -v[10:11], v[12:13], 0.5
	s_delay_alu instid0(VALU_DEP_1) | instskip(SKIP_1) | instid1(VALU_DEP_2)
	v_fma_f64 v[12:13], v[12:13], v[26:27], v[12:13]
	v_fma_f64 v[10:11], v[10:11], v[26:27], v[10:11]
	v_fma_f64 v[26:27], -v[12:13], v[12:13], v[6:7]
	s_delay_alu instid0(VALU_DEP_1) | instskip(NEXT) | instid1(VALU_DEP_1)
	v_fma_f64 v[12:13], v[26:27], v[10:11], v[12:13]
	v_fma_f64 v[26:27], -v[12:13], v[12:13], v[6:7]
	s_delay_alu instid0(VALU_DEP_1) | instskip(NEXT) | instid1(VALU_DEP_1)
	v_fma_f64 v[10:11], v[26:27], v[10:11], v[12:13]
	v_ldexp_f64 v[10:11], v[10:11], s24
	s_delay_alu instid0(VALU_DEP_1) | instskip(NEXT) | instid1(VALU_DEP_1)
	v_dual_cndmask_b32 v7, v11, v7 :: v_dual_cndmask_b32 v6, v10, v6
	v_div_scale_f64 v[10:11], null, v[6:7], v[6:7], 1.0
	s_delay_alu instid0(VALU_DEP_1) | instskip(SKIP_2) | instid1(VALU_DEP_1)
	v_rcp_f64_e32 v[12:13], v[10:11]
	s_waitcnt_depctr 0xfff
	v_fma_f64 v[26:27], -v[10:11], v[12:13], 1.0
	v_fma_f64 v[12:13], v[12:13], v[26:27], v[12:13]
	s_delay_alu instid0(VALU_DEP_1) | instskip(NEXT) | instid1(VALU_DEP_1)
	v_fma_f64 v[26:27], -v[10:11], v[12:13], 1.0
	v_fma_f64 v[12:13], v[12:13], v[26:27], v[12:13]
	v_div_scale_f64 v[26:27], vcc_lo, 1.0, v[6:7], 1.0
	s_delay_alu instid0(VALU_DEP_1) | instskip(NEXT) | instid1(VALU_DEP_1)
	v_mul_f64 v[28:29], v[26:27], v[12:13]
	v_fma_f64 v[10:11], -v[10:11], v[28:29], v[26:27]
	s_delay_alu instid0(VALU_DEP_1) | instskip(NEXT) | instid1(VALU_DEP_1)
	v_div_fmas_f64 v[10:11], v[10:11], v[12:13], v[28:29]
	v_div_fixup_f64 v[6:7], v[10:11], v[6:7], 1.0
	s_delay_alu instid0(VALU_DEP_1)
	v_mul_f64 v[8:9], v[8:9], v[6:7]
.LBB65_117:                             ;   in Loop: Header=BB65_11 Depth=1
	s_delay_alu instid0(VALU_DEP_1) | instskip(NEXT) | instid1(VALU_DEP_1)
	v_mul_f64 v[10:11], v[2:3], v[6:7]
	v_fma_f64 v[4:5], v[4:5], v[8:9], -v[10:11]
	s_branch .LBB65_119
.LBB65_118:                             ;   in Loop: Header=BB65_11 Depth=1
	v_mov_b32_e32 v8, 0
	v_dual_mov_b32 v9, 0 :: v_dual_mov_b32 v6, 0
	v_xor_b32_e32 v5, 0x80000000, v3
	v_dual_mov_b32 v7, 0x3ff00000 :: v_dual_mov_b32 v4, v2
.LBB65_119:                             ;   in Loop: Header=BB65_11 Depth=1
	global_store_b64 v1, v[4:5], s[60:61]
	s_clause 0x1
	global_load_b64 v[10:11], v1, s[72:73] offset:-8
	global_load_b64 v[4:5], v1, s[66:67] offset:-8
	s_cmp_eq_u32 s56, 2
	s_waitcnt vmcnt(1)
	v_mul_f64 v[12:13], v[8:9], v[10:11]
	s_waitcnt vmcnt(0)
	s_delay_alu instid0(VALU_DEP_1)
	v_fma_f64 v[12:13], v[6:7], v[4:5], v[12:13]
	global_store_b64 v1, v[12:13], s[72:73] offset:-8
	s_cbranch_scc0 .LBB65_156
; %bb.120:                              ;   in Loop: Header=BB65_11 Depth=1
	s_and_b32 s24, s75, s97
	s_delay_alu instid0(SALU_CYCLE_1)
	v_cndmask_b32_e64 v12, 0, 1, s24
	s_and_not1_b32 vcc_lo, exec_lo, s24
	s_cbranch_vccz .LBB65_157
.LBB65_121:                             ;   in Loop: Header=BB65_11 Depth=1
	s_xor_b32 s24, s45, -1
	s_delay_alu instid0(SALU_CYCLE_1) | instskip(NEXT) | instid1(SALU_CYCLE_1)
	s_or_b32 s60, s79, s24
	s_and_b32 vcc_lo, exec_lo, s60
	s_cbranch_vccnz .LBB65_123
.LBB65_122:                             ;   in Loop: Header=BB65_11 Depth=1
	s_ashr_i32 s24, s27, 31
	s_add_u32 s62, s62, s27
	s_addc_u32 s63, s63, s24
	s_delay_alu instid0(SALU_CYCLE_1) | instskip(NEXT) | instid1(SALU_CYCLE_1)
	s_lshl_b64 s[62:63], s[62:63], 3
	s_add_u32 s62, s55, s62
	s_addc_u32 s63, s59, s63
	s_ashr_i32 s57, s56, 31
	s_delay_alu instid0(SALU_CYCLE_1) | instskip(NEXT) | instid1(SALU_CYCLE_1)
	s_lshl_b64 s[64:65], s[56:57], 3
	s_add_u32 s64, s62, s64
	s_addc_u32 s65, s63, s65
	s_clause 0x1
	global_store_b64 v1, v[8:9], s[62:63] offset:-8
	global_store_b64 v1, v[6:7], s[64:65] offset:-8
.LBB65_123:                             ;   in Loop: Header=BB65_11 Depth=1
	v_mul_f64 v[6:7], v[6:7], v[10:11]
	s_cmp_eq_u32 s26, 1
	s_mov_b32 s53, 0
	s_delay_alu instid0(VALU_DEP_1)
	v_fma_f64 v[4:5], v[8:9], v[4:5], -v[6:7]
	s_cbranch_scc1 .LBB65_159
; %bb.124:                              ;   in Loop: Header=BB65_11 Depth=1
	s_xor_b32 s64, s96, -1
	s_xor_b32 s65, s60, -1
	s_add_i32 s60, s58, s52
	s_add_i32 s53, s26, -1
	s_sub_i32 s58, s58, s54
	s_ashr_i32 s24, s27, 31
	s_ashr_i32 s57, s56, 31
	s_add_u32 s25, s70, s27
	s_addc_u32 s24, s71, s24
	s_ashr_i32 s59, s58, 31
	s_add_u32 s62, s25, s58
	s_addc_u32 s63, s24, s59
	s_mov_b32 s89, s104
	s_lshl_b64 s[62:63], s[62:63], 3
	s_mov_b32 s100, 1
	s_add_u32 s24, s62, s68
	s_addc_u32 s25, s63, s69
	s_lshl_b64 s[62:63], s[56:57], 3
	s_delay_alu instid0(SALU_CYCLE_1) | instskip(SKIP_4) | instid1(SALU_CYCLE_1)
	s_add_u32 s55, s24, s62
	s_addc_u32 s56, s25, s63
	s_add_u32 s66, s85, s55
	s_addc_u32 s67, s86, s56
	s_lshl_b32 s55, s48, 1
	s_add_i32 s56, s55, -2
	s_delay_alu instid0(SALU_CYCLE_1) | instskip(NEXT) | instid1(SALU_CYCLE_1)
	s_ashr_i32 s57, s56, 31
	s_lshl_b64 s[56:57], s[56:57], 3
	s_delay_alu instid0(SALU_CYCLE_1) | instskip(SKIP_3) | instid1(SALU_CYCLE_1)
	s_or_b32 s56, s56, 8
	s_add_u32 s70, s85, s24
	s_addc_u32 s71, s86, s25
	s_lshl_b64 s[96:97], s[48:49], 4
	s_add_u32 s24, s96, s68
	s_addc_u32 s25, s97, s69
	s_lshl_b64 s[98:99], s[58:59], 3
	s_delay_alu instid0(SALU_CYCLE_1)
	s_add_u32 s24, s24, s98
	s_addc_u32 s25, s25, s99
	s_add_u32 s49, s24, s62
	s_addc_u32 s55, s25, s63
	;; [unrolled: 2-line block ×6, first 2 shown]
	s_mul_i32 s24, s48, 24
	s_lshl_b64 s[58:59], s[58:59], 3
	s_mul_hi_i32 s25, s48, 24
	s_add_u32 s24, s24, s58
	s_addc_u32 s25, s25, s59
	s_ashr_i32 s55, s54, 31
	v_readlane_b32 s58, v35, 1
	s_lshl_b64 s[54:55], s[54:55], 3
	s_delay_alu instid0(SALU_CYCLE_1)
	s_sub_u32 s24, s24, s54
	s_subb_u32 s25, s25, s55
	s_add_u32 s47, s87, s24
	s_addc_u32 s73, s88, s25
	s_add_u32 s24, s96, s8
	s_addc_u32 s25, s97, s9
	;; [unrolled: 2-line block ×3, first 2 shown]
	s_add_u32 s96, s104, s54
	v_readlane_b32 s54, v35, 0
	s_delay_alu instid0(VALU_DEP_1)
	s_addc_u32 s97, s54, s55
	s_add_u32 s54, s8, s98
	s_addc_u32 s55, s9, s99
	s_add_u32 s98, s36, s54
	s_addc_u32 s99, s74, s55
	s_ashr_i32 s61, s60, 31
	s_delay_alu instid0(SALU_CYCLE_1) | instskip(NEXT) | instid1(SALU_CYCLE_1)
	s_lshl_b64 s[54:55], s[60:61], 3
	s_add_u32 s24, s24, s54
	s_addc_u32 s25, s25, s55
	s_add_u32 s101, s58, s24
	s_addc_u32 s102, s92, s25
	;; [unrolled: 2-line block ×4, first 2 shown]
	s_mov_b64 s[54:55], 0
	s_branch .LBB65_126
.LBB65_125:                             ;   in Loop: Header=BB65_126 Depth=2
	v_mul_f64 v[6:7], v[6:7], v[10:11]
	s_add_i32 s100, s100, 1
	s_add_u32 s54, s54, s56
	s_addc_u32 s55, s55, s57
	s_cmp_eq_u32 s26, s100
	s_delay_alu instid0(VALU_DEP_1)
	v_fma_f64 v[4:5], v[8:9], v[4:5], -v[6:7]
	s_cbranch_scc1 .LBB65_158
.LBB65_126:                             ;   Parent Loop BB65_11 Depth=1
                                        ; =>  This Inner Loop Header: Depth=2
	v_cmp_eq_f64_e32 vcc_lo, 0, v[2:3]
	v_mov_b32_e32 v6, 0
	v_mov_b32_e32 v7, 0
	s_cbranch_vccnz .LBB65_130
; %bb.127:                              ;   in Loop: Header=BB65_126 Depth=2
	s_delay_alu instid0(VALU_DEP_4)
	v_cmp_neq_f64_e32 vcc_lo, 0, v[4:5]
	s_cbranch_vccz .LBB65_131
; %bb.128:                              ;   in Loop: Header=BB65_126 Depth=2
	v_cmp_ngt_f64_e64 s24, |v[2:3]|, |v[4:5]|
	s_delay_alu instid0(VALU_DEP_1)
	s_and_b32 vcc_lo, exec_lo, s24
	s_cbranch_vccz .LBB65_132
; %bb.129:                              ;   in Loop: Header=BB65_126 Depth=2
	v_div_scale_f64 v[6:7], null, v[4:5], v[4:5], -v[2:3]
	v_div_scale_f64 v[26:27], vcc_lo, -v[2:3], v[4:5], -v[2:3]
	s_delay_alu instid0(VALU_DEP_2) | instskip(SKIP_2) | instid1(VALU_DEP_1)
	v_rcp_f64_e32 v[8:9], v[6:7]
	s_waitcnt_depctr 0xfff
	v_fma_f64 v[10:11], -v[6:7], v[8:9], 1.0
	v_fma_f64 v[8:9], v[8:9], v[10:11], v[8:9]
	s_delay_alu instid0(VALU_DEP_1) | instskip(NEXT) | instid1(VALU_DEP_1)
	v_fma_f64 v[10:11], -v[6:7], v[8:9], 1.0
	v_fma_f64 v[8:9], v[8:9], v[10:11], v[8:9]
	s_delay_alu instid0(VALU_DEP_1) | instskip(NEXT) | instid1(VALU_DEP_1)
	v_mul_f64 v[10:11], v[26:27], v[8:9]
	v_fma_f64 v[6:7], -v[6:7], v[10:11], v[26:27]
	s_delay_alu instid0(VALU_DEP_1) | instskip(NEXT) | instid1(VALU_DEP_1)
	v_div_fmas_f64 v[6:7], v[6:7], v[8:9], v[10:11]
	v_div_fixup_f64 v[6:7], v[6:7], v[4:5], -v[2:3]
	s_delay_alu instid0(VALU_DEP_1) | instskip(NEXT) | instid1(VALU_DEP_1)
	v_fma_f64 v[8:9], v[6:7], v[6:7], 1.0
	v_cmp_gt_f64_e32 vcc_lo, 0x10000000, v[8:9]
	v_cndmask_b32_e64 v10, 0, 1, vcc_lo
	s_and_b32 s24, vcc_lo, exec_lo
	s_cselect_b32 s24, 0xffffff80, 0
	s_delay_alu instid0(VALU_DEP_1) | instskip(NEXT) | instid1(VALU_DEP_1)
	v_lshlrev_b32_e32 v10, 8, v10
	v_ldexp_f64 v[8:9], v[8:9], v10
	s_delay_alu instid0(VALU_DEP_1) | instskip(SKIP_4) | instid1(VALU_DEP_1)
	v_rsq_f64_e32 v[10:11], v[8:9]
	v_cmp_class_f64_e64 vcc_lo, v[8:9], 0x260
	s_waitcnt_depctr 0xfff
	v_mul_f64 v[26:27], v[8:9], v[10:11]
	v_mul_f64 v[10:11], v[10:11], 0.5
	v_fma_f64 v[28:29], -v[10:11], v[26:27], 0.5
	s_delay_alu instid0(VALU_DEP_1) | instskip(SKIP_1) | instid1(VALU_DEP_2)
	v_fma_f64 v[26:27], v[26:27], v[28:29], v[26:27]
	v_fma_f64 v[10:11], v[10:11], v[28:29], v[10:11]
	v_fma_f64 v[28:29], -v[26:27], v[26:27], v[8:9]
	s_delay_alu instid0(VALU_DEP_1) | instskip(NEXT) | instid1(VALU_DEP_1)
	v_fma_f64 v[26:27], v[28:29], v[10:11], v[26:27]
	v_fma_f64 v[28:29], -v[26:27], v[26:27], v[8:9]
	s_delay_alu instid0(VALU_DEP_1) | instskip(NEXT) | instid1(VALU_DEP_1)
	v_fma_f64 v[10:11], v[28:29], v[10:11], v[26:27]
	v_ldexp_f64 v[10:11], v[10:11], s24
	s_delay_alu instid0(VALU_DEP_1) | instskip(NEXT) | instid1(VALU_DEP_1)
	v_dual_cndmask_b32 v9, v11, v9 :: v_dual_cndmask_b32 v8, v10, v8
	v_div_scale_f64 v[10:11], null, v[8:9], v[8:9], 1.0
	s_delay_alu instid0(VALU_DEP_1) | instskip(SKIP_2) | instid1(VALU_DEP_1)
	v_rcp_f64_e32 v[26:27], v[10:11]
	s_waitcnt_depctr 0xfff
	v_fma_f64 v[28:29], -v[10:11], v[26:27], 1.0
	v_fma_f64 v[26:27], v[26:27], v[28:29], v[26:27]
	s_delay_alu instid0(VALU_DEP_1) | instskip(NEXT) | instid1(VALU_DEP_1)
	v_fma_f64 v[28:29], -v[10:11], v[26:27], 1.0
	v_fma_f64 v[26:27], v[26:27], v[28:29], v[26:27]
	v_div_scale_f64 v[28:29], vcc_lo, 1.0, v[8:9], 1.0
	s_delay_alu instid0(VALU_DEP_1) | instskip(NEXT) | instid1(VALU_DEP_1)
	v_mul_f64 v[30:31], v[28:29], v[26:27]
	v_fma_f64 v[10:11], -v[10:11], v[30:31], v[28:29]
	s_delay_alu instid0(VALU_DEP_1) | instskip(NEXT) | instid1(VALU_DEP_1)
	v_div_fmas_f64 v[10:11], v[10:11], v[26:27], v[30:31]
	v_div_fixup_f64 v[8:9], v[10:11], v[8:9], 1.0
	s_delay_alu instid0(VALU_DEP_1)
	v_mul_f64 v[6:7], v[6:7], v[8:9]
	s_cbranch_execz .LBB65_133
	s_branch .LBB65_134
.LBB65_130:                             ;   in Loop: Header=BB65_126 Depth=2
	v_mov_b32_e32 v8, 0
	v_mov_b32_e32 v9, 0x3ff00000
	s_branch .LBB65_136
.LBB65_131:                             ;   in Loop: Header=BB65_126 Depth=2
                                        ; implicit-def: $vgpr4_vgpr5
                                        ; implicit-def: $vgpr6_vgpr7
                                        ; implicit-def: $vgpr8_vgpr9
	s_cbranch_execnz .LBB65_135
	s_branch .LBB65_136
.LBB65_132:                             ;   in Loop: Header=BB65_126 Depth=2
                                        ; implicit-def: $vgpr6_vgpr7
                                        ; implicit-def: $vgpr8_vgpr9
.LBB65_133:                             ;   in Loop: Header=BB65_126 Depth=2
	v_div_scale_f64 v[6:7], null, v[2:3], v[2:3], -v[4:5]
	v_div_scale_f64 v[26:27], vcc_lo, -v[4:5], v[2:3], -v[4:5]
	s_delay_alu instid0(VALU_DEP_2) | instskip(SKIP_2) | instid1(VALU_DEP_1)
	v_rcp_f64_e32 v[8:9], v[6:7]
	s_waitcnt_depctr 0xfff
	v_fma_f64 v[10:11], -v[6:7], v[8:9], 1.0
	v_fma_f64 v[8:9], v[8:9], v[10:11], v[8:9]
	s_delay_alu instid0(VALU_DEP_1) | instskip(NEXT) | instid1(VALU_DEP_1)
	v_fma_f64 v[10:11], -v[6:7], v[8:9], 1.0
	v_fma_f64 v[8:9], v[8:9], v[10:11], v[8:9]
	s_delay_alu instid0(VALU_DEP_1) | instskip(NEXT) | instid1(VALU_DEP_1)
	v_mul_f64 v[10:11], v[26:27], v[8:9]
	v_fma_f64 v[6:7], -v[6:7], v[10:11], v[26:27]
	s_delay_alu instid0(VALU_DEP_1) | instskip(NEXT) | instid1(VALU_DEP_1)
	v_div_fmas_f64 v[6:7], v[6:7], v[8:9], v[10:11]
	v_div_fixup_f64 v[8:9], v[6:7], v[2:3], -v[4:5]
	s_delay_alu instid0(VALU_DEP_1) | instskip(NEXT) | instid1(VALU_DEP_1)
	v_fma_f64 v[6:7], v[8:9], v[8:9], 1.0
	v_cmp_gt_f64_e32 vcc_lo, 0x10000000, v[6:7]
	v_cndmask_b32_e64 v10, 0, 1, vcc_lo
	s_and_b32 s24, vcc_lo, exec_lo
	s_cselect_b32 s24, 0xffffff80, 0
	s_delay_alu instid0(VALU_DEP_1) | instskip(NEXT) | instid1(VALU_DEP_1)
	v_lshlrev_b32_e32 v10, 8, v10
	v_ldexp_f64 v[6:7], v[6:7], v10
	s_delay_alu instid0(VALU_DEP_1) | instskip(SKIP_4) | instid1(VALU_DEP_1)
	v_rsq_f64_e32 v[10:11], v[6:7]
	v_cmp_class_f64_e64 vcc_lo, v[6:7], 0x260
	s_waitcnt_depctr 0xfff
	v_mul_f64 v[26:27], v[6:7], v[10:11]
	v_mul_f64 v[10:11], v[10:11], 0.5
	v_fma_f64 v[28:29], -v[10:11], v[26:27], 0.5
	s_delay_alu instid0(VALU_DEP_1) | instskip(SKIP_1) | instid1(VALU_DEP_2)
	v_fma_f64 v[26:27], v[26:27], v[28:29], v[26:27]
	v_fma_f64 v[10:11], v[10:11], v[28:29], v[10:11]
	v_fma_f64 v[28:29], -v[26:27], v[26:27], v[6:7]
	s_delay_alu instid0(VALU_DEP_1) | instskip(NEXT) | instid1(VALU_DEP_1)
	v_fma_f64 v[26:27], v[28:29], v[10:11], v[26:27]
	v_fma_f64 v[28:29], -v[26:27], v[26:27], v[6:7]
	s_delay_alu instid0(VALU_DEP_1) | instskip(NEXT) | instid1(VALU_DEP_1)
	v_fma_f64 v[10:11], v[28:29], v[10:11], v[26:27]
	v_ldexp_f64 v[10:11], v[10:11], s24
	s_delay_alu instid0(VALU_DEP_1) | instskip(NEXT) | instid1(VALU_DEP_1)
	v_dual_cndmask_b32 v7, v11, v7 :: v_dual_cndmask_b32 v6, v10, v6
	v_div_scale_f64 v[10:11], null, v[6:7], v[6:7], 1.0
	s_delay_alu instid0(VALU_DEP_1) | instskip(SKIP_2) | instid1(VALU_DEP_1)
	v_rcp_f64_e32 v[26:27], v[10:11]
	s_waitcnt_depctr 0xfff
	v_fma_f64 v[28:29], -v[10:11], v[26:27], 1.0
	v_fma_f64 v[26:27], v[26:27], v[28:29], v[26:27]
	s_delay_alu instid0(VALU_DEP_1) | instskip(NEXT) | instid1(VALU_DEP_1)
	v_fma_f64 v[28:29], -v[10:11], v[26:27], 1.0
	v_fma_f64 v[26:27], v[26:27], v[28:29], v[26:27]
	v_div_scale_f64 v[28:29], vcc_lo, 1.0, v[6:7], 1.0
	s_delay_alu instid0(VALU_DEP_1) | instskip(NEXT) | instid1(VALU_DEP_1)
	v_mul_f64 v[30:31], v[28:29], v[26:27]
	v_fma_f64 v[10:11], -v[10:11], v[30:31], v[28:29]
	s_delay_alu instid0(VALU_DEP_1) | instskip(NEXT) | instid1(VALU_DEP_1)
	v_div_fmas_f64 v[10:11], v[10:11], v[26:27], v[30:31]
	v_div_fixup_f64 v[6:7], v[10:11], v[6:7], 1.0
	s_delay_alu instid0(VALU_DEP_1)
	v_mul_f64 v[8:9], v[8:9], v[6:7]
.LBB65_134:                             ;   in Loop: Header=BB65_126 Depth=2
	s_delay_alu instid0(VALU_DEP_1) | instskip(NEXT) | instid1(VALU_DEP_1)
	v_mul_f64 v[10:11], v[2:3], v[6:7]
	v_fma_f64 v[4:5], v[4:5], v[8:9], -v[10:11]
	s_branch .LBB65_136
.LBB65_135:                             ;   in Loop: Header=BB65_126 Depth=2
	v_xor_b32_e32 v3, 0x80000000, v3
	v_mov_b32_e32 v8, 0
	v_dual_mov_b32 v9, 0 :: v_dual_mov_b32 v6, 0
	v_mov_b32_e32 v7, 0x3ff00000
	s_delay_alu instid0(VALU_DEP_4)
	v_dual_mov_b32 v5, v3 :: v_dual_mov_b32 v4, v2
.LBB65_136:                             ;   in Loop: Header=BB65_126 Depth=2
	s_add_u32 s62, s98, s54
	s_addc_u32 s63, s99, s55
	s_add_u32 s58, s103, s54
	s_addc_u32 s59, s104, s55
	;; [unrolled: 2-line block ×3, first 2 shown]
	global_store_b64 v1, v[4:5], s[62:63]
	s_clause 0x1
	global_load_b64 v[10:11], v1, s[60:61]
	global_load_b64 v[4:5], v1, s[58:59]
	s_add_u32 s62, s101, s54
	s_addc_u32 s63, s102, s55
	v_cmp_ne_u32_e32 vcc_lo, 1, v25
	s_and_b32 vcc_lo, exec_lo, vcc_lo
	s_waitcnt vmcnt(1)
	v_mul_f64 v[2:3], v[8:9], v[10:11]
	s_waitcnt vmcnt(0)
	s_delay_alu instid0(VALU_DEP_1)
	v_fma_f64 v[2:3], v[6:7], v[4:5], v[2:3]
	global_store_b64 v1, v[2:3], s[60:61]
	global_load_b64 v[2:3], v1, s[62:63]
	s_waitcnt vmcnt(0)
	v_mul_f64 v[26:27], v[8:9], v[2:3]
	global_store_b64 v1, v[26:27], s[62:63]
	s_cbranch_vccnz .LBB65_138
; %bb.137:                              ;   in Loop: Header=BB65_126 Depth=2
	s_add_u32 vcc_lo, s69, s54
	s_addc_u32 vcc_hi, s72, s55
	s_add_u32 s24, s49, s54
	s_addc_u32 s25, s68, s55
	s_clause 0x1
	global_store_b64 v1, v[8:9], vcc
	global_store_b64 v1, v[6:7], s[24:25]
.LBB65_138:                             ;   in Loop: Header=BB65_126 Depth=2
	s_and_not1_b32 vcc_lo, exec_lo, s64
	s_cbranch_vccnz .LBB65_140
; %bb.139:                              ;   in Loop: Header=BB65_126 Depth=2
	s_add_u32 s24, s70, s54
	s_addc_u32 s25, s71, s55
	s_add_u32 vcc_lo, s66, s54
	s_addc_u32 vcc_hi, s67, s55
	s_clause 0x1
	global_store_b64 v1, v[8:9], s[24:25]
	global_store_b64 v1, v[6:7], vcc
.LBB65_140:                             ;   in Loop: Header=BB65_126 Depth=2
	v_mul_f64 v[2:3], v[2:3], -v[6:7]
	v_mul_f64 v[6:7], v[6:7], v[10:11]
	s_delay_alu instid0(VALU_DEP_2) | instskip(NEXT) | instid1(VALU_DEP_2)
	v_cmp_eq_f64_e32 vcc_lo, 0, v[2:3]
	v_fma_f64 v[4:5], v[8:9], v[4:5], -v[6:7]
	v_mov_b32_e32 v6, 0
	v_mov_b32_e32 v7, 0
	s_cbranch_vccnz .LBB65_144
; %bb.141:                              ;   in Loop: Header=BB65_126 Depth=2
	s_delay_alu instid0(VALU_DEP_3)
	v_cmp_neq_f64_e32 vcc_lo, 0, v[4:5]
	s_cbranch_vccz .LBB65_145
; %bb.142:                              ;   in Loop: Header=BB65_126 Depth=2
	v_cmp_ngt_f64_e64 s24, |v[2:3]|, |v[4:5]|
	s_delay_alu instid0(VALU_DEP_1)
	s_and_b32 vcc_lo, exec_lo, s24
	s_cbranch_vccz .LBB65_146
; %bb.143:                              ;   in Loop: Header=BB65_126 Depth=2
	v_div_scale_f64 v[6:7], null, v[4:5], v[4:5], -v[2:3]
	v_div_scale_f64 v[26:27], vcc_lo, -v[2:3], v[4:5], -v[2:3]
	s_delay_alu instid0(VALU_DEP_2) | instskip(SKIP_2) | instid1(VALU_DEP_1)
	v_rcp_f64_e32 v[8:9], v[6:7]
	s_waitcnt_depctr 0xfff
	v_fma_f64 v[10:11], -v[6:7], v[8:9], 1.0
	v_fma_f64 v[8:9], v[8:9], v[10:11], v[8:9]
	s_delay_alu instid0(VALU_DEP_1) | instskip(NEXT) | instid1(VALU_DEP_1)
	v_fma_f64 v[10:11], -v[6:7], v[8:9], 1.0
	v_fma_f64 v[8:9], v[8:9], v[10:11], v[8:9]
	s_delay_alu instid0(VALU_DEP_1) | instskip(NEXT) | instid1(VALU_DEP_1)
	v_mul_f64 v[10:11], v[26:27], v[8:9]
	v_fma_f64 v[6:7], -v[6:7], v[10:11], v[26:27]
	s_delay_alu instid0(VALU_DEP_1) | instskip(NEXT) | instid1(VALU_DEP_1)
	v_div_fmas_f64 v[6:7], v[6:7], v[8:9], v[10:11]
	v_div_fixup_f64 v[6:7], v[6:7], v[4:5], -v[2:3]
	s_delay_alu instid0(VALU_DEP_1) | instskip(NEXT) | instid1(VALU_DEP_1)
	v_fma_f64 v[8:9], v[6:7], v[6:7], 1.0
	v_cmp_gt_f64_e32 vcc_lo, 0x10000000, v[8:9]
	v_cndmask_b32_e64 v10, 0, 1, vcc_lo
	s_and_b32 s24, vcc_lo, exec_lo
	s_cselect_b32 s24, 0xffffff80, 0
	s_delay_alu instid0(VALU_DEP_1) | instskip(NEXT) | instid1(VALU_DEP_1)
	v_lshlrev_b32_e32 v10, 8, v10
	v_ldexp_f64 v[8:9], v[8:9], v10
	s_delay_alu instid0(VALU_DEP_1) | instskip(SKIP_4) | instid1(VALU_DEP_1)
	v_rsq_f64_e32 v[10:11], v[8:9]
	v_cmp_class_f64_e64 vcc_lo, v[8:9], 0x260
	s_waitcnt_depctr 0xfff
	v_mul_f64 v[26:27], v[8:9], v[10:11]
	v_mul_f64 v[10:11], v[10:11], 0.5
	v_fma_f64 v[28:29], -v[10:11], v[26:27], 0.5
	s_delay_alu instid0(VALU_DEP_1) | instskip(SKIP_1) | instid1(VALU_DEP_2)
	v_fma_f64 v[26:27], v[26:27], v[28:29], v[26:27]
	v_fma_f64 v[10:11], v[10:11], v[28:29], v[10:11]
	v_fma_f64 v[28:29], -v[26:27], v[26:27], v[8:9]
	s_delay_alu instid0(VALU_DEP_1) | instskip(NEXT) | instid1(VALU_DEP_1)
	v_fma_f64 v[26:27], v[28:29], v[10:11], v[26:27]
	v_fma_f64 v[28:29], -v[26:27], v[26:27], v[8:9]
	s_delay_alu instid0(VALU_DEP_1) | instskip(NEXT) | instid1(VALU_DEP_1)
	v_fma_f64 v[10:11], v[28:29], v[10:11], v[26:27]
	v_ldexp_f64 v[10:11], v[10:11], s24
	s_delay_alu instid0(VALU_DEP_1) | instskip(NEXT) | instid1(VALU_DEP_1)
	v_dual_cndmask_b32 v9, v11, v9 :: v_dual_cndmask_b32 v8, v10, v8
	v_div_scale_f64 v[10:11], null, v[8:9], v[8:9], 1.0
	s_delay_alu instid0(VALU_DEP_1) | instskip(SKIP_2) | instid1(VALU_DEP_1)
	v_rcp_f64_e32 v[26:27], v[10:11]
	s_waitcnt_depctr 0xfff
	v_fma_f64 v[28:29], -v[10:11], v[26:27], 1.0
	v_fma_f64 v[26:27], v[26:27], v[28:29], v[26:27]
	s_delay_alu instid0(VALU_DEP_1) | instskip(NEXT) | instid1(VALU_DEP_1)
	v_fma_f64 v[28:29], -v[10:11], v[26:27], 1.0
	v_fma_f64 v[26:27], v[26:27], v[28:29], v[26:27]
	v_div_scale_f64 v[28:29], vcc_lo, 1.0, v[8:9], 1.0
	s_delay_alu instid0(VALU_DEP_1) | instskip(NEXT) | instid1(VALU_DEP_1)
	v_mul_f64 v[30:31], v[28:29], v[26:27]
	v_fma_f64 v[10:11], -v[10:11], v[30:31], v[28:29]
	s_delay_alu instid0(VALU_DEP_1) | instskip(NEXT) | instid1(VALU_DEP_1)
	v_div_fmas_f64 v[10:11], v[10:11], v[26:27], v[30:31]
	v_div_fixup_f64 v[8:9], v[10:11], v[8:9], 1.0
	s_delay_alu instid0(VALU_DEP_1)
	v_mul_f64 v[6:7], v[6:7], v[8:9]
	s_cbranch_execz .LBB65_147
	s_branch .LBB65_148
.LBB65_144:                             ;   in Loop: Header=BB65_126 Depth=2
	v_mov_b32_e32 v8, 0
	v_mov_b32_e32 v9, 0x3ff00000
	s_branch .LBB65_150
.LBB65_145:                             ;   in Loop: Header=BB65_126 Depth=2
                                        ; implicit-def: $vgpr4_vgpr5
                                        ; implicit-def: $vgpr6_vgpr7
                                        ; implicit-def: $vgpr8_vgpr9
	s_cbranch_execnz .LBB65_149
	s_branch .LBB65_150
.LBB65_146:                             ;   in Loop: Header=BB65_126 Depth=2
                                        ; implicit-def: $vgpr6_vgpr7
                                        ; implicit-def: $vgpr8_vgpr9
.LBB65_147:                             ;   in Loop: Header=BB65_126 Depth=2
	v_div_scale_f64 v[6:7], null, v[2:3], v[2:3], -v[4:5]
	v_div_scale_f64 v[26:27], vcc_lo, -v[4:5], v[2:3], -v[4:5]
	s_delay_alu instid0(VALU_DEP_2) | instskip(SKIP_2) | instid1(VALU_DEP_1)
	v_rcp_f64_e32 v[8:9], v[6:7]
	s_waitcnt_depctr 0xfff
	v_fma_f64 v[10:11], -v[6:7], v[8:9], 1.0
	v_fma_f64 v[8:9], v[8:9], v[10:11], v[8:9]
	s_delay_alu instid0(VALU_DEP_1) | instskip(NEXT) | instid1(VALU_DEP_1)
	v_fma_f64 v[10:11], -v[6:7], v[8:9], 1.0
	v_fma_f64 v[8:9], v[8:9], v[10:11], v[8:9]
	s_delay_alu instid0(VALU_DEP_1) | instskip(NEXT) | instid1(VALU_DEP_1)
	v_mul_f64 v[10:11], v[26:27], v[8:9]
	v_fma_f64 v[6:7], -v[6:7], v[10:11], v[26:27]
	s_delay_alu instid0(VALU_DEP_1) | instskip(NEXT) | instid1(VALU_DEP_1)
	v_div_fmas_f64 v[6:7], v[6:7], v[8:9], v[10:11]
	v_div_fixup_f64 v[8:9], v[6:7], v[2:3], -v[4:5]
	s_delay_alu instid0(VALU_DEP_1) | instskip(NEXT) | instid1(VALU_DEP_1)
	v_fma_f64 v[6:7], v[8:9], v[8:9], 1.0
	v_cmp_gt_f64_e32 vcc_lo, 0x10000000, v[6:7]
	v_cndmask_b32_e64 v10, 0, 1, vcc_lo
	s_and_b32 s24, vcc_lo, exec_lo
	s_cselect_b32 s24, 0xffffff80, 0
	s_delay_alu instid0(VALU_DEP_1) | instskip(NEXT) | instid1(VALU_DEP_1)
	v_lshlrev_b32_e32 v10, 8, v10
	v_ldexp_f64 v[6:7], v[6:7], v10
	s_delay_alu instid0(VALU_DEP_1) | instskip(SKIP_4) | instid1(VALU_DEP_1)
	v_rsq_f64_e32 v[10:11], v[6:7]
	v_cmp_class_f64_e64 vcc_lo, v[6:7], 0x260
	s_waitcnt_depctr 0xfff
	v_mul_f64 v[26:27], v[6:7], v[10:11]
	v_mul_f64 v[10:11], v[10:11], 0.5
	v_fma_f64 v[28:29], -v[10:11], v[26:27], 0.5
	s_delay_alu instid0(VALU_DEP_1) | instskip(SKIP_1) | instid1(VALU_DEP_2)
	v_fma_f64 v[26:27], v[26:27], v[28:29], v[26:27]
	v_fma_f64 v[10:11], v[10:11], v[28:29], v[10:11]
	v_fma_f64 v[28:29], -v[26:27], v[26:27], v[6:7]
	s_delay_alu instid0(VALU_DEP_1) | instskip(NEXT) | instid1(VALU_DEP_1)
	v_fma_f64 v[26:27], v[28:29], v[10:11], v[26:27]
	v_fma_f64 v[28:29], -v[26:27], v[26:27], v[6:7]
	s_delay_alu instid0(VALU_DEP_1) | instskip(NEXT) | instid1(VALU_DEP_1)
	v_fma_f64 v[10:11], v[28:29], v[10:11], v[26:27]
	v_ldexp_f64 v[10:11], v[10:11], s24
	s_delay_alu instid0(VALU_DEP_1) | instskip(NEXT) | instid1(VALU_DEP_1)
	v_dual_cndmask_b32 v7, v11, v7 :: v_dual_cndmask_b32 v6, v10, v6
	v_div_scale_f64 v[10:11], null, v[6:7], v[6:7], 1.0
	s_delay_alu instid0(VALU_DEP_1) | instskip(SKIP_2) | instid1(VALU_DEP_1)
	v_rcp_f64_e32 v[26:27], v[10:11]
	s_waitcnt_depctr 0xfff
	v_fma_f64 v[28:29], -v[10:11], v[26:27], 1.0
	v_fma_f64 v[26:27], v[26:27], v[28:29], v[26:27]
	s_delay_alu instid0(VALU_DEP_1) | instskip(NEXT) | instid1(VALU_DEP_1)
	v_fma_f64 v[28:29], -v[10:11], v[26:27], 1.0
	v_fma_f64 v[26:27], v[26:27], v[28:29], v[26:27]
	v_div_scale_f64 v[28:29], vcc_lo, 1.0, v[6:7], 1.0
	s_delay_alu instid0(VALU_DEP_1) | instskip(NEXT) | instid1(VALU_DEP_1)
	v_mul_f64 v[30:31], v[28:29], v[26:27]
	v_fma_f64 v[10:11], -v[10:11], v[30:31], v[28:29]
	s_delay_alu instid0(VALU_DEP_1) | instskip(NEXT) | instid1(VALU_DEP_1)
	v_div_fmas_f64 v[10:11], v[10:11], v[26:27], v[30:31]
	v_div_fixup_f64 v[6:7], v[10:11], v[6:7], 1.0
	s_delay_alu instid0(VALU_DEP_1)
	v_mul_f64 v[8:9], v[8:9], v[6:7]
.LBB65_148:                             ;   in Loop: Header=BB65_126 Depth=2
	s_delay_alu instid0(VALU_DEP_1) | instskip(NEXT) | instid1(VALU_DEP_1)
	v_mul_f64 v[10:11], v[2:3], v[6:7]
	v_fma_f64 v[4:5], v[4:5], v[8:9], -v[10:11]
	s_branch .LBB65_150
.LBB65_149:                             ;   in Loop: Header=BB65_126 Depth=2
	v_mov_b32_e32 v8, 0
	v_dual_mov_b32 v9, 0 :: v_dual_mov_b32 v6, 0
	v_xor_b32_e32 v5, 0x80000000, v3
	v_dual_mov_b32 v7, 0x3ff00000 :: v_dual_mov_b32 v4, v2
.LBB65_150:                             ;   in Loop: Header=BB65_126 Depth=2
	global_store_b64 v1, v[4:5], s[58:59]
	s_clause 0x1
	global_load_b64 v[10:11], v1, s[62:63]
	global_load_b64 v[4:5], v1, s[60:61]
	s_cmp_ge_i32 s100, s53
	s_waitcnt vmcnt(1)
	v_mul_f64 v[26:27], v[8:9], v[10:11]
	s_waitcnt vmcnt(0)
	s_delay_alu instid0(VALU_DEP_1)
	v_fma_f64 v[26:27], v[6:7], v[4:5], v[26:27]
	global_store_b64 v1, v[26:27], s[62:63]
	s_cbranch_scc0 .LBB65_153
; %bb.151:                              ;   in Loop: Header=BB65_126 Depth=2
	v_cmp_ne_u32_e32 vcc_lo, 1, v12
	s_cbranch_vccz .LBB65_154
.LBB65_152:                             ;   in Loop: Header=BB65_126 Depth=2
	s_and_not1_b32 vcc_lo, exec_lo, s65
	s_cbranch_vccnz .LBB65_125
	s_branch .LBB65_155
.LBB65_153:                             ;   in Loop: Header=BB65_126 Depth=2
	s_add_u32 s24, s47, s54
	s_addc_u32 s25, s73, s55
	global_load_b64 v[2:3], v1, s[24:25]
	s_waitcnt vmcnt(0)
	v_mul_f64 v[26:27], v[8:9], v[2:3]
	v_mul_f64 v[2:3], v[2:3], -v[6:7]
	global_store_b64 v1, v[26:27], s[24:25]
	v_cmp_ne_u32_e32 vcc_lo, 1, v12
	s_cbranch_vccnz .LBB65_152
.LBB65_154:                             ;   in Loop: Header=BB65_126 Depth=2
	s_add_u32 s24, s69, s54
	s_addc_u32 s25, s72, s55
	s_add_u32 s58, s49, s54
	s_addc_u32 s59, s68, s55
	s_clause 0x1
	global_store_b64 v1, v[8:9], s[24:25]
	global_store_b64 v1, v[6:7], s[58:59]
	s_and_not1_b32 vcc_lo, exec_lo, s65
	s_cbranch_vccnz .LBB65_125
.LBB65_155:                             ;   in Loop: Header=BB65_126 Depth=2
	s_add_u32 s24, s70, s54
	s_addc_u32 s25, s71, s55
	s_add_u32 s58, s66, s54
	s_addc_u32 s59, s67, s55
	s_clause 0x1
	global_store_b64 v1, v[8:9], s[24:25]
	global_store_b64 v1, v[6:7], s[58:59]
	s_branch .LBB65_125
.LBB65_156:                             ;   in Loop: Header=BB65_11 Depth=1
	s_ashr_i32 s53, s52, 31
	s_delay_alu instid0(SALU_CYCLE_1) | instskip(NEXT) | instid1(SALU_CYCLE_1)
	s_lshl_b64 s[60:61], s[52:53], 3
	s_add_u32 s60, s66, s60
	s_addc_u32 s61, s67, s61
	global_load_b64 v[2:3], v1, s[60:61] offset:-8
	s_waitcnt vmcnt(0)
	v_mul_f64 v[12:13], v[8:9], v[2:3]
	v_mul_f64 v[2:3], v[2:3], -v[6:7]
	global_store_b64 v1, v[12:13], s[60:61] offset:-8
	s_and_b32 s24, s75, s97
	s_delay_alu instid0(SALU_CYCLE_1)
	v_cndmask_b32_e64 v12, 0, 1, s24
	s_and_not1_b32 vcc_lo, exec_lo, s24
	s_cbranch_vccnz .LBB65_121
.LBB65_157:                             ;   in Loop: Header=BB65_11 Depth=1
	s_add_u32 s60, s55, s64
	s_addc_u32 s61, s59, s65
	s_ashr_i32 s57, s56, 31
	s_delay_alu instid0(SALU_CYCLE_1) | instskip(NEXT) | instid1(SALU_CYCLE_1)
	s_lshl_b64 s[64:65], s[56:57], 3
	s_add_u32 s64, s60, s64
	s_addc_u32 s65, s61, s65
	s_clause 0x1
	global_store_b64 v1, v[8:9], s[60:61] offset:-8
	global_store_b64 v1, v[6:7], s[64:65] offset:-8
	s_xor_b32 s24, s45, -1
	s_delay_alu instid0(SALU_CYCLE_1) | instskip(NEXT) | instid1(SALU_CYCLE_1)
	s_or_b32 s60, s79, s24
	s_and_b32 vcc_lo, exec_lo, s60
	s_cbranch_vccz .LBB65_122
	s_branch .LBB65_123
.LBB65_158:                             ;   in Loop: Header=BB65_11 Depth=1
	s_mov_b32 s104, s89
.LBB65_159:                             ;   in Loop: Header=BB65_11 Depth=1
	s_and_b32 s24, s45, exec_lo
	s_cselect_b32 s54, s53, 0
	s_delay_alu instid0(SALU_CYCLE_1) | instskip(NEXT) | instid1(SALU_CYCLE_1)
	s_ashr_i32 s55, s54, 31
	s_lshl_b64 s[54:55], s[54:55], 3
	s_delay_alu instid0(SALU_CYCLE_1)
	s_add_u32 s54, s16, s54
	s_addc_u32 s55, s95, s55
	global_store_b64 v1, v[4:5], s[54:55]
.LBB65_160:                             ;   in Loop: Header=BB65_11 Depth=1
	s_or_b32 exec_lo, exec_lo, s7
	s_delay_alu instid0(SALU_CYCLE_1)
	s_and_not1_b32 vcc_lo, exec_lo, s80
	s_waitcnt_vscnt null, 0x0
	s_barrier
	buffer_gl0_inv
	s_cbranch_vccz .LBB65_163
; %bb.161:                              ;   in Loop: Header=BB65_11 Depth=1
	s_and_not1_b32 vcc_lo, exec_lo, s81
	s_cbranch_vccz .LBB65_170
.LBB65_162:                             ;   in Loop: Header=BB65_11 Depth=1
	s_and_not1_b32 vcc_lo, exec_lo, s82
	s_cbranch_vccnz .LBB65_10
	s_branch .LBB65_177
.LBB65_163:                             ;   in Loop: Header=BB65_11 Depth=1
	s_and_saveexec_b32 s47, s0
	s_cbranch_execz .LBB65_169
; %bb.164:                              ;   in Loop: Header=BB65_11 Depth=1
	s_load_b32 s7, s[42:43], 0xc
	s_add_u32 s49, s34, s8
	s_addc_u32 s53, s35, s9
	s_add_i32 s24, s26, -1
	s_cmp_eq_u32 s48, 0
	v_mov_b32_e32 v10, v0
	s_cselect_b32 s16, s26, 0
	s_cselect_b32 s24, s24, 0
	s_cmp_gt_i32 s26, 0
	v_add_nc_u32_e32 v2, s16, v16
	s_cselect_b32 s63, -1, 0
	s_ashr_i32 s25, s24, 31
	s_lshl_b64 s[54:55], s[50:51], 3
	s_lshl_b64 s[24:25], s[24:25], 3
	s_mov_b32 s62, 0
	s_waitcnt lgkmcnt(0)
	s_and_b32 s64, s7, 0xffff
	s_add_u32 s7, s24, s54
	s_addc_u32 s58, s25, s55
	s_add_u32 s65, s83, s7
	s_addc_u32 s66, s84, s58
	s_lshl_b32 s59, s48, 1
	s_ashr_i32 s45, s44, 31
	s_add_i32 s54, s59, -2
	s_lshl_b64 s[24:25], s[44:45], 3
	s_ashr_i32 s55, s54, 31
	v_add3_u32 v4, s59, s16, v18
	s_lshl_b64 s[56:57], s[54:55], 3
	s_mul_i32 s67, s19, s64
	s_or_b32 s56, s56, 8
	s_add_u32 s7, s7, s24
	s_addc_u32 s24, s58, s25
	s_sub_u32 s7, s7, s8
	s_subb_u32 s24, s24, s9
	s_add_u32 s45, s93, s7
	s_addc_u32 s68, s94, s24
	s_not_b64 s[58:59], s[54:55]
	s_or_b32 s54, s54, 1
	s_branch .LBB65_166
.LBB65_165:                             ;   in Loop: Header=BB65_166 Depth=2
	s_set_inst_prefetch_distance 0x2
	v_lshlrev_b64 v[8:9], 3, v[8:9]
	v_add_nc_u32_e32 v10, s64, v10
	v_add_nc_u32_e32 v2, s67, v2
	;; [unrolled: 1-line block ×3, first 2 shown]
	s_delay_alu instid0(VALU_DEP_3) | instskip(SKIP_1) | instid1(VALU_DEP_1)
	v_cmp_le_i32_e32 vcc_lo, s29, v10
	v_add_co_u32 v8, s7, s49, v8
	v_add_co_ci_u32_e64 v9, s7, s53, v9, s7
	s_or_b32 s62, vcc_lo, s62
	s_waitcnt vmcnt(0) lgkmcnt(0)
	flat_store_b64 v[8:9], v[6:7]
	s_and_not1_b32 exec_lo, exec_lo, s62
	s_cbranch_execz .LBB65_169
.LBB65_166:                             ;   Parent Loop BB65_11 Depth=1
                                        ; =>  This Loop Header: Depth=2
                                        ;       Child Loop BB65_168 Depth 3
	v_mad_u64_u32 v[8:9], null, v10, s19, s[16:17]
	s_delay_alu instid0(VALU_DEP_1) | instskip(NEXT) | instid1(VALU_DEP_1)
	v_ashrrev_i32_e32 v9, 31, v8
	v_lshlrev_b64 v[5:6], 3, v[8:9]
	s_delay_alu instid0(VALU_DEP_1) | instskip(NEXT) | instid1(VALU_DEP_2)
	v_add_co_u32 v5, vcc_lo, s49, v5
	v_add_co_ci_u32_e32 v6, vcc_lo, s53, v6, vcc_lo
	s_and_not1_b32 vcc_lo, exec_lo, s63
	flat_load_b64 v[6:7], v[5:6]
	s_cbranch_vccnz .LBB65_165
; %bb.167:                              ;   in Loop: Header=BB65_166 Depth=2
	v_ashrrev_i32_e32 v3, 31, v2
	v_ashrrev_i32_e32 v5, 31, v4
	v_add_co_u32 v8, vcc_lo, s58, v4
	s_mov_b64 s[60:61], 0
	s_delay_alu instid0(VALU_DEP_3) | instskip(NEXT) | instid1(VALU_DEP_3)
	v_lshlrev_b64 v[11:12], 3, v[2:3]
	v_lshlrev_b64 v[25:26], 3, v[4:5]
	v_add_co_ci_u32_e32 v9, vcc_lo, s59, v5, vcc_lo
	s_mov_b32 s7, s26
	s_delay_alu instid0(VALU_DEP_3) | instskip(NEXT) | instid1(VALU_DEP_4)
	v_add_co_u32 v3, vcc_lo, s49, v11
	v_add_co_ci_u32_e32 v5, vcc_lo, s53, v12, vcc_lo
	s_delay_alu instid0(VALU_DEP_4)
	v_add_co_u32 v11, vcc_lo, s49, v25
	v_add_co_ci_u32_e32 v12, vcc_lo, s53, v26, vcc_lo
	s_set_inst_prefetch_distance 0x1
	.p2align	6
.LBB65_168:                             ;   Parent Loop BB65_11 Depth=1
                                        ;     Parent Loop BB65_166 Depth=2
                                        ; =>    This Inner Loop Header: Depth=3
	s_delay_alu instid0(VALU_DEP_2) | instskip(NEXT) | instid1(VALU_DEP_2)
	v_add_co_u32 v25, vcc_lo, v11, s60
	v_add_co_ci_u32_e32 v26, vcc_lo, s61, v12, vcc_lo
	s_add_u32 s24, s65, s60
	s_addc_u32 s25, s66, s61
	s_add_u32 s70, s45, s60
	s_addc_u32 s71, s68, s61
	global_load_b64 v[27:28], v1, s[24:25] offset:32
	flat_load_b64 v[25:26], v[25:26]
	global_load_b64 v[29:30], v1, s[70:71]
	s_add_i32 s7, s7, -1
	s_waitcnt vmcnt(0) lgkmcnt(0)
	v_mul_f64 v[31:32], v[25:26], v[29:30]
	v_mul_f64 v[29:30], v[6:7], v[29:30]
	s_delay_alu instid0(VALU_DEP_2) | instskip(NEXT) | instid1(VALU_DEP_2)
	v_fma_f64 v[31:32], v[6:7], v[27:28], -v[31:32]
	v_fma_f64 v[6:7], v[25:26], v[27:28], v[29:30]
	v_add_co_u32 v25, vcc_lo, v3, s60
	v_add_co_ci_u32_e32 v26, vcc_lo, s61, v5, vcc_lo
	v_add_co_u32 v8, vcc_lo, v8, s54
	v_add_co_ci_u32_e32 v9, vcc_lo, s55, v9, vcc_lo
	s_add_u32 s60, s60, s56
	s_addc_u32 s61, s61, s57
	s_cmp_eq_u32 s7, 0
	flat_store_b64 v[25:26], v[31:32]
	s_cbranch_scc0 .LBB65_168
	s_branch .LBB65_165
.LBB65_169:                             ;   in Loop: Header=BB65_11 Depth=1
	s_or_b32 exec_lo, exec_lo, s47
	s_delay_alu instid0(SALU_CYCLE_1)
	s_and_not1_b32 vcc_lo, exec_lo, s81
	s_cbranch_vccnz .LBB65_162
.LBB65_170:                             ;   in Loop: Header=BB65_11 Depth=1
	s_and_saveexec_b32 s16, s1
	s_cbranch_execz .LBB65_176
; %bb.171:                              ;   in Loop: Header=BB65_11 Depth=1
	s_load_b32 s7, s[42:43], 0xc
	s_mul_i32 s24, s46, s17
	s_mov_b32 s61, 0
	s_ashr_i32 s25, s24, 31
	s_mul_i32 s62, s17, s52
	s_lshl_b64 s[24:25], s[24:25], 3
	v_mov_b32_e32 v8, v0
	s_add_u32 s49, s12, s24
	s_addc_u32 s56, s13, s25
	s_add_i32 s24, s26, -1
	s_cmp_eq_u32 s48, 0
	s_cselect_b32 s24, s24, 0
	s_cselect_b32 s53, s26, 0
	s_add_i32 s24, s24, s27
	s_cmp_gt_i32 s26, 0
	s_mul_i32 s60, s53, s17
	s_cselect_b32 s57, -1, 0
	s_ashr_i32 s25, s24, 31
	s_lshl_b64 s[46:47], s[50:51], 3
	s_lshl_b64 s[24:25], s[24:25], 3
	s_waitcnt lgkmcnt(0)
	s_and_b32 s58, s7, 0xffff
	s_add_u32 s7, s46, s24
	s_addc_u32 s24, s47, s25
	s_add_u32 s46, s83, s7
	s_addc_u32 s47, s84, s24
	s_lshl_b32 s7, s48, 1
	s_ashr_i32 s45, s44, 31
	s_add_i32 s24, s7, -2
	v_add_nc_u32_e32 v7, s60, v0
	s_ashr_i32 s25, s24, 31
	s_delay_alu instid0(SALU_CYCLE_1)
	s_lshl_b64 s[54:55], s[24:25], 3
	s_lshl_b64 s[24:25], s[44:45], 3
	s_or_b32 s54, s54, 8
	s_sub_u32 s24, s24, s8
	s_subb_u32 s25, s25, s9
	s_add_u32 s45, s24, 40
	s_addc_u32 s59, s25, 0
	s_add_i32 s7, s53, s7
	s_delay_alu instid0(SALU_CYCLE_1) | instskip(NEXT) | instid1(SALU_CYCLE_1)
	s_add_i32 s7, s7, -1
	v_mad_u64_u32 v[2:3], null, s17, s7, v[0:1]
	s_branch .LBB65_173
.LBB65_172:                             ;   in Loop: Header=BB65_173 Depth=2
	s_set_inst_prefetch_distance 0x2
	v_lshlrev_b64 v[5:6], 3, v[5:6]
	v_add_nc_u32_e32 v8, s58, v8
	v_add_nc_u32_e32 v7, s58, v7
	;; [unrolled: 1-line block ×3, first 2 shown]
	s_delay_alu instid0(VALU_DEP_3) | instskip(SKIP_1) | instid1(VALU_DEP_1)
	v_cmp_le_i32_e32 vcc_lo, s30, v8
	v_add_co_u32 v5, s7, s49, v5
	v_add_co_ci_u32_e64 v6, s7, s56, v6, s7
	s_or_b32 s61, vcc_lo, s61
	s_waitcnt vmcnt(0) lgkmcnt(0)
	flat_store_b64 v[5:6], v[3:4]
	s_and_not1_b32 exec_lo, exec_lo, s61
	s_cbranch_execz .LBB65_176
.LBB65_173:                             ;   Parent Loop BB65_11 Depth=1
                                        ; =>  This Loop Header: Depth=2
                                        ;       Child Loop BB65_175 Depth 3
	v_add_nc_u32_e32 v5, s60, v8
	s_delay_alu instid0(VALU_DEP_1) | instskip(NEXT) | instid1(VALU_DEP_1)
	v_ashrrev_i32_e32 v6, 31, v5
	v_lshlrev_b64 v[3:4], 3, v[5:6]
	s_delay_alu instid0(VALU_DEP_1) | instskip(NEXT) | instid1(VALU_DEP_2)
	v_add_co_u32 v3, vcc_lo, s49, v3
	v_add_co_ci_u32_e32 v4, vcc_lo, s56, v4, vcc_lo
	s_and_not1_b32 vcc_lo, exec_lo, s57
	flat_load_b64 v[3:4], v[3:4]
	s_cbranch_vccnz .LBB65_172
; %bb.174:                              ;   in Loop: Header=BB65_173 Depth=2
	s_mov_b32 s7, 0
	s_mov_b64 s[52:53], s[46:47]
	s_mov_b32 s63, s26
	s_set_inst_prefetch_distance 0x1
	.p2align	6
.LBB65_175:                             ;   Parent Loop BB65_11 Depth=1
                                        ;     Parent Loop BB65_173 Depth=2
                                        ; =>    This Inner Loop Header: Depth=3
	v_add_nc_u32_e32 v5, s7, v2
	s_add_u32 s24, s52, s45
	s_addc_u32 s25, s53, s59
	global_load_b64 v[11:12], v1, s[52:53] offset:32
	s_add_i32 s63, s63, -1
	v_ashrrev_i32_e32 v6, 31, v5
	s_add_u32 s52, s52, s54
	s_addc_u32 s53, s53, s55
	s_delay_alu instid0(VALU_DEP_1) | instskip(NEXT) | instid1(VALU_DEP_1)
	v_lshlrev_b64 v[9:10], 3, v[5:6]
	v_add_co_u32 v9, vcc_lo, s49, v9
	s_delay_alu instid0(VALU_DEP_2)
	v_add_co_ci_u32_e32 v10, vcc_lo, s56, v10, vcc_lo
	global_load_b64 v[25:26], v1, s[24:25]
	flat_load_b64 v[9:10], v[9:10]
	s_waitcnt vmcnt(0) lgkmcnt(0)
	v_mul_f64 v[27:28], v[9:10], v[25:26]
	v_mul_f64 v[25:26], v[3:4], v[25:26]
	s_delay_alu instid0(VALU_DEP_2) | instskip(NEXT) | instid1(VALU_DEP_2)
	v_fma_f64 v[27:28], v[3:4], v[11:12], -v[27:28]
	v_fma_f64 v[3:4], v[9:10], v[11:12], v[25:26]
	v_add_nc_u32_e32 v9, s7, v7
	s_add_i32 s7, s7, s62
	s_cmp_eq_u32 s63, 0
	s_delay_alu instid0(VALU_DEP_1) | instskip(NEXT) | instid1(VALU_DEP_1)
	v_ashrrev_i32_e32 v10, 31, v9
	v_lshlrev_b64 v[9:10], 3, v[9:10]
	s_delay_alu instid0(VALU_DEP_1) | instskip(NEXT) | instid1(VALU_DEP_2)
	v_add_co_u32 v9, vcc_lo, s49, v9
	v_add_co_ci_u32_e32 v10, vcc_lo, s56, v10, vcc_lo
	flat_store_b64 v[9:10], v[27:28]
	s_cbranch_scc0 .LBB65_175
	s_branch .LBB65_172
.LBB65_176:                             ;   in Loop: Header=BB65_11 Depth=1
	s_or_b32 exec_lo, exec_lo, s16
	s_delay_alu instid0(SALU_CYCLE_1)
	s_and_not1_b32 vcc_lo, exec_lo, s82
	s_cbranch_vccnz .LBB65_10
.LBB65_177:                             ;   in Loop: Header=BB65_11 Depth=1
	s_and_saveexec_b32 s52, s6
	s_cbranch_execz .LBB65_9
; %bb.178:                              ;   in Loop: Header=BB65_11 Depth=1
	s_load_b32 s7, s[42:43], 0xc
	s_add_u32 s53, s38, s8
	s_addc_u32 s55, s39, s9
	s_add_i32 s16, s26, -1
	s_cmp_eq_u32 s48, 0
	v_mov_b32_e32 v10, v0
	s_cselect_b32 s24, s16, 0
	s_cselect_b32 s16, s26, 0
	s_add_i32 s24, s24, s27
	s_cmp_gt_i32 s26, 0
	v_add_nc_u32_e32 v2, s16, v17
	s_cselect_b32 s27, -1, 0
	s_ashr_i32 s25, s24, 31
	s_lshl_b64 s[46:47], s[50:51], 3
	s_lshl_b64 s[24:25], s[24:25], 3
	s_mov_b32 s54, 0
	s_waitcnt lgkmcnt(0)
	s_and_b32 s50, s7, 0xffff
	s_add_u32 s7, s46, s24
	s_addc_u32 s49, s47, s25
	s_add_u32 s51, s83, s7
	s_addc_u32 s56, s84, s49
	s_lshl_b32 s48, s48, 1
	s_ashr_i32 s45, s44, 31
	s_add_i32 s46, s48, -2
	s_lshl_b64 s[24:25], s[44:45], 3
	s_ashr_i32 s47, s46, 31
	v_add3_u32 v4, s48, s16, v19
	s_lshl_b64 s[44:45], s[46:47], 3
	s_mul_i32 s57, s37, s50
	s_or_b32 s44, s44, 8
	s_add_u32 s7, s7, s24
	s_addc_u32 s24, s49, s25
	s_sub_u32 s7, s7, s8
	s_subb_u32 s8, s24, s9
	s_add_u32 s58, s93, s7
	s_addc_u32 s59, s94, s8
	s_not_b64 s[8:9], s[46:47]
	s_or_b32 s46, s46, 1
	s_branch .LBB65_180
.LBB65_179:                             ;   in Loop: Header=BB65_180 Depth=2
	s_set_inst_prefetch_distance 0x2
	v_lshlrev_b64 v[8:9], 3, v[8:9]
	v_add_nc_u32_e32 v10, s50, v10
	v_add_nc_u32_e32 v2, s57, v2
	;; [unrolled: 1-line block ×3, first 2 shown]
	s_delay_alu instid0(VALU_DEP_3) | instskip(SKIP_1) | instid1(VALU_DEP_1)
	v_cmp_le_i32_e32 vcc_lo, s31, v10
	v_add_co_u32 v8, s7, s53, v8
	v_add_co_ci_u32_e64 v9, s7, s55, v9, s7
	s_or_b32 s54, vcc_lo, s54
	s_waitcnt vmcnt(0) lgkmcnt(0)
	flat_store_b64 v[8:9], v[6:7]
	s_and_not1_b32 exec_lo, exec_lo, s54
	s_cbranch_execz .LBB65_9
.LBB65_180:                             ;   Parent Loop BB65_11 Depth=1
                                        ; =>  This Loop Header: Depth=2
                                        ;       Child Loop BB65_182 Depth 3
	v_mad_u64_u32 v[8:9], null, v10, s37, s[16:17]
	s_delay_alu instid0(VALU_DEP_1) | instskip(NEXT) | instid1(VALU_DEP_1)
	v_ashrrev_i32_e32 v9, 31, v8
	v_lshlrev_b64 v[5:6], 3, v[8:9]
	s_delay_alu instid0(VALU_DEP_1) | instskip(NEXT) | instid1(VALU_DEP_2)
	v_add_co_u32 v5, vcc_lo, s53, v5
	v_add_co_ci_u32_e32 v6, vcc_lo, s55, v6, vcc_lo
	s_and_not1_b32 vcc_lo, exec_lo, s27
	flat_load_b64 v[6:7], v[5:6]
	s_cbranch_vccnz .LBB65_179
; %bb.181:                              ;   in Loop: Header=BB65_180 Depth=2
	v_ashrrev_i32_e32 v3, 31, v2
	v_ashrrev_i32_e32 v5, 31, v4
	v_add_co_u32 v8, vcc_lo, s8, v4
	s_mov_b64 s[48:49], 0
	s_delay_alu instid0(VALU_DEP_3) | instskip(NEXT) | instid1(VALU_DEP_3)
	v_lshlrev_b64 v[11:12], 3, v[2:3]
	v_lshlrev_b64 v[25:26], 3, v[4:5]
	v_add_co_ci_u32_e32 v9, vcc_lo, s9, v5, vcc_lo
	s_mov_b32 s7, s26
	s_delay_alu instid0(VALU_DEP_3) | instskip(NEXT) | instid1(VALU_DEP_4)
	v_add_co_u32 v3, vcc_lo, s53, v11
	v_add_co_ci_u32_e32 v5, vcc_lo, s55, v12, vcc_lo
	s_delay_alu instid0(VALU_DEP_4)
	v_add_co_u32 v11, vcc_lo, s53, v25
	v_add_co_ci_u32_e32 v12, vcc_lo, s55, v26, vcc_lo
	s_set_inst_prefetch_distance 0x1
	.p2align	6
.LBB65_182:                             ;   Parent Loop BB65_11 Depth=1
                                        ;     Parent Loop BB65_180 Depth=2
                                        ; =>    This Inner Loop Header: Depth=3
	s_delay_alu instid0(VALU_DEP_2) | instskip(NEXT) | instid1(VALU_DEP_2)
	v_add_co_u32 v25, vcc_lo, v11, s48
	v_add_co_ci_u32_e32 v26, vcc_lo, s49, v12, vcc_lo
	s_add_u32 s24, s51, s48
	s_addc_u32 s25, s56, s49
	s_add_u32 s60, s58, s48
	s_addc_u32 s61, s59, s49
	global_load_b64 v[27:28], v1, s[24:25] offset:32
	flat_load_b64 v[25:26], v[25:26]
	global_load_b64 v[29:30], v1, s[60:61]
	s_add_i32 s7, s7, -1
	s_waitcnt vmcnt(0) lgkmcnt(0)
	v_mul_f64 v[31:32], v[25:26], v[29:30]
	v_mul_f64 v[29:30], v[6:7], v[29:30]
	s_delay_alu instid0(VALU_DEP_2) | instskip(NEXT) | instid1(VALU_DEP_2)
	v_fma_f64 v[31:32], v[6:7], v[27:28], -v[31:32]
	v_fma_f64 v[6:7], v[25:26], v[27:28], v[29:30]
	v_add_co_u32 v25, vcc_lo, v3, s48
	v_add_co_ci_u32_e32 v26, vcc_lo, s49, v5, vcc_lo
	v_add_co_u32 v8, vcc_lo, v8, s46
	v_add_co_ci_u32_e32 v9, vcc_lo, s47, v9, vcc_lo
	s_add_u32 s48, s48, s44
	s_addc_u32 s49, s49, s45
	s_cmp_eq_u32 s7, 0
	flat_store_b64 v[25:26], v[31:32]
	s_cbranch_scc0 .LBB65_182
	s_branch .LBB65_179
.LBB65_183:
	s_endpgm
	.section	.rodata,"a",@progbits
	.p2align	6, 0x0
	.amdhsa_kernel _ZN9rocsolver6v33100L13bdsqr_computeILi256EddPdS2_S2_EEviiiiPT1_lS4_lT2_iilT3_iilT4_iiliS3_S3_S3_S3_PiS4_ilS8_
		.amdhsa_group_segment_fixed_size 2072
		.amdhsa_private_segment_fixed_size 0
		.amdhsa_kernarg_size 456
		.amdhsa_user_sgpr_count 13
		.amdhsa_user_sgpr_dispatch_ptr 0
		.amdhsa_user_sgpr_queue_ptr 0
		.amdhsa_user_sgpr_kernarg_segment_ptr 1
		.amdhsa_user_sgpr_dispatch_id 0
		.amdhsa_user_sgpr_private_segment_size 0
		.amdhsa_wavefront_size32 1
		.amdhsa_uses_dynamic_stack 0
		.amdhsa_enable_private_segment 0
		.amdhsa_system_sgpr_workgroup_id_x 1
		.amdhsa_system_sgpr_workgroup_id_y 1
		.amdhsa_system_sgpr_workgroup_id_z 1
		.amdhsa_system_sgpr_workgroup_info 0
		.amdhsa_system_vgpr_workitem_id 0
		.amdhsa_next_free_vgpr 36
		.amdhsa_next_free_sgpr 105
		.amdhsa_reserve_vcc 1
		.amdhsa_float_round_mode_32 0
		.amdhsa_float_round_mode_16_64 0
		.amdhsa_float_denorm_mode_32 3
		.amdhsa_float_denorm_mode_16_64 3
		.amdhsa_dx10_clamp 1
		.amdhsa_ieee_mode 1
		.amdhsa_fp16_overflow 0
		.amdhsa_workgroup_processor_mode 1
		.amdhsa_memory_ordered 1
		.amdhsa_forward_progress 0
		.amdhsa_shared_vgpr_count 0
		.amdhsa_exception_fp_ieee_invalid_op 0
		.amdhsa_exception_fp_denorm_src 0
		.amdhsa_exception_fp_ieee_div_zero 0
		.amdhsa_exception_fp_ieee_overflow 0
		.amdhsa_exception_fp_ieee_underflow 0
		.amdhsa_exception_fp_ieee_inexact 0
		.amdhsa_exception_int_div_zero 0
	.end_amdhsa_kernel
	.section	.text._ZN9rocsolver6v33100L13bdsqr_computeILi256EddPdS2_S2_EEviiiiPT1_lS4_lT2_iilT3_iilT4_iiliS3_S3_S3_S3_PiS4_ilS8_,"axG",@progbits,_ZN9rocsolver6v33100L13bdsqr_computeILi256EddPdS2_S2_EEviiiiPT1_lS4_lT2_iilT3_iilT4_iiliS3_S3_S3_S3_PiS4_ilS8_,comdat
.Lfunc_end65:
	.size	_ZN9rocsolver6v33100L13bdsqr_computeILi256EddPdS2_S2_EEviiiiPT1_lS4_lT2_iilT3_iilT4_iiliS3_S3_S3_S3_PiS4_ilS8_, .Lfunc_end65-_ZN9rocsolver6v33100L13bdsqr_computeILi256EddPdS2_S2_EEviiiiPT1_lS4_lT2_iilT3_iilT4_iiliS3_S3_S3_S3_PiS4_ilS8_
                                        ; -- End function
	.section	.AMDGPU.csdata,"",@progbits
; Kernel info:
; codeLenInByte = 10740
; NumSgprs: 107
; NumVgprs: 36
; ScratchSize: 0
; MemoryBound: 0
; FloatMode: 240
; IeeeMode: 1
; LDSByteSize: 2072 bytes/workgroup (compile time only)
; SGPRBlocks: 13
; VGPRBlocks: 4
; NumSGPRsForWavesPerEU: 107
; NumVGPRsForWavesPerEU: 36
; Occupancy: 16
; WaveLimiterHint : 1
; COMPUTE_PGM_RSRC2:SCRATCH_EN: 0
; COMPUTE_PGM_RSRC2:USER_SGPR: 13
; COMPUTE_PGM_RSRC2:TRAP_HANDLER: 0
; COMPUTE_PGM_RSRC2:TGID_X_EN: 1
; COMPUTE_PGM_RSRC2:TGID_Y_EN: 1
; COMPUTE_PGM_RSRC2:TGID_Z_EN: 1
; COMPUTE_PGM_RSRC2:TIDIG_COMP_CNT: 0
	.section	.text._ZN9rocsolver6v33100L12bdsqr_rotateIddPdS2_S2_EEviiiiT1_iilT2_iilT3_iiliPiPT0_ilS6_,"axG",@progbits,_ZN9rocsolver6v33100L12bdsqr_rotateIddPdS2_S2_EEviiiiT1_iilT2_iilT3_iiliPiPT0_ilS6_,comdat
	.globl	_ZN9rocsolver6v33100L12bdsqr_rotateIddPdS2_S2_EEviiiiT1_iilT2_iilT3_iiliPiPT0_ilS6_ ; -- Begin function _ZN9rocsolver6v33100L12bdsqr_rotateIddPdS2_S2_EEviiiiT1_iilT2_iilT3_iiliPiPT0_ilS6_
	.p2align	8
	.type	_ZN9rocsolver6v33100L12bdsqr_rotateIddPdS2_S2_EEviiiiT1_iilT2_iilT3_iiliPiPT0_ilS6_,@function
_ZN9rocsolver6v33100L12bdsqr_rotateIddPdS2_S2_EEviiiiT1_iilT2_iilT3_iiliPiPT0_ilS6_: ; @_ZN9rocsolver6v33100L12bdsqr_rotateIddPdS2_S2_EEviiiiT1_iilT2_iilT3_iiliPiPT0_ilS6_
; %bb.0:
	s_load_b128 s[16:19], s[0:1], 0x78
	s_mov_b32 s26, s15
	s_ashr_i32 s27, s15, 31
	s_delay_alu instid0(SALU_CYCLE_1)
	s_lshl_b64 s[2:3], s[26:27], 2
	s_waitcnt lgkmcnt(0)
	s_add_u32 s2, s18, s2
	s_addc_u32 s3, s19, s3
	s_load_b32 s2, s[2:3], 0x8
	s_waitcnt lgkmcnt(0)
	s_cmp_lg_u32 s2, 0
	s_cbranch_scc1 .LBB66_25
; %bb.1:
	s_load_b256 s[4:11], s[0:1], 0x10
	s_add_u32 s24, s0, 0x88
	s_addc_u32 s25, s1, 0
	s_mov_b64 s[2:3], 0
	s_mov_b64 s[18:19], 0
	s_waitcnt lgkmcnt(0)
	s_cmp_eq_u64 s[4:5], 0
	s_cbranch_scc1 .LBB66_3
; %bb.2:
	s_mul_i32 s9, s26, s9
	s_mul_hi_u32 s12, s26, s8
	s_mul_i32 s15, s27, s8
	s_add_i32 s9, s12, s9
	s_mul_i32 s8, s26, s8
	s_add_i32 s9, s9, s15
	s_ashr_i32 s19, s6, 31
	s_lshl_b64 s[8:9], s[8:9], 3
	s_mov_b32 s18, s6
	s_add_u32 s6, s4, s8
	s_addc_u32 s8, s5, s9
	s_lshl_b64 s[4:5], s[18:19], 3
	s_delay_alu instid0(SALU_CYCLE_1)
	s_add_u32 s18, s6, s4
	s_addc_u32 s19, s8, s5
.LBB66_3:
	s_clause 0x1
	s_load_b64 s[4:5], s[0:1], 0x30
	s_load_b128 s[20:23], s[0:1], 0x38
	s_cmp_eq_u64 s[10:11], 0
	s_cbranch_scc1 .LBB66_5
; %bb.4:
	s_waitcnt lgkmcnt(0)
	s_mul_i32 s2, s26, s21
	s_mul_hi_u32 s3, s26, s20
	s_mul_i32 s6, s27, s20
	s_add_i32 s2, s3, s2
	s_ashr_i32 s9, s4, 31
	s_add_i32 s3, s2, s6
	s_mul_i32 s2, s26, s20
	s_mov_b32 s8, s4
	s_lshl_b64 s[2:3], s[2:3], 3
	s_delay_alu instid0(SALU_CYCLE_1) | instskip(SKIP_2) | instid1(SALU_CYCLE_1)
	s_add_u32 s4, s10, s2
	s_addc_u32 s6, s11, s3
	s_lshl_b64 s[2:3], s[8:9], 3
	s_add_u32 s2, s4, s2
	s_addc_u32 s3, s6, s3
.LBB66_5:
	s_load_b64 s[28:29], s[0:1], 0x48
	s_waitcnt lgkmcnt(0)
	s_cmp_eq_u64 s[22:23], 0
	s_mov_b64 s[20:21], 0
	s_cbranch_scc1 .LBB66_7
; %bb.6:
	s_load_b64 s[8:9], s[0:1], 0x50
	s_ashr_i32 s11, s28, 31
	s_mov_b32 s10, s28
	s_waitcnt lgkmcnt(0)
	s_mul_i32 s4, s26, s9
	s_mul_hi_u32 s6, s26, s8
	s_mul_i32 s9, s27, s8
	s_add_i32 s4, s6, s4
	s_mul_i32 s8, s26, s8
	s_add_i32 s9, s4, s9
	s_delay_alu instid0(SALU_CYCLE_1) | instskip(NEXT) | instid1(SALU_CYCLE_1)
	s_lshl_b64 s[8:9], s[8:9], 3
	s_add_u32 s4, s22, s8
	s_addc_u32 s6, s23, s9
	s_lshl_b64 s[8:9], s[10:11], 3
	s_delay_alu instid0(SALU_CYCLE_1)
	s_add_u32 s20, s4, s8
	s_addc_u32 s21, s6, s9
.LBB66_7:
	s_load_b128 s[8:11], s[0:1], 0x60
	s_mul_i32 s4, s26, s17
	s_mul_hi_u32 s6, s26, s16
	s_delay_alu instid0(SALU_CYCLE_1) | instskip(SKIP_3) | instid1(SALU_CYCLE_1)
	s_add_i32 s4, s6, s4
	s_mul_i32 s6, s27, s16
	s_mul_i32 s16, s26, s16
	s_add_i32 s17, s4, s6
	s_lshl_b64 s[16:17], s[16:17], 3
	s_waitcnt lgkmcnt(0)
	s_add_u32 s22, s10, s16
	s_addc_u32 s23, s11, s17
	s_load_b64 s[22:23], s[22:23], 0x10
	s_waitcnt lgkmcnt(0)
	v_cvt_i32_f64_e32 v8, s[22:23]
	s_delay_alu instid0(VALU_DEP_1)
	v_cmp_ge_i32_e32 vcc_lo, s14, v8
	s_cbranch_vccnz .LBB66_25
; %bb.8:
	s_clause 0x3
	s_load_b128 s[36:39], s[0:1], 0x0
	s_load_b32 s6, s[0:1], 0x94
	s_load_b32 s4, s[0:1], 0x58
	;; [unrolled: 1-line block ×4, first 2 shown]
	v_mov_b32_e32 v10, 0
	s_waitcnt lgkmcnt(0)
	s_mul_i32 s0, s26, s36
	s_delay_alu instid0(SALU_CYCLE_1) | instskip(NEXT) | instid1(SALU_CYCLE_1)
	s_lshl_b32 s0, s0, 1
	s_ashr_i32 s1, s0, 31
	s_delay_alu instid0(SALU_CYCLE_1) | instskip(NEXT) | instid1(SALU_CYCLE_1)
	s_lshl_b64 s[0:1], s[0:1], 2
	s_add_u32 s22, s8, s0
	s_addc_u32 s23, s9, s1
	s_and_b32 s0, 0xffff, s6
	s_cmp_eq_u32 s37, 0
	v_mad_u64_u32 v[1:2], null, s13, s0, v[0:1]
	s_cselect_b32 s26, -1, 0
	s_cmp_lg_u64 s[18:19], 0
	s_cselect_b32 s1, -1, 0
	s_delay_alu instid0(VALU_DEP_1)
	v_cmp_gt_i32_e32 vcc_lo, s37, v1
	v_cmp_gt_i32_e64 s0, s38, v1
	v_mul_lo_u32 v0, v1, s7
	v_mul_lo_u32 v9, v1, s29
	s_and_b32 s25, vcc_lo, s1
	s_cmp_lg_u64 s[2:3], 0
	v_cmp_gt_i32_e32 vcc_lo, s39, v1
	s_cselect_b32 s1, -1, 0
	s_delay_alu instid0(SALU_CYCLE_1) | instskip(SKIP_2) | instid1(SALU_CYCLE_1)
	s_and_b32 s27, s0, s1
	s_cmp_lg_u64 s[20:21], 0
	s_cselect_b32 s0, -1, 0
	s_and_b32 s28, vcc_lo, s0
	s_add_u32 s29, s10, s16
	s_addc_u32 s30, s11, s17
	s_add_u32 s31, s29, 40
	s_addc_u32 s33, s30, 0
	s_branch .LBB66_12
.LBB66_9:                               ;   in Loop: Header=BB66_12 Depth=1
	v_sub_co_u32 v4, vcc_lo, v6, s6
	v_subrev_co_ci_u32_e32 v5, vcc_lo, s7, v7, vcc_lo
	s_add_u32 s0, s8, s20
	s_addc_u32 s1, s9, s21
	s_delay_alu instid0(VALU_DEP_2) | instskip(NEXT) | instid1(VALU_DEP_2)
	v_add_co_u32 v4, vcc_lo, s0, v4
	v_add_co_ci_u32_e32 v5, vcc_lo, s1, v5, vcc_lo
	flat_store_b64 v[4:5], v[2:3]
.LBB66_10:                              ;   in Loop: Header=BB66_12 Depth=1
	s_or_b32 exec_lo, exec_lo, s12
.LBB66_11:                              ;   in Loop: Header=BB66_12 Depth=1
	s_add_i32 s14, s24, s14
	s_delay_alu instid0(SALU_CYCLE_1)
	v_cmp_lt_i32_e32 vcc_lo, s14, v8
	s_cbranch_vccz .LBB66_25
.LBB66_12:                              ; =>This Loop Header: Depth=1
                                        ;     Child Loop BB66_16 Depth 2
                                        ;     Child Loop BB66_20 Depth 2
	;; [unrolled: 1-line block ×3, first 2 shown]
	s_lshl_b32 s0, s14, 2
	s_delay_alu instid0(SALU_CYCLE_1) | instskip(NEXT) | instid1(SALU_CYCLE_1)
	s_ashr_i32 s1, s0, 31
	s_lshl_b64 s[0:1], s[0:1], 2
	s_delay_alu instid0(SALU_CYCLE_1)
	s_add_u32 s0, s22, s0
	s_addc_u32 s1, s23, s1
	s_clause 0x1
	s_load_b64 s[6:7], s[0:1], 0x0
	s_load_b32 s10, s[0:1], 0x8
	s_waitcnt lgkmcnt(0)
	s_cmp_le_i32 s10, s7
	s_cbranch_scc1 .LBB66_11
; %bb.13:                               ;   in Loop: Header=BB66_12 Depth=1
	s_load_b32 s0, s[0:1], 0xc
	s_waitcnt lgkmcnt(0)
	s_cmp_lt_i32 s0, s4
	s_cselect_b32 s0, -1, 0
	s_cmp_lg_u32 s6, 0
	s_cselect_b32 s1, -1, 0
	s_delay_alu instid0(SALU_CYCLE_1) | instskip(NEXT) | instid1(SALU_CYCLE_1)
	s_and_b32 s0, s0, s1
	s_and_not1_b32 vcc_lo, exec_lo, s0
	s_cbranch_vccnz .LBB66_11
; %bb.14:                               ;   in Loop: Header=BB66_12 Depth=1
	s_mul_i32 s8, s7, s15
	s_delay_alu instid0(SALU_CYCLE_1)
	s_ashr_i32 s9, s8, 31
	s_cmp_gt_i32 s6, 0
	s_cselect_b32 s34, -1, 0
	s_sub_i32 s0, s10, s7
	s_and_saveexec_b32 s1, s25
	s_cbranch_execz .LBB66_18
; %bb.15:                               ;   in Loop: Header=BB66_12 Depth=1
	s_and_b32 s11, s34, exec_lo
	s_cselect_b32 s11, s7, s10
	s_delay_alu instid0(SALU_CYCLE_1)
	v_add_nc_u32_e32 v6, s11, v0
	s_add_i32 s11, s0, -1
	s_and_b32 s12, s34, exec_lo
	s_cselect_b32 s12, 0, s11
	s_lshl_b64 s[16:17], s[8:9], 3
	v_ashrrev_i32_e32 v7, 31, v6
	s_ashr_i32 s13, s12, 31
	s_delay_alu instid0(SALU_CYCLE_1) | instskip(NEXT) | instid1(SALU_CYCLE_1)
	s_lshl_b64 s[12:13], s[12:13], 3
	s_add_u32 s37, s12, s16
	s_delay_alu instid0(VALU_DEP_1)
	v_lshlrev_b64 v[2:3], 3, v[6:7]
	v_add_nc_u32_e32 v6, s6, v6
	s_addc_u32 s38, s13, s17
	s_add_u32 s35, s29, s37
	s_addc_u32 s36, s30, s38
	s_ashr_i32 s11, s10, 31
	v_add_co_u32 v4, vcc_lo, s18, v2
	v_add_co_ci_u32_e32 v5, vcc_lo, s19, v3, vcc_lo
	v_ashrrev_i32_e32 v7, 31, v6
	s_ashr_i32 s13, s6, 31
	s_mov_b32 s12, s6
	flat_load_b64 v[2:3], v[4:5]
	s_lshl_b64 s[16:17], s[10:11], 3
	v_lshlrev_b64 v[6:7], 3, v[6:7]
	s_lshl_b64 s[12:13], s[12:13], 3
	s_add_u32 s11, s37, s16
	s_addc_u32 s37, s38, s17
	s_ashr_i32 s17, s7, 31
	s_mov_b32 s16, s7
	v_add_co_u32 v11, vcc_lo, s18, v6
	s_lshl_b64 s[16:17], s[16:17], 3
	v_add_co_ci_u32_e32 v12, vcc_lo, s19, v7, vcc_lo
	s_sub_u32 s11, s11, s16
	s_subb_u32 s16, s37, s17
	s_add_u32 s11, s31, s11
	s_addc_u32 s37, s33, s16
	s_mov_b64 s[16:17], 0
	s_mov_b32 s38, s0
	.p2align	6
.LBB66_16:                              ;   Parent Loop BB66_12 Depth=1
                                        ; =>  This Inner Loop Header: Depth=2
	v_add_co_u32 v13, vcc_lo, v11, s16
	v_add_co_ci_u32_e32 v14, vcc_lo, s17, v12, vcc_lo
	s_add_u32 s40, s35, s16
	s_addc_u32 s41, s36, s17
	s_add_u32 s42, s11, s16
	s_addc_u32 s43, s37, s17
	global_load_b64 v[15:16], v10, s[40:41] offset:32
	flat_load_b64 v[13:14], v[13:14]
	global_load_b64 v[17:18], v10, s[42:43]
	s_add_i32 s38, s38, -1
	s_waitcnt vmcnt(0) lgkmcnt(0)
	v_mul_f64 v[19:20], v[13:14], v[17:18]
	v_mul_f64 v[17:18], v[2:3], v[17:18]
	s_delay_alu instid0(VALU_DEP_2) | instskip(NEXT) | instid1(VALU_DEP_2)
	v_fma_f64 v[19:20], v[2:3], v[15:16], -v[19:20]
	v_fma_f64 v[2:3], v[13:14], v[15:16], v[17:18]
	v_add_co_u32 v13, vcc_lo, v4, s16
	v_add_co_ci_u32_e32 v14, vcc_lo, s17, v5, vcc_lo
	s_add_u32 s16, s16, s12
	s_addc_u32 s17, s17, s13
	s_cmp_eq_u32 s38, 0
	flat_store_b64 v[13:14], v[19:20]
	s_cbranch_scc0 .LBB66_16
; %bb.17:                               ;   in Loop: Header=BB66_12 Depth=1
	v_sub_co_u32 v4, vcc_lo, v6, s12
	v_subrev_co_ci_u32_e32 v5, vcc_lo, s13, v7, vcc_lo
	s_add_u32 s11, s16, s18
	s_addc_u32 s12, s17, s19
	s_delay_alu instid0(VALU_DEP_2) | instskip(NEXT) | instid1(VALU_DEP_2)
	v_add_co_u32 v4, vcc_lo, s11, v4
	v_add_co_ci_u32_e32 v5, vcc_lo, s12, v5, vcc_lo
	flat_store_b64 v[4:5], v[2:3]
.LBB66_18:                              ;   in Loop: Header=BB66_12 Depth=1
	s_or_b32 exec_lo, exec_lo, s1
	s_lshl_b32 s1, s0, 1
	s_delay_alu instid0(SALU_CYCLE_1)
	s_add_i32 s1, s1, 2
	s_and_b32 s11, s26, exec_lo
	s_cselect_b32 s11, 0, s1
	s_and_saveexec_b32 s35, s27
	s_cbranch_execz .LBB66_22
; %bb.19:                               ;   in Loop: Header=BB66_12 Depth=1
	s_and_b32 s1, s34, exec_lo
	s_cselect_b32 s40, s7, s10
	s_add_i32 s1, s0, -1
	s_mul_i32 s36, s40, s5
	s_and_b32 s12, s34, exec_lo
	v_add_nc_u32_e32 v2, s36, v1
	s_cselect_b32 s1, 0, s1
	s_lshl_b64 s[16:17], s[8:9], 3
	s_add_i32 s12, s11, s1
	s_ashr_i32 s1, s0, 31
	v_ashrrev_i32_e32 v3, 31, v2
	s_ashr_i32 s13, s12, 31
	v_mov_b32_e32 v6, v1
	s_lshl_b64 s[12:13], s[12:13], 3
	s_delay_alu instid0(SALU_CYCLE_1)
	s_add_u32 s12, s16, s12
	v_lshlrev_b64 v[2:3], 3, v[2:3]
	s_addc_u32 s13, s17, s13
	s_add_u32 s12, s29, s12
	s_addc_u32 s13, s30, s13
	s_ashr_i32 s17, s6, 31
	s_mov_b32 s16, s6
	v_add_co_u32 v2, vcc_lo, s2, v2
	v_add_co_ci_u32_e32 v3, vcc_lo, s3, v3, vcc_lo
	s_lshl_b64 s[38:39], s[0:1], 3
	s_lshl_b64 s[16:17], s[16:17], 3
	s_add_u32 s1, s38, 40
	flat_load_b64 v[2:3], v[2:3]
	s_addc_u32 s37, s39, 0
	s_add_i32 s40, s40, s6
	s_mul_i32 s39, s5, s6
	s_mul_i32 s38, s5, s40
	s_mov_b32 s40, s0
	s_set_inst_prefetch_distance 0x1
	.p2align	6
.LBB66_20:                              ;   Parent Loop BB66_12 Depth=1
                                        ; =>  This Inner Loop Header: Depth=2
	v_add_nc_u32_e32 v4, s38, v6
	s_add_u32 s42, s12, s1
	s_addc_u32 s43, s13, s37
	global_load_b64 v[11:12], v10, s[12:13] offset:32
	s_add_i32 s40, s40, -1
	v_ashrrev_i32_e32 v5, 31, v4
	s_add_u32 s12, s12, s16
	s_addc_u32 s13, s13, s17
	s_cmp_eq_u32 s40, 0
	s_delay_alu instid0(VALU_DEP_1) | instskip(NEXT) | instid1(VALU_DEP_1)
	v_lshlrev_b64 v[4:5], 3, v[4:5]
	v_add_co_u32 v4, vcc_lo, s2, v4
	s_delay_alu instid0(VALU_DEP_2)
	v_add_co_ci_u32_e32 v5, vcc_lo, s3, v5, vcc_lo
	global_load_b64 v[13:14], v10, s[42:43]
	flat_load_b64 v[15:16], v[4:5]
	s_waitcnt vmcnt(0) lgkmcnt(0)
	v_mul_f64 v[17:18], v[15:16], v[13:14]
	v_mul_f64 v[13:14], v[2:3], v[13:14]
	s_delay_alu instid0(VALU_DEP_2) | instskip(NEXT) | instid1(VALU_DEP_2)
	v_fma_f64 v[17:18], v[2:3], v[11:12], -v[17:18]
	v_fma_f64 v[2:3], v[15:16], v[11:12], v[13:14]
	v_add_nc_u32_e32 v11, s36, v6
	v_add_nc_u32_e32 v6, s39, v6
	s_delay_alu instid0(VALU_DEP_2) | instskip(NEXT) | instid1(VALU_DEP_1)
	v_ashrrev_i32_e32 v12, 31, v11
	v_lshlrev_b64 v[11:12], 3, v[11:12]
	s_delay_alu instid0(VALU_DEP_1) | instskip(NEXT) | instid1(VALU_DEP_2)
	v_add_co_u32 v11, vcc_lo, s2, v11
	v_add_co_ci_u32_e32 v12, vcc_lo, s3, v12, vcc_lo
	flat_store_b64 v[11:12], v[17:18]
	s_cbranch_scc0 .LBB66_20
; %bb.21:                               ;   in Loop: Header=BB66_12 Depth=1
	s_set_inst_prefetch_distance 0x2
	flat_store_b64 v[4:5], v[2:3]
.LBB66_22:                              ;   in Loop: Header=BB66_12 Depth=1
	s_or_b32 exec_lo, exec_lo, s35
	s_and_saveexec_b32 s12, s28
	s_cbranch_execz .LBB66_10
; %bb.23:                               ;   in Loop: Header=BB66_12 Depth=1
	s_and_b32 s1, s34, exec_lo
	s_cselect_b32 s1, s7, s10
	s_delay_alu instid0(SALU_CYCLE_1)
	v_add_nc_u32_e32 v6, s1, v9
	s_add_i32 s1, s0, -1
	s_and_b32 s7, s34, exec_lo
	s_cselect_b32 s1, 0, s1
	s_lshl_b64 s[8:9], s[8:9], 3
	v_ashrrev_i32_e32 v7, 31, v6
	s_add_i32 s10, s11, s1
	s_ashr_i32 s1, s0, 31
	s_ashr_i32 s11, s10, 31
	s_delay_alu instid0(SALU_CYCLE_1)
	s_lshl_b64 s[10:11], s[10:11], 3
	v_lshlrev_b64 v[2:3], 3, v[6:7]
	v_add_nc_u32_e32 v6, s6, v6
	s_add_u32 s13, s8, s10
	s_addc_u32 s16, s9, s11
	s_add_u32 s10, s29, s13
	s_addc_u32 s11, s30, s16
	v_add_co_u32 v4, vcc_lo, s20, v2
	v_add_co_ci_u32_e32 v5, vcc_lo, s21, v3, vcc_lo
	v_ashrrev_i32_e32 v7, 31, v6
	s_ashr_i32 s7, s6, 31
	s_lshl_b64 s[8:9], s[0:1], 3
	flat_load_b64 v[2:3], v[4:5]
	s_lshl_b64 s[6:7], s[6:7], 3
	v_lshlrev_b64 v[6:7], 3, v[6:7]
	s_add_u32 s1, s13, s8
	s_addc_u32 s8, s16, s9
	s_add_u32 s1, s31, s1
	s_addc_u32 s13, s33, s8
	s_mov_b64 s[8:9], 0
	v_add_co_u32 v11, vcc_lo, s20, v6
	v_add_co_ci_u32_e32 v12, vcc_lo, s21, v7, vcc_lo
	.p2align	6
.LBB66_24:                              ;   Parent Loop BB66_12 Depth=1
                                        ; =>  This Inner Loop Header: Depth=2
	s_delay_alu instid0(VALU_DEP_2) | instskip(NEXT) | instid1(VALU_DEP_2)
	v_add_co_u32 v13, vcc_lo, v11, s8
	v_add_co_ci_u32_e32 v14, vcc_lo, s9, v12, vcc_lo
	s_add_u32 s16, s10, s8
	s_addc_u32 s17, s11, s9
	s_add_u32 s34, s1, s8
	s_addc_u32 s35, s13, s9
	global_load_b64 v[15:16], v10, s[16:17] offset:32
	flat_load_b64 v[13:14], v[13:14]
	global_load_b64 v[17:18], v10, s[34:35]
	s_add_i32 s0, s0, -1
	s_waitcnt vmcnt(0) lgkmcnt(0)
	v_mul_f64 v[19:20], v[13:14], v[17:18]
	v_mul_f64 v[17:18], v[2:3], v[17:18]
	s_delay_alu instid0(VALU_DEP_2) | instskip(NEXT) | instid1(VALU_DEP_2)
	v_fma_f64 v[19:20], v[2:3], v[15:16], -v[19:20]
	v_fma_f64 v[2:3], v[13:14], v[15:16], v[17:18]
	v_add_co_u32 v13, vcc_lo, v4, s8
	v_add_co_ci_u32_e32 v14, vcc_lo, s9, v5, vcc_lo
	s_add_u32 s8, s8, s6
	s_addc_u32 s9, s9, s7
	s_cmp_eq_u32 s0, 0
	flat_store_b64 v[13:14], v[19:20]
	s_cbranch_scc0 .LBB66_24
	s_branch .LBB66_9
.LBB66_25:
	s_endpgm
	.section	.rodata,"a",@progbits
	.p2align	6, 0x0
	.amdhsa_kernel _ZN9rocsolver6v33100L12bdsqr_rotateIddPdS2_S2_EEviiiiT1_iilT2_iilT3_iiliPiPT0_ilS6_
		.amdhsa_group_segment_fixed_size 0
		.amdhsa_private_segment_fixed_size 0
		.amdhsa_kernarg_size 392
		.amdhsa_user_sgpr_count 13
		.amdhsa_user_sgpr_dispatch_ptr 0
		.amdhsa_user_sgpr_queue_ptr 0
		.amdhsa_user_sgpr_kernarg_segment_ptr 1
		.amdhsa_user_sgpr_dispatch_id 0
		.amdhsa_user_sgpr_private_segment_size 0
		.amdhsa_wavefront_size32 1
		.amdhsa_uses_dynamic_stack 0
		.amdhsa_enable_private_segment 0
		.amdhsa_system_sgpr_workgroup_id_x 1
		.amdhsa_system_sgpr_workgroup_id_y 1
		.amdhsa_system_sgpr_workgroup_id_z 1
		.amdhsa_system_sgpr_workgroup_info 0
		.amdhsa_system_vgpr_workitem_id 0
		.amdhsa_next_free_vgpr 21
		.amdhsa_next_free_sgpr 44
		.amdhsa_reserve_vcc 1
		.amdhsa_float_round_mode_32 0
		.amdhsa_float_round_mode_16_64 0
		.amdhsa_float_denorm_mode_32 3
		.amdhsa_float_denorm_mode_16_64 3
		.amdhsa_dx10_clamp 1
		.amdhsa_ieee_mode 1
		.amdhsa_fp16_overflow 0
		.amdhsa_workgroup_processor_mode 1
		.amdhsa_memory_ordered 1
		.amdhsa_forward_progress 0
		.amdhsa_shared_vgpr_count 0
		.amdhsa_exception_fp_ieee_invalid_op 0
		.amdhsa_exception_fp_denorm_src 0
		.amdhsa_exception_fp_ieee_div_zero 0
		.amdhsa_exception_fp_ieee_overflow 0
		.amdhsa_exception_fp_ieee_underflow 0
		.amdhsa_exception_fp_ieee_inexact 0
		.amdhsa_exception_int_div_zero 0
	.end_amdhsa_kernel
	.section	.text._ZN9rocsolver6v33100L12bdsqr_rotateIddPdS2_S2_EEviiiiT1_iilT2_iilT3_iiliPiPT0_ilS6_,"axG",@progbits,_ZN9rocsolver6v33100L12bdsqr_rotateIddPdS2_S2_EEviiiiT1_iilT2_iilT3_iiliPiPT0_ilS6_,comdat
.Lfunc_end66:
	.size	_ZN9rocsolver6v33100L12bdsqr_rotateIddPdS2_S2_EEviiiiT1_iilT2_iilT3_iiliPiPT0_ilS6_, .Lfunc_end66-_ZN9rocsolver6v33100L12bdsqr_rotateIddPdS2_S2_EEviiiiT1_iilT2_iilT3_iiliPiPT0_ilS6_
                                        ; -- End function
	.section	.AMDGPU.csdata,"",@progbits
; Kernel info:
; codeLenInByte = 1880
; NumSgprs: 46
; NumVgprs: 21
; ScratchSize: 0
; MemoryBound: 0
; FloatMode: 240
; IeeeMode: 1
; LDSByteSize: 0 bytes/workgroup (compile time only)
; SGPRBlocks: 5
; VGPRBlocks: 2
; NumSGPRsForWavesPerEU: 46
; NumVGPRsForWavesPerEU: 21
; Occupancy: 16
; WaveLimiterHint : 1
; COMPUTE_PGM_RSRC2:SCRATCH_EN: 0
; COMPUTE_PGM_RSRC2:USER_SGPR: 13
; COMPUTE_PGM_RSRC2:TRAP_HANDLER: 0
; COMPUTE_PGM_RSRC2:TGID_X_EN: 1
; COMPUTE_PGM_RSRC2:TGID_Y_EN: 1
; COMPUTE_PGM_RSRC2:TGID_Z_EN: 1
; COMPUTE_PGM_RSRC2:TIDIG_COMP_CNT: 0
	.section	.text._ZN9rocsolver6v33100L22bdsqr_update_endpointsIddEEviPT0_lPiS3_lS4_,"axG",@progbits,_ZN9rocsolver6v33100L22bdsqr_update_endpointsIddEEviPT0_lPiS3_lS4_,comdat
	.globl	_ZN9rocsolver6v33100L22bdsqr_update_endpointsIddEEviPT0_lPiS3_lS4_ ; -- Begin function _ZN9rocsolver6v33100L22bdsqr_update_endpointsIddEEviPT0_lPiS3_lS4_
	.p2align	8
	.type	_ZN9rocsolver6v33100L22bdsqr_update_endpointsIddEEviPT0_lPiS3_lS4_,@function
_ZN9rocsolver6v33100L22bdsqr_update_endpointsIddEEviPT0_lPiS3_lS4_: ; @_ZN9rocsolver6v33100L22bdsqr_update_endpointsIddEEviPT0_lPiS3_lS4_
; %bb.0:
	s_load_b128 s[16:19], s[0:1], 0x28
	s_mov_b32 s12, s15
	s_ashr_i32 s13, s15, 31
	s_delay_alu instid0(SALU_CYCLE_1)
	s_lshl_b64 s[2:3], s[12:13], 2
	s_waitcnt lgkmcnt(0)
	s_add_u32 s2, s18, s2
	s_addc_u32 s3, s19, s3
	s_load_b32 s2, s[2:3], 0x8
	s_waitcnt lgkmcnt(0)
	s_cmp_lg_u32 s2, 0
	s_cbranch_scc1 .LBB67_32
; %bb.1:
	s_load_b256 s[4:11], s[0:1], 0x8
	s_mul_i32 s2, s12, s17
	s_mul_hi_u32 s3, s12, s16
	s_delay_alu instid0(SALU_CYCLE_1) | instskip(SKIP_1) | instid1(SALU_CYCLE_1)
	s_add_i32 s2, s3, s2
	s_mul_i32 s3, s13, s16
	s_add_i32 s3, s2, s3
	s_mul_i32 s2, s12, s16
	s_delay_alu instid0(SALU_CYCLE_1)
	s_lshl_b64 s[2:3], s[2:3], 3
	s_waitcnt lgkmcnt(0)
	s_add_u32 s2, s10, s2
	s_addc_u32 s3, s11, s3
	s_load_b128 s[16:19], s[2:3], 0x8
	s_waitcnt lgkmcnt(0)
	v_cvt_i32_f64_e32 v9, s[18:19]
	s_delay_alu instid0(VALU_DEP_1)
	v_cmp_ge_i32_e32 vcc_lo, s14, v9
	s_cbranch_vccnz .LBB67_32
; %bb.2:
	v_cvt_f64_i32_e32 v[4:5], v9
	s_clause 0x1
	s_load_b32 s10, s[0:1], 0x0
	s_load_b32 s15, s[0:1], 0x3c
	s_mul_i32 s7, s12, s7
	s_mul_hi_u32 s11, s12, s6
	v_mov_b32_e32 v6, 0
	s_add_i32 s7, s11, s7
	s_mul_i32 s11, s13, s6
	s_mul_i32 s6, s12, s6
	s_add_i32 s7, s7, s11
	s_delay_alu instid0(SALU_CYCLE_1) | instskip(NEXT) | instid1(SALU_CYCLE_1)
	s_lshl_b64 s[0:1], s[6:7], 3
	s_add_u32 s18, s4, s0
	s_addc_u32 s19, s5, s1
	s_waitcnt lgkmcnt(0)
	s_mul_i32 s0, s12, s10
	s_delay_alu instid0(SALU_CYCLE_1) | instskip(NEXT) | instid1(SALU_CYCLE_1)
	s_lshl_b32 s0, s0, 1
	s_ashr_i32 s1, s0, 31
	s_delay_alu instid0(SALU_CYCLE_1) | instskip(NEXT) | instid1(SALU_CYCLE_1)
	s_lshl_b64 s[0:1], s[0:1], 2
	s_add_u32 s20, s8, s0
	s_addc_u32 s21, s9, s1
	s_add_u32 s22, s18, -8
	s_addc_u32 s23, s19, -1
	s_branch .LBB67_5
.LBB67_3:                               ;   in Loop: Header=BB67_5 Depth=1
	s_mov_b32 s6, s8
.LBB67_4:                               ;   in Loop: Header=BB67_5 Depth=1
	s_add_i32 s14, s15, s14
	v_dual_mov_b32 v0, s6 :: v_dual_mov_b32 v1, s9
	v_cmp_lt_i32_e32 vcc_lo, s14, v9
	global_store_b64 v6, v[0:1], s[4:5] offset:4
	s_cbranch_vccz .LBB67_32
.LBB67_5:                               ; =>This Loop Header: Depth=1
                                        ;     Child Loop BB67_10 Depth 2
                                        ;     Child Loop BB67_15 Depth 2
	;; [unrolled: 1-line block ×3, first 2 shown]
                                        ;       Child Loop BB67_27 Depth 3
	s_lshl_b32 s0, s14, 2
	s_delay_alu instid0(SALU_CYCLE_1) | instskip(NEXT) | instid1(SALU_CYCLE_1)
	s_ashr_i32 s1, s0, 31
	s_lshl_b64 s[0:1], s[0:1], 2
	s_delay_alu instid0(SALU_CYCLE_1)
	s_add_u32 s4, s20, s0
	s_addc_u32 s5, s21, s1
	global_load_b128 v[0:3], v6, s[4:5]
	s_waitcnt vmcnt(0)
	v_cmp_eq_u32_e64 s0, 0, v0
	v_readfirstlane_b32 s10, v1
	v_readfirstlane_b32 s8, v2
	s_delay_alu instid0(VALU_DEP_3)
	s_and_b32 vcc_lo, exec_lo, s0
	s_cbranch_vccnz .LBB67_7
; %bb.6:                                ;   in Loop: Header=BB67_5 Depth=1
	s_delay_alu instid0(VALU_DEP_1) | instskip(NEXT) | instid1(SALU_CYCLE_1)
	s_sub_i32 s1, s8, s10
	v_add_nc_u32_e32 v3, s1, v3
	global_store_b32 v6, v3, s[4:5] offset:12
.LBB67_7:                               ;   in Loop: Header=BB67_5 Depth=1
	s_delay_alu instid0(VALU_DEP_1)
	s_cmp_le_i32 s8, s10
	s_cbranch_scc1 .LBB67_17
; %bb.8:                                ;   in Loop: Header=BB67_5 Depth=1
	s_ashr_i32 s11, s10, 31
	s_delay_alu instid0(SALU_CYCLE_1) | instskip(NEXT) | instid1(SALU_CYCLE_1)
	s_lshl_b64 s[6:7], s[10:11], 3
	s_add_u32 s12, s18, s6
	s_addc_u32 s13, s19, s7
	s_branch .LBB67_10
	.p2align	6
.LBB67_9:                               ;   in Loop: Header=BB67_10 Depth=2
	v_mov_b32_e32 v7, v6
	s_add_i32 s10, s10, 1
	s_mov_b32 s6, s8
	global_store_b64 v6, v[6:7], s[12:13]
	s_add_u32 s12, s12, 8
	s_addc_u32 s13, s13, 0
	s_cmp_ge_i32 s10, s8
	s_cselect_b32 s1, -1, 0
	s_delay_alu instid0(SALU_CYCLE_1)
	s_and_not1_b32 vcc_lo, exec_lo, s1
	s_cbranch_vccz .LBB67_12
.LBB67_10:                              ;   Parent Loop BB67_5 Depth=1
                                        ; =>  This Inner Loop Header: Depth=2
	global_load_b64 v[0:1], v6, s[12:13]
	s_waitcnt vmcnt(0)
	v_cmp_nlt_f64_e64 s1, |v[0:1]|, s[16:17]
	s_delay_alu instid0(VALU_DEP_1)
	s_and_b32 vcc_lo, exec_lo, s1
	s_mov_b32 s1, -1
	s_cbranch_vccz .LBB67_9
; %bb.11:                               ;   in Loop: Header=BB67_10 Depth=2
	s_mov_b32 s6, s10
                                        ; implicit-def: $sgpr10
                                        ; implicit-def: $sgpr12_sgpr13
	s_and_not1_b32 vcc_lo, exec_lo, s1
	s_cbranch_vccnz .LBB67_10
.LBB67_12:                              ;   in Loop: Header=BB67_5 Depth=1
	s_cmp_le_i32 s8, s6
	s_cbranch_scc1 .LBB67_18
.LBB67_13:                              ;   in Loop: Header=BB67_5 Depth=1
	s_ashr_i32 s9, s8, 31
	s_delay_alu instid0(SALU_CYCLE_1) | instskip(NEXT) | instid1(SALU_CYCLE_1)
	s_lshl_b64 s[10:11], s[8:9], 3
	s_add_u32 s10, s22, s10
	s_addc_u32 s11, s23, s11
	s_branch .LBB67_15
	.p2align	6
.LBB67_14:                              ;   in Loop: Header=BB67_15 Depth=2
	v_mov_b32_e32 v7, v6
	s_add_i32 s8, s8, -1
	s_mov_b32 s9, s6
	global_store_b64 v6, v[6:7], s[10:11]
	s_add_u32 s10, s10, -8
	s_addc_u32 s11, s11, -1
	s_cmp_le_i32 s8, s6
	s_cselect_b32 s1, -1, 0
	s_delay_alu instid0(SALU_CYCLE_1)
	s_and_not1_b32 vcc_lo, exec_lo, s1
	s_cbranch_vccz .LBB67_19
.LBB67_15:                              ;   Parent Loop BB67_5 Depth=1
                                        ; =>  This Inner Loop Header: Depth=2
	global_load_b64 v[0:1], v6, s[10:11]
	s_waitcnt vmcnt(0)
	v_cmp_nlt_f64_e64 s1, |v[0:1]|, s[16:17]
	s_delay_alu instid0(VALU_DEP_1)
	s_and_b32 vcc_lo, exec_lo, s1
	s_mov_b32 s1, -1
	s_cbranch_vccz .LBB67_14
; %bb.16:                               ;   in Loop: Header=BB67_15 Depth=2
	s_mov_b32 s9, s8
                                        ; implicit-def: $sgpr8
                                        ; implicit-def: $sgpr10_sgpr11
	s_and_not1_b32 vcc_lo, exec_lo, s1
	s_cbranch_vccnz .LBB67_15
	s_branch .LBB67_19
.LBB67_17:                              ;   in Loop: Header=BB67_5 Depth=1
	s_mov_b32 s6, s10
	s_delay_alu instid0(SALU_CYCLE_1)
	s_cmp_le_i32 s8, s6
	s_cbranch_scc0 .LBB67_13
.LBB67_18:                              ;   in Loop: Header=BB67_5 Depth=1
	s_mov_b32 s9, s8
.LBB67_19:                              ;   in Loop: Header=BB67_5 Depth=1
	s_delay_alu instid0(SALU_CYCLE_1) | instskip(SKIP_2) | instid1(SALU_CYCLE_1)
	s_cmp_lt_i32 s6, s9
	s_mov_b32 s8, s6
	s_cselect_b32 s1, -1, 0
	s_and_b32 s0, s0, s1
	s_delay_alu instid0(SALU_CYCLE_1)
	s_and_not1_b32 vcc_lo, exec_lo, s0
	s_cbranch_vccnz .LBB67_4
.LBB67_20:                              ;   Parent Loop BB67_5 Depth=1
                                        ; =>  This Loop Header: Depth=2
                                        ;       Child Loop BB67_27 Depth 3
	s_ashr_i32 s7, s6, 31
	s_mov_b32 s10, -1
	s_lshl_b64 s[0:1], s[6:7], 3
	s_delay_alu instid0(SALU_CYCLE_1) | instskip(SKIP_4) | instid1(VALU_DEP_1)
	s_add_u32 s0, s18, s0
	s_addc_u32 s1, s19, s1
	global_load_b64 v[0:1], v6, s[0:1]
	s_waitcnt vmcnt(0)
	v_cmp_lt_f64_e64 s7, |v[0:1]|, s[16:17]
	s_and_b32 vcc_lo, exec_lo, s7
                                        ; implicit-def: $sgpr7
	s_cbranch_vccz .LBB67_23
; %bb.21:                               ;   in Loop: Header=BB67_20 Depth=2
	s_and_not1_b32 vcc_lo, exec_lo, s10
	s_cbranch_vccz .LBB67_24
.LBB67_22:                              ;   in Loop: Header=BB67_20 Depth=2
	s_cmp_lt_i32 s7, s9
	s_cbranch_scc1 .LBB67_31
	s_branch .LBB67_3
.LBB67_23:                              ;   in Loop: Header=BB67_20 Depth=2
	s_add_i32 s7, s6, 1
	s_cbranch_execnz .LBB67_22
.LBB67_24:                              ;   in Loop: Header=BB67_20 Depth=2
	v_mov_b32_e32 v7, v6
	s_cmp_ge_i32 s8, s6
	global_store_b64 v6, v[6:7], s[0:1]
	s_cbranch_scc1 .LBB67_30
; %bb.25:                               ;   in Loop: Header=BB67_20 Depth=2
	s_mov_b32 s0, exec_lo
                                        ; implicit-def: $vgpr0_vgpr1
	s_delay_alu instid0(SALU_CYCLE_1) | instskip(NEXT) | instid1(VALU_DEP_1)
	v_mbcnt_lo_u32_b32 v2, s0, 0
	v_cmp_eq_u32_e32 vcc_lo, 0, v2
	s_and_saveexec_b32 s1, vcc_lo
	s_cbranch_execz .LBB67_29
; %bb.26:                               ;   in Loop: Header=BB67_20 Depth=2
	global_load_b64 v[0:1], v6, s[2:3] offset:24
	s_bcnt1_i32_b32 s0, s0
	s_mov_b32 s7, 0
	v_cvt_f64_u32_e32 v[7:8], s0
.LBB67_27:                              ;   Parent Loop BB67_5 Depth=1
                                        ;     Parent Loop BB67_20 Depth=2
                                        ; =>    This Inner Loop Header: Depth=3
	s_waitcnt vmcnt(0)
	v_dual_mov_b32 v13, v1 :: v_dual_mov_b32 v12, v0
	s_delay_alu instid0(VALU_DEP_1) | instskip(SKIP_3) | instid1(VALU_DEP_1)
	v_add_f64 v[10:11], v[12:13], v[7:8]
	global_atomic_cmpswap_b64 v[0:1], v6, v[10:13], s[2:3] offset:24 glc
	s_waitcnt vmcnt(0)
	v_cmp_eq_u64_e64 s0, v[0:1], v[12:13]
	s_or_b32 s7, s0, s7
	s_delay_alu instid0(SALU_CYCLE_1)
	s_and_not1_b32 exec_lo, exec_lo, s7
	s_cbranch_execnz .LBB67_27
; %bb.28:                               ;   in Loop: Header=BB67_20 Depth=2
	s_or_b32 exec_lo, exec_lo, s7
.LBB67_29:                              ;   in Loop: Header=BB67_20 Depth=2
	s_delay_alu instid0(SALU_CYCLE_1) | instskip(SKIP_4) | instid1(VALU_DEP_2)
	s_or_b32 exec_lo, exec_lo, s1
	v_cvt_f64_u32_e32 v[7:8], v2
	v_readfirstlane_b32 s1, v1
	v_readfirstlane_b32 s0, v0
	v_mov_b32_e32 v2, s6
	v_add_f64 v[0:1], s[0:1], v[7:8]
	s_delay_alu instid0(VALU_DEP_1) | instskip(NEXT) | instid1(VALU_DEP_2)
	v_cndmask_b32_e64 v1, v1, s1, vcc_lo
	v_cndmask_b32_e64 v0, v0, s0, vcc_lo
	s_delay_alu instid0(VALU_DEP_1) | instskip(NEXT) | instid1(VALU_DEP_1)
	v_add_f64 v[0:1], v[0:1], v[4:5]
	v_cvt_i32_f64_e32 v0, v[0:1]
	s_delay_alu instid0(VALU_DEP_1) | instskip(NEXT) | instid1(VALU_DEP_1)
	v_lshlrev_b32_e32 v0, 2, v0
	v_ashrrev_i32_e32 v1, 31, v0
	s_delay_alu instid0(VALU_DEP_1) | instskip(SKIP_1) | instid1(VALU_DEP_2)
	v_lshlrev_b64 v[7:8], 2, v[0:1]
	v_mov_b32_e32 v1, s8
	v_add_co_u32 v7, vcc_lo, s20, v7
	s_delay_alu instid0(VALU_DEP_3)
	v_add_co_ci_u32_e32 v8, vcc_lo, s21, v8, vcc_lo
	global_store_b96 v[7:8], v[1:3], off offset:4
.LBB67_30:                              ;   in Loop: Header=BB67_20 Depth=2
	s_add_i32 s8, s6, 1
	s_delay_alu instid0(SALU_CYCLE_1) | instskip(NEXT) | instid1(SALU_CYCLE_1)
	s_mov_b32 s7, s8
	s_cmp_lt_i32 s7, s9
	s_cbranch_scc0 .LBB67_3
.LBB67_31:                              ;   in Loop: Header=BB67_20 Depth=2
	s_mov_b32 s6, s7
	s_branch .LBB67_20
.LBB67_32:
	s_nop 0
	s_sendmsg sendmsg(MSG_DEALLOC_VGPRS)
	s_endpgm
	.section	.rodata,"a",@progbits
	.p2align	6, 0x0
	.amdhsa_kernel _ZN9rocsolver6v33100L22bdsqr_update_endpointsIddEEviPT0_lPiS3_lS4_
		.amdhsa_group_segment_fixed_size 0
		.amdhsa_private_segment_fixed_size 0
		.amdhsa_kernarg_size 312
		.amdhsa_user_sgpr_count 13
		.amdhsa_user_sgpr_dispatch_ptr 0
		.amdhsa_user_sgpr_queue_ptr 0
		.amdhsa_user_sgpr_kernarg_segment_ptr 1
		.amdhsa_user_sgpr_dispatch_id 0
		.amdhsa_user_sgpr_private_segment_size 0
		.amdhsa_wavefront_size32 1
		.amdhsa_uses_dynamic_stack 0
		.amdhsa_enable_private_segment 0
		.amdhsa_system_sgpr_workgroup_id_x 1
		.amdhsa_system_sgpr_workgroup_id_y 1
		.amdhsa_system_sgpr_workgroup_id_z 1
		.amdhsa_system_sgpr_workgroup_info 0
		.amdhsa_system_vgpr_workitem_id 0
		.amdhsa_next_free_vgpr 14
		.amdhsa_next_free_sgpr 24
		.amdhsa_reserve_vcc 1
		.amdhsa_float_round_mode_32 0
		.amdhsa_float_round_mode_16_64 0
		.amdhsa_float_denorm_mode_32 3
		.amdhsa_float_denorm_mode_16_64 3
		.amdhsa_dx10_clamp 1
		.amdhsa_ieee_mode 1
		.amdhsa_fp16_overflow 0
		.amdhsa_workgroup_processor_mode 1
		.amdhsa_memory_ordered 1
		.amdhsa_forward_progress 0
		.amdhsa_shared_vgpr_count 0
		.amdhsa_exception_fp_ieee_invalid_op 0
		.amdhsa_exception_fp_denorm_src 0
		.amdhsa_exception_fp_ieee_div_zero 0
		.amdhsa_exception_fp_ieee_overflow 0
		.amdhsa_exception_fp_ieee_underflow 0
		.amdhsa_exception_fp_ieee_inexact 0
		.amdhsa_exception_int_div_zero 0
	.end_amdhsa_kernel
	.section	.text._ZN9rocsolver6v33100L22bdsqr_update_endpointsIddEEviPT0_lPiS3_lS4_,"axG",@progbits,_ZN9rocsolver6v33100L22bdsqr_update_endpointsIddEEviPT0_lPiS3_lS4_,comdat
.Lfunc_end67:
	.size	_ZN9rocsolver6v33100L22bdsqr_update_endpointsIddEEviPT0_lPiS3_lS4_, .Lfunc_end67-_ZN9rocsolver6v33100L22bdsqr_update_endpointsIddEEviPT0_lPiS3_lS4_
                                        ; -- End function
	.section	.AMDGPU.csdata,"",@progbits
; Kernel info:
; codeLenInByte = 1064
; NumSgprs: 26
; NumVgprs: 14
; ScratchSize: 0
; MemoryBound: 0
; FloatMode: 240
; IeeeMode: 1
; LDSByteSize: 0 bytes/workgroup (compile time only)
; SGPRBlocks: 3
; VGPRBlocks: 1
; NumSGPRsForWavesPerEU: 26
; NumVGPRsForWavesPerEU: 14
; Occupancy: 16
; WaveLimiterHint : 1
; COMPUTE_PGM_RSRC2:SCRATCH_EN: 0
; COMPUTE_PGM_RSRC2:USER_SGPR: 13
; COMPUTE_PGM_RSRC2:TRAP_HANDLER: 0
; COMPUTE_PGM_RSRC2:TGID_X_EN: 1
; COMPUTE_PGM_RSRC2:TGID_Y_EN: 1
; COMPUTE_PGM_RSRC2:TGID_Z_EN: 1
; COMPUTE_PGM_RSRC2:TIDIG_COMP_CNT: 0
	.section	.text._ZN9rocsolver6v33100L19bdsqr_chk_completedIddEEviiPiPT0_lS2_,"axG",@progbits,_ZN9rocsolver6v33100L19bdsqr_chk_completedIddEEviiPiPT0_lS2_,comdat
	.globl	_ZN9rocsolver6v33100L19bdsqr_chk_completedIddEEviiPiPT0_lS2_ ; -- Begin function _ZN9rocsolver6v33100L19bdsqr_chk_completedIddEEviiPiPT0_lS2_
	.p2align	8
	.type	_ZN9rocsolver6v33100L19bdsqr_chk_completedIddEEviiPiPT0_lS2_,@function
_ZN9rocsolver6v33100L19bdsqr_chk_completedIddEEviiPiPT0_lS2_: ; @_ZN9rocsolver6v33100L19bdsqr_chk_completedIddEEviiPiPT0_lS2_
; %bb.0:
	s_load_b256 s[4:11], s[0:1], 0x8
	s_mov_b32 s12, s15
	s_ashr_i32 s13, s15, 31
	s_delay_alu instid0(SALU_CYCLE_1)
	s_lshl_b64 s[2:3], s[12:13], 2
	s_waitcnt lgkmcnt(0)
	s_add_u32 s2, s10, s2
	s_addc_u32 s3, s11, s3
	s_load_b32 s14, s[2:3], 0x8
	s_waitcnt lgkmcnt(0)
	s_cmp_lg_u32 s14, 0
	s_cbranch_scc0 .LBB68_2
.LBB68_1:
	s_nop 0
	s_sendmsg sendmsg(MSG_DEALLOC_VGPRS)
	s_endpgm
.LBB68_2:
	s_mul_i32 s9, s12, s9
	s_mul_hi_u32 s14, s12, s8
	s_mul_i32 s13, s13, s8
	s_add_i32 s9, s14, s9
	s_mul_i32 s8, s12, s8
	s_add_i32 s9, s9, s13
	v_mov_b32_e32 v2, 0
	s_lshl_b64 s[8:9], s[8:9], 3
	s_delay_alu instid0(SALU_CYCLE_1)
	s_add_u32 s8, s6, s8
	s_addc_u32 s9, s7, s9
	s_load_b32 s7, s[10:11], 0x4
	s_load_b128 s[16:19], s[8:9], 0x10
	v_mov_b32_e32 v3, v2
	s_mov_b32 s6, 0
	s_waitcnt lgkmcnt(0)
	v_add_f64 v[0:1], s[16:17], s[18:19]
	s_delay_alu instid0(VALU_DEP_1) | instskip(NEXT) | instid1(VALU_DEP_1)
	v_cvt_i32_f64_e32 v4, v[0:1]
	v_cvt_f64_i32_e32 v[0:1], v4
	v_cmp_ge_i32_e32 vcc_lo, s7, v4
	global_store_b128 v2, v[0:3], s[8:9] offset:16
	s_cbranch_vccnz .LBB68_6
; %bb.3:
	v_mov_b32_e32 v5, s7
.LBB68_4:                               ; =>This Inner Loop Header: Depth=1
	global_atomic_cmpswap_b32 v5, v2, v[4:5], s[10:11] offset:4 glc
	s_waitcnt vmcnt(0)
	v_cmp_ge_i32_e32 vcc_lo, v5, v4
	s_or_b32 s6, vcc_lo, s6
	s_delay_alu instid0(SALU_CYCLE_1)
	s_and_not1_b32 exec_lo, exec_lo, s6
	s_cbranch_execnz .LBB68_4
; %bb.5:
	s_or_b32 exec_lo, exec_lo, s6
.LBB68_6:
	v_cmp_gt_i32_e32 vcc_lo, 1, v4
	s_cbranch_vccnz .LBB68_14
; %bb.7:
	s_load_b64 s[0:1], s[0:1], 0x0
	v_mov_b32_e32 v0, 0
	s_waitcnt lgkmcnt(0)
	s_mul_i32 s0, s12, s0
	s_delay_alu instid0(SALU_CYCLE_1) | instskip(NEXT) | instid1(SALU_CYCLE_1)
	s_lshl_b32 s6, s0, 1
	s_ashr_i32 s7, s6, 31
	s_delay_alu instid0(SALU_CYCLE_1) | instskip(NEXT) | instid1(SALU_CYCLE_1)
	s_lshl_b64 s[6:7], s[6:7], 2
	s_add_u32 s0, s6, s4
	s_addc_u32 s5, s7, s5
	s_add_u32 s4, s0, 12
	s_addc_u32 s5, s5, 0
	s_branch .LBB68_9
	.p2align	6
.LBB68_8:                               ;   in Loop: Header=BB68_9 Depth=1
	v_add_nc_u32_e32 v4, -1, v4
	s_add_u32 s4, s4, 16
	s_addc_u32 s5, s5, 0
	s_mov_b32 s0, 0
	s_delay_alu instid0(VALU_DEP_1) | instskip(NEXT) | instid1(VALU_DEP_1)
	v_cmp_eq_u32_e64 s6, 0, v4
	s_and_not1_b32 vcc_lo, exec_lo, s6
	s_cbranch_vccz .LBB68_13
.LBB68_9:                               ; =>This Inner Loop Header: Depth=1
	global_load_b64 v[1:2], v0, s[4:5] offset:-8
	s_mov_b32 s6, -1
                                        ; implicit-def: $sgpr0
	s_waitcnt vmcnt(0)
	v_cmp_ge_i32_e32 vcc_lo, v1, v2
	s_cbranch_vccnz .LBB68_11
; %bb.10:                               ;   in Loop: Header=BB68_9 Depth=1
	global_load_b32 v1, v0, s[4:5]
	s_mov_b32 s0, -1
	s_waitcnt vmcnt(0)
	v_cmp_le_i32_e64 s6, s1, v1
.LBB68_11:                              ;   in Loop: Header=BB68_9 Depth=1
	s_delay_alu instid0(VALU_DEP_1)
	s_and_not1_b32 vcc_lo, exec_lo, s6
	s_cbranch_vccz .LBB68_8
; %bb.12:
                                        ; implicit-def: $vgpr4
                                        ; implicit-def: $sgpr4_sgpr5
.LBB68_13:
	s_xor_b32 s0, s0, -1
	s_delay_alu instid0(SALU_CYCLE_1)
	s_and_b32 vcc_lo, exec_lo, s0
	s_cbranch_vccz .LBB68_1
	s_branch .LBB68_15
.LBB68_14:
	s_cbranch_execz .LBB68_1
.LBB68_15:
	s_mov_b32 s0, exec_lo
	v_mov_b32_e32 v0, 0
	v_mbcnt_lo_u32_b32 v1, s0, 0
	v_mov_b32_e32 v2, 1
	s_mov_b32 s1, exec_lo
	global_store_b32 v0, v2, s[2:3] offset:8
	v_cmpx_eq_u32_e32 0, v1
	s_cbranch_execz .LBB68_1
; %bb.16:
	s_bcnt1_i32_b32 s0, s0
	s_delay_alu instid0(SALU_CYCLE_1)
	v_mov_b32_e32 v1, s0
	global_atomic_add_u32 v0, v1, s[10:11]
	s_nop 0
	s_sendmsg sendmsg(MSG_DEALLOC_VGPRS)
	s_endpgm
	.section	.rodata,"a",@progbits
	.p2align	6, 0x0
	.amdhsa_kernel _ZN9rocsolver6v33100L19bdsqr_chk_completedIddEEviiPiPT0_lS2_
		.amdhsa_group_segment_fixed_size 0
		.amdhsa_private_segment_fixed_size 0
		.amdhsa_kernarg_size 40
		.amdhsa_user_sgpr_count 14
		.amdhsa_user_sgpr_dispatch_ptr 0
		.amdhsa_user_sgpr_queue_ptr 0
		.amdhsa_user_sgpr_kernarg_segment_ptr 1
		.amdhsa_user_sgpr_dispatch_id 0
		.amdhsa_user_sgpr_private_segment_size 0
		.amdhsa_wavefront_size32 1
		.amdhsa_uses_dynamic_stack 0
		.amdhsa_enable_private_segment 0
		.amdhsa_system_sgpr_workgroup_id_x 1
		.amdhsa_system_sgpr_workgroup_id_y 1
		.amdhsa_system_sgpr_workgroup_id_z 0
		.amdhsa_system_sgpr_workgroup_info 0
		.amdhsa_system_vgpr_workitem_id 0
		.amdhsa_next_free_vgpr 6
		.amdhsa_next_free_sgpr 20
		.amdhsa_reserve_vcc 1
		.amdhsa_float_round_mode_32 0
		.amdhsa_float_round_mode_16_64 0
		.amdhsa_float_denorm_mode_32 3
		.amdhsa_float_denorm_mode_16_64 3
		.amdhsa_dx10_clamp 1
		.amdhsa_ieee_mode 1
		.amdhsa_fp16_overflow 0
		.amdhsa_workgroup_processor_mode 1
		.amdhsa_memory_ordered 1
		.amdhsa_forward_progress 0
		.amdhsa_shared_vgpr_count 0
		.amdhsa_exception_fp_ieee_invalid_op 0
		.amdhsa_exception_fp_denorm_src 0
		.amdhsa_exception_fp_ieee_div_zero 0
		.amdhsa_exception_fp_ieee_overflow 0
		.amdhsa_exception_fp_ieee_underflow 0
		.amdhsa_exception_fp_ieee_inexact 0
		.amdhsa_exception_int_div_zero 0
	.end_amdhsa_kernel
	.section	.text._ZN9rocsolver6v33100L19bdsqr_chk_completedIddEEviiPiPT0_lS2_,"axG",@progbits,_ZN9rocsolver6v33100L19bdsqr_chk_completedIddEEviiPiPT0_lS2_,comdat
.Lfunc_end68:
	.size	_ZN9rocsolver6v33100L19bdsqr_chk_completedIddEEviiPiPT0_lS2_, .Lfunc_end68-_ZN9rocsolver6v33100L19bdsqr_chk_completedIddEEviiPiPT0_lS2_
                                        ; -- End function
	.section	.AMDGPU.csdata,"",@progbits
; Kernel info:
; codeLenInByte = 476
; NumSgprs: 22
; NumVgprs: 6
; ScratchSize: 0
; MemoryBound: 0
; FloatMode: 240
; IeeeMode: 1
; LDSByteSize: 0 bytes/workgroup (compile time only)
; SGPRBlocks: 2
; VGPRBlocks: 0
; NumSGPRsForWavesPerEU: 22
; NumVGPRsForWavesPerEU: 6
; Occupancy: 16
; WaveLimiterHint : 0
; COMPUTE_PGM_RSRC2:SCRATCH_EN: 0
; COMPUTE_PGM_RSRC2:USER_SGPR: 14
; COMPUTE_PGM_RSRC2:TRAP_HANDLER: 0
; COMPUTE_PGM_RSRC2:TGID_X_EN: 1
; COMPUTE_PGM_RSRC2:TGID_Y_EN: 1
; COMPUTE_PGM_RSRC2:TGID_Z_EN: 0
; COMPUTE_PGM_RSRC2:TIDIG_COMP_CNT: 0
	.section	.text._ZN9rocsolver6v33100L14bdsqr_finalizeIddPdS2_S2_EEviiiiPT0_lS4_lT1_iilT2_iilT3_iilPiS8_S8_,"axG",@progbits,_ZN9rocsolver6v33100L14bdsqr_finalizeIddPdS2_S2_EEviiiiPT0_lS4_lT1_iilT2_iilT3_iilPiS8_S8_,comdat
	.globl	_ZN9rocsolver6v33100L14bdsqr_finalizeIddPdS2_S2_EEviiiiPT0_lS4_lT1_iilT2_iilT3_iilPiS8_S8_ ; -- Begin function _ZN9rocsolver6v33100L14bdsqr_finalizeIddPdS2_S2_EEviiiiPT0_lS4_lT1_iilT2_iilT3_iilPiS8_S8_
	.p2align	8
	.type	_ZN9rocsolver6v33100L14bdsqr_finalizeIddPdS2_S2_EEviiiiPT0_lS4_lT1_iilT2_iilT3_iilPiS8_S8_,@function
_ZN9rocsolver6v33100L14bdsqr_finalizeIddPdS2_S2_EEviiiiPT0_lS4_lT1_iilT2_iilT3_iilPiS8_S8_: ; @_ZN9rocsolver6v33100L14bdsqr_finalizeIddPdS2_S2_EEviiiiPT0_lS4_lT1_iilT2_iilT3_iilPiS8_S8_
; %bb.0:
	s_load_b256 s[36:43], s[0:1], 0x70
	s_mov_b32 s8, s15
	s_ashr_i32 s9, s15, 31
	s_mov_b32 s32, 0
	s_lshl_b64 s[22:23], s[8:9], 2
	s_waitcnt lgkmcnt(0)
	s_add_u32 s2, s42, s22
	s_addc_u32 s3, s43, s23
	s_load_b32 s2, s[2:3], 0x8
	s_waitcnt lgkmcnt(0)
	s_cmp_gt_i32 s2, 1
	s_cbranch_scc1 .LBB69_260
; %bb.1:
	s_clause 0x2
	s_load_b64 s[2:3], s[0:1], 0x9c
	s_load_b256 s[44:51], s[0:1], 0x30
	s_load_b256 s[52:59], s[0:1], 0x10
	s_mov_b64 s[28:29], 0
	s_mov_b64 s[34:35], 0
	s_waitcnt lgkmcnt(0)
	s_and_b32 s3, s3, 0xffff
	s_cmp_eq_u64 s[44:45], 0
	s_cbranch_scc1 .LBB69_3
; %bb.2:
	s_mul_i32 s4, s8, s49
	s_mul_hi_u32 s5, s8, s48
	s_mul_i32 s6, s9, s48
	s_add_i32 s4, s5, s4
	s_ashr_i32 s7, s46, 31
	s_add_i32 s5, s4, s6
	s_mul_i32 s4, s8, s48
	s_mov_b32 s6, s46
	s_lshl_b64 s[4:5], s[4:5], 3
	s_delay_alu instid0(SALU_CYCLE_1) | instskip(SKIP_2) | instid1(SALU_CYCLE_1)
	s_add_u32 s10, s44, s4
	s_addc_u32 s11, s45, s5
	s_lshl_b64 s[4:5], s[6:7], 3
	s_add_u32 s34, s10, s4
	s_addc_u32 s35, s11, s5
.LBB69_3:
	s_clause 0x1
	s_load_b64 s[42:43], s[0:1], 0x50
	s_load_b128 s[4:7], s[0:1], 0x58
	s_cmp_eq_u64 s[50:51], 0
	s_cbranch_scc1 .LBB69_5
; %bb.4:
	s_waitcnt lgkmcnt(0)
	s_mul_i32 s5, s8, s5
	s_mul_hi_u32 s10, s8, s4
	s_mul_i32 s11, s9, s4
	s_add_i32 s5, s10, s5
	s_mul_i32 s4, s8, s4
	s_add_i32 s5, s5, s11
	s_ashr_i32 s11, s42, 31
	s_lshl_b64 s[4:5], s[4:5], 3
	s_mov_b32 s10, s42
	s_add_u32 s12, s50, s4
	s_addc_u32 s13, s51, s5
	s_lshl_b64 s[4:5], s[10:11], 3
	s_delay_alu instid0(SALU_CYCLE_1)
	s_add_u32 s28, s12, s4
	s_addc_u32 s29, s13, s5
.LBB69_5:
	s_load_b64 s[48:49], s[0:1], 0x68
	s_waitcnt lgkmcnt(0)
	s_cmp_eq_u64 s[6:7], 0
	s_mov_b64 s[44:45], 0
	s_cbranch_scc1 .LBB69_7
; %bb.6:
	s_mul_i32 s4, s8, s37
	s_mul_hi_u32 s5, s8, s36
	s_mul_i32 s10, s9, s36
	s_add_i32 s4, s5, s4
	s_ashr_i32 s11, s48, 31
	s_add_i32 s5, s4, s10
	s_mul_i32 s4, s8, s36
	s_mov_b32 s10, s48
	s_lshl_b64 s[4:5], s[4:5], 3
	s_delay_alu instid0(SALU_CYCLE_1) | instskip(SKIP_2) | instid1(SALU_CYCLE_1)
	s_add_u32 s6, s6, s4
	s_addc_u32 s7, s7, s5
	s_lshl_b64 s[4:5], s[10:11], 3
	s_add_u32 s44, s6, s4
	s_addc_u32 s45, s7, s5
.LBB69_7:
	s_mul_i32 s4, s8, s55
	s_mul_hi_u32 s5, s8, s54
	s_mul_i32 s6, s9, s54
	s_add_i32 s5, s5, s4
	s_mul_i32 s4, s8, s54
	s_add_i32 s5, s5, s6
	v_bfe_u32 v42, v0, 20, 10
	s_lshl_b64 s[50:51], s[4:5], 3
	s_load_b128 s[24:27], s[0:1], 0x0
	s_add_u32 s36, s52, s50
	s_addc_u32 s37, s53, s51
	s_lshr_b32 s4, s2, 16
	s_and_b32 s21, s2, 0xffff
	v_bfe_u32 v43, v0, 10, 10
	s_mul_i32 s46, s4, s21
	v_and_b32_e32 v44, 0x3ff, v0
	v_mul_lo_u32 v1, s46, v42
	s_and_b32 s3, s3, 0xffff
	v_mul_u32_u24_e32 v0, s21, v43
	s_mul_i32 s46, s46, s3
	s_delay_alu instid0(VALU_DEP_1) | instskip(SKIP_2) | instid1(VALU_DEP_1)
	v_add3_u32 v41, v0, v44, v1
	s_waitcnt lgkmcnt(0)
	s_cmp_lt_i32 s24, 1
	v_cmp_eq_u32_e64 s2, 0, v41
	s_cbranch_scc1 .LBB69_22
; %bb.8:
	s_mul_i32 s3, s8, s59
	s_mul_hi_u32 s4, s8, s58
	s_mul_i32 s5, s9, s58
	s_add_i32 s3, s4, s3
	s_mul_i32 s4, s8, s58
	s_add_i32 s5, s3, s5
	v_cmp_gt_u32_e64 s3, s25, v41
	s_lshl_b64 s[4:5], s[4:5], 3
	v_mov_b32_e32 v0, 0
	s_add_u32 s9, s56, s4
	s_addc_u32 s10, s57, s5
	s_add_i32 s11, s24, -1
	s_mov_b32 s5, 0
	s_cmp_lg_u32 s25, 0
	s_mov_b32 s14, s47
	s_cselect_b32 s12, -1, 0
	s_ashr_i32 s13, s47, 31
	s_mov_b32 s4, s5
	s_mov_b32 s42, s5
	s_branch .LBB69_11
.LBB69_9:                               ;   in Loop: Header=BB69_11 Depth=1
	s_or_b32 exec_lo, exec_lo, s15
.LBB69_10:                              ;   in Loop: Header=BB69_11 Depth=1
	s_add_i32 s4, s4, 1
	s_delay_alu instid0(SALU_CYCLE_1)
	s_cmp_eq_u32 s4, s24
	s_cbranch_scc1 .LBB69_23
.LBB69_11:                              ; =>This Loop Header: Depth=1
                                        ;     Child Loop BB69_18 Depth 2
	s_cmp_ge_i32 s4, s11
	s_cbranch_scc1 .LBB69_14
; %bb.12:                               ;   in Loop: Header=BB69_11 Depth=1
	s_lshl_b64 s[6:7], s[4:5], 3
	s_delay_alu instid0(SALU_CYCLE_1)
	s_add_u32 s6, s9, s6
	s_addc_u32 s7, s10, s7
	global_load_b64 v[1:2], v0, s[6:7]
	s_waitcnt vmcnt(0)
	v_cmp_eq_f64_e32 vcc_lo, 0, v[1:2]
	s_cbranch_vccnz .LBB69_14
; %bb.13:                               ;   in Loop: Header=BB69_11 Depth=1
	s_add_i32 s42, s42, 1
.LBB69_14:                              ;   in Loop: Header=BB69_11 Depth=1
	s_lshl_b64 s[6:7], s[4:5], 3
	s_delay_alu instid0(SALU_CYCLE_1)
	s_add_u32 s6, s36, s6
	s_addc_u32 s7, s37, s7
	global_load_b64 v[1:2], v0, s[6:7]
	s_waitcnt vmcnt(0)
	v_cmp_ngt_f64_e32 vcc_lo, 0, v[1:2]
	s_cbranch_vccnz .LBB69_10
; %bb.15:                               ;   in Loop: Header=BB69_11 Depth=1
	s_and_not1_b32 vcc_lo, exec_lo, s12
	s_cbranch_vccnz .LBB69_20
; %bb.16:                               ;   in Loop: Header=BB69_11 Depth=1
	s_and_saveexec_b32 s15, s3
	s_cbranch_execz .LBB69_19
; %bb.17:                               ;   in Loop: Header=BB69_11 Depth=1
	v_mov_b32_e32 v1, v41
	s_mov_b32 s16, 0
	.p2align	6
.LBB69_18:                              ;   Parent Loop BB69_11 Depth=1
                                        ; =>  This Inner Loop Header: Depth=2
	s_delay_alu instid0(VALU_DEP_1) | instskip(NEXT) | instid1(VALU_DEP_1)
	v_mad_u64_u32 v[2:3], null, v1, s14, s[4:5]
	v_mad_u64_u32 v[4:5], null, v1, s13, v[3:4]
	v_add_nc_u32_e32 v1, s46, v1
	s_delay_alu instid0(VALU_DEP_2) | instskip(NEXT) | instid1(VALU_DEP_1)
	v_mov_b32_e32 v3, v4
	v_lshlrev_b64 v[2:3], 3, v[2:3]
	s_delay_alu instid0(VALU_DEP_1) | instskip(NEXT) | instid1(VALU_DEP_2)
	v_add_co_u32 v2, vcc_lo, s34, v2
	v_add_co_ci_u32_e32 v3, vcc_lo, s35, v3, vcc_lo
	v_cmp_le_u32_e32 vcc_lo, s25, v1
	flat_load_b64 v[4:5], v[2:3]
	s_or_b32 s16, vcc_lo, s16
	s_waitcnt vmcnt(0) lgkmcnt(0)
	v_xor_b32_e32 v5, 0x80000000, v5
	flat_store_b64 v[2:3], v[4:5]
	s_and_not1_b32 exec_lo, exec_lo, s16
	s_cbranch_execnz .LBB69_18
.LBB69_19:                              ;   in Loop: Header=BB69_11 Depth=1
	s_or_b32 exec_lo, exec_lo, s15
	s_waitcnt lgkmcnt(0)
	s_waitcnt_vscnt null, 0x0
	s_barrier
	buffer_gl0_inv
.LBB69_20:                              ;   in Loop: Header=BB69_11 Depth=1
	s_and_saveexec_b32 s15, s2
	s_cbranch_execz .LBB69_9
; %bb.21:                               ;   in Loop: Header=BB69_11 Depth=1
	global_load_b64 v[1:2], v0, s[6:7]
	s_waitcnt vmcnt(0)
	v_xor_b32_e32 v2, 0x80000000, v2
	global_store_b64 v0, v[1:2], s[6:7]
	s_branch .LBB69_9
.LBB69_22:
	s_mov_b32 s42, 0
.LBB69_23:
	s_delay_alu instid0(SALU_CYCLE_1)
	s_cmp_lt_i32 s42, 1
	s_mov_b32 s2, -1
	s_cbranch_scc0 .LBB69_257
; %bb.24:
	s_mul_i32 s2, s8, s24
	s_mov_b32 s54, 0
	s_lshl_b32 s2, s2, 1
	s_waitcnt_vscnt null, 0x0
	s_ashr_i32 s3, s2, 31
	s_barrier
	s_lshl_b64 s[2:3], s[2:3], 2
	buffer_gl0_inv
	s_add_u32 s2, s40, s2
	s_addc_u32 s3, s41, s3
	s_cmp_lg_u64 s[40:41], 0
	s_cselect_b32 s41, s3, 0
	s_cselect_b32 s40, s2, 0
	s_delay_alu instid0(SALU_CYCLE_1)
	s_cmp_lg_u64 s[40:41], 0
	s_cbranch_scc0 .LBB69_38
; %bb.25:
	s_or_b32 s2, s26, s25
	s_delay_alu instid0(SALU_CYCLE_1) | instskip(SKIP_4) | instid1(SALU_CYCLE_1)
	s_or_b32 s2, s2, s27
	s_cmp_gt_i32 s24, 0
	s_cselect_b32 s57, -1, 0
	s_cmp_lg_u64 s[52:53], 0
	s_cselect_b32 s3, -1, 0
	s_and_b32 s48, s57, s3
	s_cmp_eq_u32 s2, 0
	s_cbranch_scc1 .LBB69_39
; %bb.26:
	s_mov_b32 s58, -1
	s_mov_b32 s56, 0
	s_and_b32 vcc_lo, exec_lo, s48
	s_cbranch_vccz .LBB69_117
; %bb.27:
	s_mov_b32 s2, exec_lo
	s_barrier
	buffer_gl0_inv
	v_cmpx_gt_u32_e64 s24, v41
	s_cbranch_execz .LBB69_30
; %bb.28:
	v_dual_mov_b32 v1, 0 :: v_dual_mov_b32 v0, v41
	s_mov_b32 s3, 0
.LBB69_29:                              ; =>This Inner Loop Header: Depth=1
	s_delay_alu instid0(VALU_DEP_1) | instskip(NEXT) | instid1(VALU_DEP_1)
	v_lshlrev_b64 v[2:3], 2, v[0:1]
	v_add_co_u32 v2, vcc_lo, s40, v2
	s_delay_alu instid0(VALU_DEP_2) | instskip(SKIP_2) | instid1(VALU_DEP_1)
	v_add_co_ci_u32_e32 v3, vcc_lo, s41, v3, vcc_lo
	global_store_b32 v[2:3], v0, off
	v_add_nc_u32_e32 v0, s46, v0
	v_cmp_le_u32_e32 vcc_lo, s24, v0
	s_or_b32 s3, vcc_lo, s3
	s_delay_alu instid0(SALU_CYCLE_1)
	s_and_not1_b32 exec_lo, exec_lo, s3
	s_cbranch_execnz .LBB69_29
.LBB69_30:
	s_or_b32 exec_lo, exec_lo, s2
	v_or3_b32 v0, v43, v42, v44
	s_mov_b32 s20, exec_lo
	s_waitcnt_vscnt null, 0x0
	s_barrier
	buffer_gl0_inv
	v_cmpx_eq_u32_e32 0, v0
	s_cbranch_execz .LBB69_101
; %bb.31:
	s_cmpk_lt_i32 s24, 0x2be
	s_cbranch_scc1 .LBB69_40
; %bb.32:
	v_dual_mov_b32 v4, 0 :: v_dual_mov_b32 v5, 0x1000
	s_add_u32 s2, s40, 0xaf4
	s_mov_b64 s[4:5], 0x2bd
	s_addc_u32 s3, s41, 0
	s_mov_b32 s7, 0
	s_mov_b64 s[8:9], s[36:37]
	s_branch .LBB69_34
.LBB69_33:                              ;   in Loop: Header=BB69_34 Depth=1
	s_lshl_b64 s[10:11], s[16:17], 3
	s_delay_alu instid0(SALU_CYCLE_1) | instskip(SKIP_2) | instid1(SALU_CYCLE_1)
	s_add_u32 s10, s36, s10
	s_addc_u32 s11, s37, s11
	s_lshl_b64 s[12:13], s[16:17], 2
	s_add_u32 s12, s40, s12
	s_addc_u32 s13, s41, s13
	s_add_u32 s4, s4, 1
	s_addc_u32 s5, s5, 0
	;; [unrolled: 2-line block ×4, first 2 shown]
	s_cmp_eq_u32 s4, s24
	s_clause 0x1
	global_store_b64 v4, v[0:1], s[10:11]
	global_store_b32 v4, v6, s[12:13]
	s_cbranch_scc1 .LBB69_40
.LBB69_34:                              ; =>This Loop Header: Depth=1
                                        ;     Child Loop BB69_36 Depth 2
	s_mov_b32 s6, s4
	s_mov_b64 s[14:15], s[2:3]
	s_lshl_b64 s[10:11], s[6:7], 3
	s_delay_alu instid0(SALU_CYCLE_1) | instskip(SKIP_2) | instid1(SALU_CYCLE_1)
	s_add_u32 s10, s36, s10
	s_addc_u32 s11, s37, s11
	s_lshl_b64 s[12:13], s[6:7], 2
	s_add_u32 s12, s40, s12
	s_addc_u32 s13, s41, s13
	s_clause 0x1
	global_load_b64 v[0:1], v4, s[10:11]
	global_load_b32 v6, v4, s[12:13]
	s_mov_b64 s[12:13], s[8:9]
	s_mov_b64 s[10:11], s[4:5]
	s_branch .LBB69_36
	.p2align	6
.LBB69_35:                              ;   in Loop: Header=BB69_36 Depth=2
	global_load_b32 v7, v4, s[14:15] offset:-2804
	s_add_u32 s18, s14, 0xfffff50c
	s_addc_u32 s19, s15, -1
	s_add_u32 s16, s10, 0xfffffd43
	s_addc_u32 s17, s11, -1
	global_store_b64 v5, v[2:3], s[12:13] offset:1512
	s_add_u32 s12, s12, 0xffffea18
	s_addc_u32 s13, s13, -1
	s_cmpk_lt_i32 s10, 0x57a
	s_mov_b64 s[10:11], s[16:17]
	s_cselect_b32 s6, -1, 0
	s_waitcnt vmcnt(0)
	global_store_b32 v4, v7, s[14:15]
	s_mov_b64 s[14:15], s[18:19]
	s_and_not1_b32 vcc_lo, exec_lo, s6
	s_cbranch_vccz .LBB69_33
.LBB69_36:                              ;   Parent Loop BB69_34 Depth=1
                                        ; =>  This Inner Loop Header: Depth=2
	global_load_b64 v[2:3], v4, s[12:13]
	s_mov_b32 s6, -1
	s_waitcnt vmcnt(0)
	v_cmp_nlt_f64_e32 vcc_lo, v[2:3], v[0:1]
	s_cbranch_vccz .LBB69_35
; %bb.37:                               ;   in Loop: Header=BB69_36 Depth=2
	s_mov_b64 s[16:17], s[10:11]
                                        ; implicit-def: $sgpr12_sgpr13
                                        ; implicit-def: $sgpr14_sgpr15
	s_and_not1_b32 vcc_lo, exec_lo, s6
	s_cbranch_vccnz .LBB69_36
	s_branch .LBB69_33
.LBB69_38:
	s_branch .LBB69_233
.LBB69_39:
	s_mov_b32 s56, 0
	s_cbranch_execnz .LBB69_142
	s_branch .LBB69_228
.LBB69_40:
	s_cmpk_lt_i32 s24, 0x12e
	s_cbranch_scc1 .LBB69_49
; %bb.41:
	v_mov_b32_e32 v4, 0
	s_add_u32 s2, s40, 0x4b4
	s_mov_b64 s[4:5], 0x12d
	s_addc_u32 s3, s41, 0
	s_mov_b32 s7, 0
	s_mov_b64 s[8:9], s[36:37]
	s_branch .LBB69_43
.LBB69_42:                              ;   in Loop: Header=BB69_43 Depth=1
	s_lshl_b64 s[12:13], s[10:11], 3
	s_delay_alu instid0(SALU_CYCLE_1) | instskip(SKIP_2) | instid1(SALU_CYCLE_1)
	s_add_u32 s12, s36, s12
	s_addc_u32 s13, s37, s13
	s_lshl_b64 s[10:11], s[10:11], 2
	s_add_u32 s10, s40, s10
	s_addc_u32 s11, s41, s11
	s_add_u32 s4, s4, 1
	s_addc_u32 s5, s5, 0
	;; [unrolled: 2-line block ×4, first 2 shown]
	s_cmp_lg_u32 s4, s24
	s_clause 0x1
	global_store_b64 v4, v[0:1], s[12:13]
	global_store_b32 v4, v5, s[10:11]
	s_cbranch_scc0 .LBB69_49
.LBB69_43:                              ; =>This Loop Header: Depth=1
                                        ;     Child Loop BB69_45 Depth 2
	s_mov_b32 s6, s4
	s_mov_b64 s[14:15], s[2:3]
	s_lshl_b64 s[10:11], s[6:7], 3
	s_delay_alu instid0(SALU_CYCLE_1) | instskip(SKIP_2) | instid1(SALU_CYCLE_1)
	s_add_u32 s10, s36, s10
	s_addc_u32 s11, s37, s11
	s_lshl_b64 s[12:13], s[6:7], 2
	s_add_u32 s12, s40, s12
	s_addc_u32 s13, s41, s13
	s_clause 0x1
	global_load_b64 v[0:1], v4, s[10:11]
	global_load_b32 v5, v4, s[12:13]
	s_mov_b64 s[12:13], s[8:9]
	s_mov_b64 s[10:11], s[4:5]
	s_branch .LBB69_45
	.p2align	6
.LBB69_44:                              ;   in Loop: Header=BB69_45 Depth=2
	global_load_b32 v6, v4, s[14:15] offset:-1204
	s_add_u32 s30, s14, 0xfffffb4c
	s_addc_u32 s31, s15, -1
	s_add_u32 s16, s10, 0xfffffed3
	s_addc_u32 s17, s11, -1
	global_store_b64 v4, v[2:3], s[12:13] offset:2408
	s_add_u32 s12, s12, 0xfffff698
	s_addc_u32 s13, s13, -1
	s_cmpk_lt_i32 s10, 0x25a
	s_mov_b32 s6, 0
	s_mov_b64 s[10:11], s[16:17]
	s_cselect_b32 s18, -1, 0
	s_waitcnt vmcnt(0)
	global_store_b32 v4, v6, s[14:15]
	s_mov_b64 s[14:15], s[30:31]
	s_and_not1_b32 vcc_lo, exec_lo, s18
	s_cbranch_vccz .LBB69_47
.LBB69_45:                              ;   Parent Loop BB69_43 Depth=1
                                        ; =>  This Inner Loop Header: Depth=2
	global_load_b64 v[2:3], v4, s[12:13]
	s_mov_b32 s6, -1
	s_waitcnt vmcnt(0)
	v_cmp_nlt_f64_e32 vcc_lo, v[2:3], v[0:1]
	s_cbranch_vccz .LBB69_44
; %bb.46:                               ;   in Loop: Header=BB69_43 Depth=1
                                        ; implicit-def: $sgpr14_sgpr15
                                        ; implicit-def: $sgpr12_sgpr13
                                        ; implicit-def: $sgpr16_sgpr17
.LBB69_47:                              ;   in Loop: Header=BB69_43 Depth=1
	s_and_not1_b32 vcc_lo, exec_lo, s6
	s_cbranch_vccz .LBB69_42
; %bb.48:                               ;   in Loop: Header=BB69_43 Depth=1
	s_bfe_i64 s[10:11], s[16:17], 0x200000
	s_branch .LBB69_42
.LBB69_49:
	s_cmpk_lt_i32 s24, 0x85
	s_cbranch_scc1 .LBB69_58
; %bb.50:
	v_mov_b32_e32 v4, 0
	s_add_u32 s2, s40, 0x210
	s_mov_b64 s[4:5], 0x84
	s_addc_u32 s3, s41, 0
	s_mov_b32 s7, 0
	s_mov_b64 s[8:9], s[36:37]
	s_branch .LBB69_52
.LBB69_51:                              ;   in Loop: Header=BB69_52 Depth=1
	s_lshl_b64 s[12:13], s[10:11], 3
	s_delay_alu instid0(SALU_CYCLE_1) | instskip(SKIP_2) | instid1(SALU_CYCLE_1)
	s_add_u32 s12, s36, s12
	s_addc_u32 s13, s37, s13
	s_lshl_b64 s[10:11], s[10:11], 2
	s_add_u32 s10, s40, s10
	s_addc_u32 s11, s41, s11
	s_add_u32 s4, s4, 1
	s_addc_u32 s5, s5, 0
	;; [unrolled: 2-line block ×4, first 2 shown]
	s_cmp_lg_u32 s4, s24
	s_clause 0x1
	global_store_b64 v4, v[0:1], s[12:13]
	global_store_b32 v4, v5, s[10:11]
	s_cbranch_scc0 .LBB69_58
.LBB69_52:                              ; =>This Loop Header: Depth=1
                                        ;     Child Loop BB69_54 Depth 2
	s_mov_b32 s6, s4
	s_mov_b64 s[14:15], s[2:3]
	s_lshl_b64 s[10:11], s[6:7], 3
	s_delay_alu instid0(SALU_CYCLE_1) | instskip(SKIP_2) | instid1(SALU_CYCLE_1)
	s_add_u32 s10, s36, s10
	s_addc_u32 s11, s37, s11
	s_lshl_b64 s[12:13], s[6:7], 2
	s_add_u32 s12, s40, s12
	s_addc_u32 s13, s41, s13
	s_clause 0x1
	global_load_b64 v[0:1], v4, s[10:11]
	global_load_b32 v5, v4, s[12:13]
	s_mov_b64 s[12:13], s[8:9]
	s_mov_b64 s[10:11], s[4:5]
	s_branch .LBB69_54
	.p2align	6
.LBB69_53:                              ;   in Loop: Header=BB69_54 Depth=2
	global_load_b32 v6, v4, s[14:15] offset:-528
	s_add_u32 s30, s14, 0xfffffdf0
	s_addc_u32 s31, s15, -1
	s_add_u32 s16, s10, 0xffffff7c
	s_addc_u32 s17, s11, -1
	global_store_b64 v4, v[2:3], s[12:13] offset:1056
	s_add_u32 s12, s12, 0xfffffbe0
	s_addc_u32 s13, s13, -1
	s_cmpk_lt_i32 s10, 0x108
	s_mov_b32 s6, 0
	s_mov_b64 s[10:11], s[16:17]
	s_cselect_b32 s18, -1, 0
	s_waitcnt vmcnt(0)
	global_store_b32 v4, v6, s[14:15]
	s_mov_b64 s[14:15], s[30:31]
	s_and_not1_b32 vcc_lo, exec_lo, s18
	s_cbranch_vccz .LBB69_56
.LBB69_54:                              ;   Parent Loop BB69_52 Depth=1
                                        ; =>  This Inner Loop Header: Depth=2
	global_load_b64 v[2:3], v4, s[12:13]
	s_mov_b32 s6, -1
	s_waitcnt vmcnt(0)
	v_cmp_nlt_f64_e32 vcc_lo, v[2:3], v[0:1]
	s_cbranch_vccz .LBB69_53
; %bb.55:                               ;   in Loop: Header=BB69_52 Depth=1
                                        ; implicit-def: $sgpr14_sgpr15
                                        ; implicit-def: $sgpr12_sgpr13
                                        ; implicit-def: $sgpr16_sgpr17
.LBB69_56:                              ;   in Loop: Header=BB69_52 Depth=1
	s_and_not1_b32 vcc_lo, exec_lo, s6
	s_cbranch_vccz .LBB69_51
; %bb.57:                               ;   in Loop: Header=BB69_52 Depth=1
	s_bfe_i64 s[10:11], s[16:17], 0x200000
	s_branch .LBB69_51
.LBB69_58:
	s_cmp_lt_i32 s24, 58
	s_cbranch_scc1 .LBB69_67
; %bb.59:
	v_mov_b32_e32 v4, 0
	s_add_u32 s2, s40, 0xe4
	s_addc_u32 s3, s41, 0
	s_mov_b64 s[4:5], 57
	s_mov_b32 s7, 0
	s_mov_b64 s[8:9], s[36:37]
	s_branch .LBB69_61
.LBB69_60:                              ;   in Loop: Header=BB69_61 Depth=1
	s_lshl_b64 s[12:13], s[10:11], 3
	s_delay_alu instid0(SALU_CYCLE_1) | instskip(SKIP_2) | instid1(SALU_CYCLE_1)
	s_add_u32 s12, s36, s12
	s_addc_u32 s13, s37, s13
	s_lshl_b64 s[10:11], s[10:11], 2
	s_add_u32 s10, s40, s10
	s_addc_u32 s11, s41, s11
	s_add_u32 s4, s4, 1
	s_addc_u32 s5, s5, 0
	;; [unrolled: 2-line block ×4, first 2 shown]
	s_cmp_lg_u32 s4, s24
	s_clause 0x1
	global_store_b64 v4, v[0:1], s[12:13]
	global_store_b32 v4, v5, s[10:11]
	s_cbranch_scc0 .LBB69_67
.LBB69_61:                              ; =>This Loop Header: Depth=1
                                        ;     Child Loop BB69_63 Depth 2
	s_mov_b32 s6, s4
	s_mov_b64 s[14:15], s[2:3]
	s_lshl_b64 s[10:11], s[6:7], 3
	s_delay_alu instid0(SALU_CYCLE_1) | instskip(SKIP_2) | instid1(SALU_CYCLE_1)
	s_add_u32 s10, s36, s10
	s_addc_u32 s11, s37, s11
	s_lshl_b64 s[12:13], s[6:7], 2
	s_add_u32 s12, s40, s12
	s_addc_u32 s13, s41, s13
	s_clause 0x1
	global_load_b64 v[0:1], v4, s[10:11]
	global_load_b32 v5, v4, s[12:13]
	s_mov_b64 s[12:13], s[8:9]
	s_mov_b64 s[10:11], s[4:5]
	s_branch .LBB69_63
	.p2align	6
.LBB69_62:                              ;   in Loop: Header=BB69_63 Depth=2
	global_load_b32 v6, v4, s[14:15] offset:-228
	s_add_u32 s30, s14, 0xffffff1c
	s_addc_u32 s31, s15, -1
	s_add_u32 s16, s10, 0xffffffc7
	s_addc_u32 s17, s11, -1
	global_store_b64 v4, v[2:3], s[12:13] offset:456
	s_add_u32 s12, s12, 0xfffffe38
	s_addc_u32 s13, s13, -1
	s_cmpk_lt_i32 s10, 0x72
	s_mov_b32 s6, 0
	s_mov_b64 s[10:11], s[16:17]
	s_cselect_b32 s18, -1, 0
	s_waitcnt vmcnt(0)
	global_store_b32 v4, v6, s[14:15]
	s_mov_b64 s[14:15], s[30:31]
	s_and_not1_b32 vcc_lo, exec_lo, s18
	s_cbranch_vccz .LBB69_65
.LBB69_63:                              ;   Parent Loop BB69_61 Depth=1
                                        ; =>  This Inner Loop Header: Depth=2
	global_load_b64 v[2:3], v4, s[12:13]
	s_mov_b32 s6, -1
	s_waitcnt vmcnt(0)
	v_cmp_nlt_f64_e32 vcc_lo, v[2:3], v[0:1]
	s_cbranch_vccz .LBB69_62
; %bb.64:                               ;   in Loop: Header=BB69_61 Depth=1
                                        ; implicit-def: $sgpr14_sgpr15
                                        ; implicit-def: $sgpr12_sgpr13
                                        ; implicit-def: $sgpr16_sgpr17
.LBB69_65:                              ;   in Loop: Header=BB69_61 Depth=1
	s_and_not1_b32 vcc_lo, exec_lo, s6
	s_cbranch_vccz .LBB69_60
; %bb.66:                               ;   in Loop: Header=BB69_61 Depth=1
	s_bfe_i64 s[10:11], s[16:17], 0x200000
	s_branch .LBB69_60
.LBB69_67:
	s_cmp_lt_i32 s24, 24
	s_cbranch_scc1 .LBB69_76
; %bb.68:
	v_mov_b32_e32 v4, 0
	s_add_u32 s2, s40, 0x5c
	s_addc_u32 s3, s41, 0
	s_mov_b64 s[4:5], 23
	s_mov_b32 s7, 0
	s_mov_b64 s[8:9], s[36:37]
	s_branch .LBB69_70
.LBB69_69:                              ;   in Loop: Header=BB69_70 Depth=1
	s_lshl_b64 s[12:13], s[10:11], 3
	s_delay_alu instid0(SALU_CYCLE_1) | instskip(SKIP_2) | instid1(SALU_CYCLE_1)
	s_add_u32 s12, s36, s12
	s_addc_u32 s13, s37, s13
	s_lshl_b64 s[10:11], s[10:11], 2
	s_add_u32 s10, s40, s10
	s_addc_u32 s11, s41, s11
	s_add_u32 s4, s4, 1
	s_addc_u32 s5, s5, 0
	s_add_u32 s2, s2, 4
	s_addc_u32 s3, s3, 0
	s_add_u32 s8, s8, 8
	s_addc_u32 s9, s9, 0
	s_cmp_lg_u32 s4, s24
	s_clause 0x1
	global_store_b64 v4, v[0:1], s[12:13]
	global_store_b32 v4, v5, s[10:11]
	s_cbranch_scc0 .LBB69_76
.LBB69_70:                              ; =>This Loop Header: Depth=1
                                        ;     Child Loop BB69_72 Depth 2
	s_mov_b32 s6, s4
	s_mov_b64 s[14:15], s[2:3]
	s_lshl_b64 s[10:11], s[6:7], 3
	s_delay_alu instid0(SALU_CYCLE_1) | instskip(SKIP_2) | instid1(SALU_CYCLE_1)
	s_add_u32 s10, s36, s10
	s_addc_u32 s11, s37, s11
	s_lshl_b64 s[12:13], s[6:7], 2
	s_add_u32 s12, s40, s12
	s_addc_u32 s13, s41, s13
	s_clause 0x1
	global_load_b64 v[0:1], v4, s[10:11]
	global_load_b32 v5, v4, s[12:13]
	s_mov_b64 s[12:13], s[8:9]
	s_mov_b64 s[10:11], s[4:5]
	s_branch .LBB69_72
	.p2align	6
.LBB69_71:                              ;   in Loop: Header=BB69_72 Depth=2
	global_load_b32 v6, v4, s[14:15] offset:-92
	s_add_u32 s30, s14, 0xffffffa4
	s_addc_u32 s31, s15, -1
	s_add_u32 s16, s10, 0xffffffe9
	s_addc_u32 s17, s11, -1
	global_store_b64 v4, v[2:3], s[12:13] offset:184
	s_add_u32 s12, s12, 0xffffff48
	s_addc_u32 s13, s13, -1
	s_cmp_lt_i32 s10, 46
	s_mov_b32 s6, 0
	s_mov_b64 s[10:11], s[16:17]
	s_cselect_b32 s18, -1, 0
	s_waitcnt vmcnt(0)
	global_store_b32 v4, v6, s[14:15]
	s_mov_b64 s[14:15], s[30:31]
	s_and_not1_b32 vcc_lo, exec_lo, s18
	s_cbranch_vccz .LBB69_74
.LBB69_72:                              ;   Parent Loop BB69_70 Depth=1
                                        ; =>  This Inner Loop Header: Depth=2
	global_load_b64 v[2:3], v4, s[12:13]
	s_mov_b32 s6, -1
	s_waitcnt vmcnt(0)
	v_cmp_nlt_f64_e32 vcc_lo, v[2:3], v[0:1]
	s_cbranch_vccz .LBB69_71
; %bb.73:                               ;   in Loop: Header=BB69_70 Depth=1
                                        ; implicit-def: $sgpr14_sgpr15
                                        ; implicit-def: $sgpr12_sgpr13
                                        ; implicit-def: $sgpr16_sgpr17
.LBB69_74:                              ;   in Loop: Header=BB69_70 Depth=1
	s_and_not1_b32 vcc_lo, exec_lo, s6
	s_cbranch_vccz .LBB69_69
; %bb.75:                               ;   in Loop: Header=BB69_70 Depth=1
	s_bfe_i64 s[10:11], s[16:17], 0x200000
	s_branch .LBB69_69
.LBB69_76:
	s_cmp_lt_i32 s24, 11
	s_cbranch_scc1 .LBB69_85
; %bb.77:
	v_mov_b32_e32 v4, 0
	s_add_u32 s2, s40, 40
	s_addc_u32 s3, s41, 0
	s_mov_b64 s[4:5], 10
	s_mov_b32 s7, 0
	s_mov_b64 s[8:9], s[36:37]
	s_branch .LBB69_79
.LBB69_78:                              ;   in Loop: Header=BB69_79 Depth=1
	s_lshl_b64 s[12:13], s[10:11], 3
	s_delay_alu instid0(SALU_CYCLE_1) | instskip(SKIP_2) | instid1(SALU_CYCLE_1)
	s_add_u32 s12, s36, s12
	s_addc_u32 s13, s37, s13
	s_lshl_b64 s[10:11], s[10:11], 2
	s_add_u32 s10, s40, s10
	s_addc_u32 s11, s41, s11
	s_add_u32 s4, s4, 1
	s_addc_u32 s5, s5, 0
	;; [unrolled: 2-line block ×4, first 2 shown]
	s_cmp_lg_u32 s4, s24
	s_clause 0x1
	global_store_b64 v4, v[0:1], s[12:13]
	global_store_b32 v4, v5, s[10:11]
	s_cbranch_scc0 .LBB69_85
.LBB69_79:                              ; =>This Loop Header: Depth=1
                                        ;     Child Loop BB69_81 Depth 2
	s_mov_b32 s6, s4
	s_mov_b64 s[14:15], s[2:3]
	s_lshl_b64 s[10:11], s[6:7], 3
	s_delay_alu instid0(SALU_CYCLE_1) | instskip(SKIP_2) | instid1(SALU_CYCLE_1)
	s_add_u32 s10, s36, s10
	s_addc_u32 s11, s37, s11
	s_lshl_b64 s[12:13], s[6:7], 2
	s_add_u32 s12, s40, s12
	s_addc_u32 s13, s41, s13
	s_clause 0x1
	global_load_b64 v[0:1], v4, s[10:11]
	global_load_b32 v5, v4, s[12:13]
	s_mov_b64 s[12:13], s[8:9]
	s_mov_b64 s[10:11], s[4:5]
	s_branch .LBB69_81
	.p2align	6
.LBB69_80:                              ;   in Loop: Header=BB69_81 Depth=2
	global_load_b32 v6, v4, s[14:15] offset:-40
	s_add_u32 s30, s14, 0xffffffd8
	s_addc_u32 s31, s15, -1
	s_add_u32 s16, s10, -10
	s_addc_u32 s17, s11, -1
	global_store_b64 v4, v[2:3], s[12:13] offset:80
	s_add_u32 s12, s12, 0xffffffb0
	s_addc_u32 s13, s13, -1
	s_cmp_lt_i32 s10, 20
	s_mov_b32 s6, 0
	s_mov_b64 s[10:11], s[16:17]
	s_cselect_b32 s18, -1, 0
	s_waitcnt vmcnt(0)
	global_store_b32 v4, v6, s[14:15]
	s_mov_b64 s[14:15], s[30:31]
	s_and_not1_b32 vcc_lo, exec_lo, s18
	s_cbranch_vccz .LBB69_83
.LBB69_81:                              ;   Parent Loop BB69_79 Depth=1
                                        ; =>  This Inner Loop Header: Depth=2
	global_load_b64 v[2:3], v4, s[12:13]
	s_mov_b32 s6, -1
	s_waitcnt vmcnt(0)
	v_cmp_nlt_f64_e32 vcc_lo, v[2:3], v[0:1]
	s_cbranch_vccz .LBB69_80
; %bb.82:                               ;   in Loop: Header=BB69_79 Depth=1
                                        ; implicit-def: $sgpr14_sgpr15
                                        ; implicit-def: $sgpr12_sgpr13
                                        ; implicit-def: $sgpr16_sgpr17
.LBB69_83:                              ;   in Loop: Header=BB69_79 Depth=1
	s_and_not1_b32 vcc_lo, exec_lo, s6
	s_cbranch_vccz .LBB69_78
; %bb.84:                               ;   in Loop: Header=BB69_79 Depth=1
	s_bfe_i64 s[10:11], s[16:17], 0x200000
	s_branch .LBB69_78
.LBB69_85:
	s_cmp_lt_i32 s24, 5
	s_cbranch_scc1 .LBB69_94
; %bb.86:
	s_add_u32 s2, s40, 16
	s_addc_u32 s3, s41, 0
	s_add_u32 s4, s50, s52
	v_mov_b32_e32 v4, 0
	s_addc_u32 s5, s51, s53
	s_add_u32 s4, s4, 32
	s_addc_u32 s5, s5, 0
	s_mov_b64 s[6:7], 4
	s_mov_b32 s9, 0
	s_branch .LBB69_88
.LBB69_87:                              ;   in Loop: Header=BB69_88 Depth=1
	s_lshl_b64 s[12:13], s[10:11], 3
	s_delay_alu instid0(SALU_CYCLE_1) | instskip(SKIP_2) | instid1(SALU_CYCLE_1)
	s_add_u32 s12, s36, s12
	s_addc_u32 s13, s37, s13
	s_lshl_b64 s[10:11], s[10:11], 2
	s_add_u32 s10, s40, s10
	s_addc_u32 s11, s41, s11
	s_add_u32 s6, s6, 1
	s_addc_u32 s7, s7, 0
	;; [unrolled: 2-line block ×4, first 2 shown]
	s_cmp_lg_u32 s6, s24
	s_clause 0x1
	global_store_b64 v4, v[0:1], s[12:13]
	global_store_b32 v4, v5, s[10:11]
	s_cbranch_scc0 .LBB69_94
.LBB69_88:                              ; =>This Loop Header: Depth=1
                                        ;     Child Loop BB69_90 Depth 2
	s_mov_b32 s8, s6
	s_mov_b64 s[14:15], s[4:5]
	s_lshl_b64 s[10:11], s[8:9], 3
	s_delay_alu instid0(SALU_CYCLE_1) | instskip(SKIP_2) | instid1(SALU_CYCLE_1)
	s_add_u32 s10, s36, s10
	s_addc_u32 s11, s37, s11
	s_lshl_b64 s[12:13], s[8:9], 2
	s_add_u32 s12, s40, s12
	s_addc_u32 s13, s41, s13
	s_clause 0x1
	global_load_b64 v[0:1], v4, s[10:11]
	global_load_b32 v5, v4, s[12:13]
	s_mov_b64 s[12:13], s[2:3]
	s_mov_b64 s[10:11], s[6:7]
	s_branch .LBB69_90
	.p2align	6
.LBB69_89:                              ;   in Loop: Header=BB69_90 Depth=2
	global_load_b32 v6, v4, s[12:13] offset:-16
	s_add_u32 s54, s12, -16
	s_addc_u32 s55, s13, -1
	s_add_u32 s16, s10, -4
	s_addc_u32 s17, s11, -1
	s_cmp_lt_i32 s10, 8
	s_mov_b32 s8, 0
	s_mov_b64 s[10:11], s[16:17]
	s_cselect_b32 s30, -1, 0
	global_store_b64 v4, v[2:3], s[14:15]
	s_waitcnt vmcnt(0)
	global_store_b32 v4, v6, s[12:13]
	s_mov_b64 s[12:13], s[54:55]
	s_mov_b64 s[14:15], s[18:19]
	s_and_not1_b32 vcc_lo, exec_lo, s30
	s_cbranch_vccz .LBB69_92
.LBB69_90:                              ;   Parent Loop BB69_88 Depth=1
                                        ; =>  This Inner Loop Header: Depth=2
	global_load_b64 v[2:3], v4, s[14:15] offset:-32
	s_add_u32 s18, s14, 0xffffffe0
	s_addc_u32 s19, s15, -1
	s_mov_b32 s8, -1
	s_waitcnt vmcnt(0)
	v_cmp_nlt_f64_e32 vcc_lo, v[2:3], v[0:1]
	s_cbranch_vccz .LBB69_89
; %bb.91:                               ;   in Loop: Header=BB69_88 Depth=1
                                        ; implicit-def: $sgpr12_sgpr13
                                        ; implicit-def: $sgpr14_sgpr15
                                        ; implicit-def: $sgpr16_sgpr17
.LBB69_92:                              ;   in Loop: Header=BB69_88 Depth=1
	s_and_not1_b32 vcc_lo, exec_lo, s8
	s_cbranch_vccz .LBB69_87
; %bb.93:                               ;   in Loop: Header=BB69_88 Depth=1
	s_bfe_i64 s[10:11], s[16:17], 0x200000
	s_branch .LBB69_87
.LBB69_94:
	s_cmp_lt_i32 s24, 2
	s_cbranch_scc1 .LBB69_101
; %bb.95:
	s_add_u32 s2, s40, 4
	s_addc_u32 s3, s41, 0
	s_add_u32 s4, s50, s52
	v_mov_b32_e32 v4, 0
	s_addc_u32 s5, s51, s53
	s_add_u32 s4, s4, 8
	s_addc_u32 s5, s5, 0
	s_mov_b64 s[6:7], 1
	s_mov_b32 s9, 0
	s_branch .LBB69_97
.LBB69_96:                              ;   in Loop: Header=BB69_97 Depth=1
	s_lshl_b64 s[10:11], s[16:17], 3
	s_delay_alu instid0(SALU_CYCLE_1) | instskip(SKIP_2) | instid1(SALU_CYCLE_1)
	s_add_u32 s10, s36, s10
	s_addc_u32 s11, s37, s11
	s_lshl_b64 s[12:13], s[16:17], 2
	s_add_u32 s12, s40, s12
	s_addc_u32 s13, s41, s13
	s_add_u32 s6, s6, 1
	s_addc_u32 s7, s7, 0
	;; [unrolled: 2-line block ×4, first 2 shown]
	s_cmp_eq_u32 s6, s24
	s_clause 0x1
	global_store_b64 v4, v[0:1], s[10:11]
	global_store_b32 v4, v5, s[12:13]
	s_cbranch_scc1 .LBB69_101
.LBB69_97:                              ; =>This Loop Header: Depth=1
                                        ;     Child Loop BB69_99 Depth 2
	s_mov_b32 s8, s6
	s_mov_b64 s[14:15], s[4:5]
	s_lshl_b64 s[10:11], s[8:9], 3
	s_delay_alu instid0(SALU_CYCLE_1) | instskip(SKIP_2) | instid1(SALU_CYCLE_1)
	s_add_u32 s10, s36, s10
	s_addc_u32 s11, s37, s11
	s_lshl_b64 s[12:13], s[8:9], 2
	s_add_u32 s12, s40, s12
	s_addc_u32 s13, s41, s13
	s_clause 0x1
	global_load_b64 v[0:1], v4, s[10:11]
	global_load_b32 v5, v4, s[12:13]
	s_mov_b64 s[12:13], s[2:3]
	s_mov_b64 s[10:11], s[6:7]
	s_branch .LBB69_99
	.p2align	6
.LBB69_98:                              ;   in Loop: Header=BB69_99 Depth=2
	global_load_b32 v6, v4, s[12:13] offset:-4
	s_add_u32 s30, s12, -4
	s_addc_u32 s31, s13, -1
	s_add_u32 s54, s10, -1
	s_addc_u32 s55, s11, -1
	s_cmp_lt_i32 s10, 2
	s_mov_b64 s[16:17], 0
	s_mov_b64 s[10:11], s[54:55]
	s_cselect_b32 s8, -1, 0
	global_store_b64 v4, v[2:3], s[14:15]
	s_waitcnt vmcnt(0)
	global_store_b32 v4, v6, s[12:13]
	s_mov_b64 s[12:13], s[30:31]
	s_mov_b64 s[14:15], s[18:19]
	s_and_not1_b32 vcc_lo, exec_lo, s8
	s_cbranch_vccz .LBB69_96
.LBB69_99:                              ;   Parent Loop BB69_97 Depth=1
                                        ; =>  This Inner Loop Header: Depth=2
	global_load_b64 v[2:3], v4, s[14:15] offset:-8
	s_add_u32 s18, s14, -8
	s_addc_u32 s19, s15, -1
	s_mov_b32 s8, -1
	s_waitcnt vmcnt(0)
	v_cmp_nlt_f64_e32 vcc_lo, v[2:3], v[0:1]
	s_cbranch_vccz .LBB69_98
; %bb.100:                              ;   in Loop: Header=BB69_99 Depth=2
	s_mov_b64 s[16:17], s[10:11]
                                        ; implicit-def: $sgpr12_sgpr13
                                        ; implicit-def: $sgpr14_sgpr15
	s_and_not1_b32 vcc_lo, exec_lo, s8
	s_cbranch_vccnz .LBB69_99
	s_branch .LBB69_96
.LBB69_101:
	s_or_b32 exec_lo, exec_lo, s20
	s_cmp_lt_i32 s24, 2
	s_mov_b32 s58, 0
	s_cselect_b32 s5, -1, 0
	s_waitcnt_vscnt null, 0x0
	s_and_b32 vcc_lo, exec_lo, s5
	s_barrier
	buffer_gl0_inv
	s_cbranch_vccnz .LBB69_109
; %bb.102:
	s_add_i32 s4, s24, -1
	s_mov_b32 s5, -1
	s_mov_b32 s2, 0
	s_mov_b32 s3, exec_lo
	v_cmpx_gt_u32_e64 s4, v41
	s_cbranch_execz .LBB69_111
; %bb.103:
	v_dual_mov_b32 v1, 0 :: v_dual_mov_b32 v0, v41
	s_add_u32 s5, s36, 8
	s_addc_u32 s8, s37, 0
	s_mov_b32 s6, 0
                                        ; implicit-def: $sgpr7
	s_set_inst_prefetch_distance 0x1
	s_branch .LBB69_105
	.p2align	6
.LBB69_104:                             ;   in Loop: Header=BB69_105 Depth=1
	s_or_b32 exec_lo, exec_lo, s11
	s_xor_b32 s2, s2, -1
	s_and_b32 s9, exec_lo, s10
	s_delay_alu instid0(SALU_CYCLE_1) | instskip(SKIP_2) | instid1(SALU_CYCLE_1)
	s_or_b32 s6, s9, s6
	s_and_not1_b32 s7, s7, exec_lo
	s_and_b32 s2, s2, exec_lo
	s_or_b32 s7, s7, s2
	s_and_not1_b32 exec_lo, exec_lo, s6
	s_cbranch_execz .LBB69_110
.LBB69_105:                             ; =>This Inner Loop Header: Depth=1
	v_lshlrev_b64 v[2:3], 3, v[0:1]
	s_mov_b32 s10, exec_lo
                                        ; implicit-def: $sgpr2
	s_delay_alu instid0(VALU_DEP_1) | instskip(NEXT) | instid1(VALU_DEP_2)
	v_add_co_u32 v2, vcc_lo, s36, v2
	v_add_co_ci_u32_e32 v3, vcc_lo, s37, v3, vcc_lo
	global_load_b64 v[2:3], v[2:3], off
	s_waitcnt vmcnt(0)
	v_cmp_u_f64_e64 s9, v[2:3], v[2:3]
	v_cmpx_o_f64_e32 v[2:3], v[2:3]
	s_cbranch_execz .LBB69_107
; %bb.106:                              ;   in Loop: Header=BB69_105 Depth=1
	v_ashrrev_i32_e32 v5, 31, v0
	v_mov_b32_e32 v4, v0
	s_delay_alu instid0(VALU_DEP_4) | instskip(NEXT) | instid1(VALU_DEP_1)
	s_and_not1_b32 s9, s9, exec_lo
	v_lshlrev_b64 v[4:5], 3, v[4:5]
	s_delay_alu instid0(VALU_DEP_1) | instskip(NEXT) | instid1(VALU_DEP_2)
	v_add_co_u32 v4, vcc_lo, s5, v4
	v_add_co_ci_u32_e32 v5, vcc_lo, s8, v5, vcc_lo
	global_load_b64 v[4:5], v[4:5], off
	s_waitcnt vmcnt(0)
	v_cmp_u_f64_e32 vcc_lo, v[4:5], v[4:5]
	v_cmp_ge_f64_e64 s2, v[2:3], v[4:5]
	s_delay_alu instid0(VALU_DEP_1) | instskip(NEXT) | instid1(SALU_CYCLE_1)
	s_or_b32 s2, vcc_lo, s2
	s_and_b32 s11, s2, exec_lo
	s_mov_b32 s2, -1
	s_or_b32 s9, s9, s11
.LBB69_107:                             ;   in Loop: Header=BB69_105 Depth=1
	s_or_b32 exec_lo, exec_lo, s10
	s_mov_b32 s10, -1
	s_delay_alu instid0(VALU_DEP_2)
	s_and_saveexec_b32 s11, s9
	s_cbranch_execz .LBB69_104
; %bb.108:                              ;   in Loop: Header=BB69_105 Depth=1
	v_add_nc_u32_e32 v0, s46, v0
	s_and_not1_b32 s2, s2, exec_lo
	s_delay_alu instid0(VALU_DEP_1)
	v_cmp_le_u32_e32 vcc_lo, s4, v0
	s_or_not1_b32 s10, vcc_lo, exec_lo
	s_branch .LBB69_104
.LBB69_109:
	s_mov_b32 s2, 0
	s_branch .LBB69_112
.LBB69_110:
	s_set_inst_prefetch_distance 0x2
	s_or_b32 exec_lo, exec_lo, s6
	s_delay_alu instid0(SALU_CYCLE_1)
	s_mov_b32 s2, exec_lo
	s_or_not1_b32 s5, s7, exec_lo
.LBB69_111:
	s_or_b32 exec_lo, exec_lo, s3
.LBB69_112:
	s_and_saveexec_b32 s3, s5
	s_cbranch_execz .LBB69_114
; %bb.113:
	s_mov_b32 s58, exec_lo
	s_barrier
	s_and_not1_b32 s2, s2, exec_lo
	buffer_gl0_inv
.LBB69_114:
	s_or_b32 exec_lo, exec_lo, s3
	s_mov_b32 s54, 0
	s_and_saveexec_b32 s59, s2
	s_cbranch_execz .LBB69_116
; %bb.115:
	s_add_u32 s8, s0, 0x90
	s_addc_u32 s9, s1, 0
	s_getpc_b64 s[2:3]
	s_add_u32 s2, s2, __PRETTY_FUNCTION__._ZN9rocsolver6v33100L21shell_sort_descendingIdiEEvT0_PT_PS2_@rel32@lo+4
	s_addc_u32 s3, s3, __PRETTY_FUNCTION__._ZN9rocsolver6v33100L21shell_sort_descendingIdiEEvT0_PT_PS2_@rel32@hi+12
	s_delay_alu instid0(SALU_CYCLE_1)
	v_dual_mov_b32 v0, s2 :: v_dual_mov_b32 v1, s3
	s_getpc_b64 s[4:5]
	s_add_u32 s4, s4, __assert_fail@rel32@lo+4
	s_addc_u32 s5, s5, __assert_fail@rel32@hi+12
	s_mov_b64 s[54:55], s[0:1]
	s_swappc_b64 s[30:31], s[4:5]
	s_mov_b64 s[0:1], s[54:55]
	s_mov_b32 s54, exec_lo
.LBB69_116:
	s_or_b32 exec_lo, exec_lo, s59
.LBB69_117:
	s_and_saveexec_b32 s18, s58
	s_cbranch_execz .LBB69_141
; %bb.118:
	s_and_not1_b32 vcc_lo, exec_lo, s57
	s_waitcnt_vscnt null, 0x0
	s_barrier
	buffer_gl0_inv
	s_cbranch_vccnz .LBB69_140
; %bb.119:
	s_cmp_gt_i32 s25, 0
	v_cmp_eq_u32_e64 s2, 0, v41
	s_cselect_b32 s19, -1, 0
	s_ashr_i32 s20, s47, 31
	s_cmp_gt_i32 s26, 0
	v_cmp_gt_u32_e64 s3, s25, v41
	v_cmp_gt_u32_e64 s4, s26, v41
	;; [unrolled: 1-line block ×3, first 2 shown]
	v_mov_b32_e32 v1, 0
	s_mov_b32 s7, 0
	s_cselect_b32 s31, -1, 0
	s_cmp_gt_i32 s27, 0
	s_mov_b32 s30, s47
	s_mov_b32 s33, s43
	s_cselect_b32 s55, -1, 0
	s_ashr_i32 s56, s49, 31
	s_mov_b32 s57, s49
	s_mov_b32 s6, s7
	s_branch .LBB69_121
.LBB69_120:                             ;   in Loop: Header=BB69_121 Depth=1
	s_add_i32 s6, s6, 1
	s_delay_alu instid0(SALU_CYCLE_1)
	s_cmp_eq_u32 s6, s24
	s_cbranch_scc1 .LBB69_140
.LBB69_121:                             ; =>This Loop Header: Depth=1
                                        ;     Child Loop BB69_124 Depth 2
                                        ;       Child Loop BB69_129 Depth 3
                                        ;       Child Loop BB69_134 Depth 3
	;; [unrolled: 1-line block ×3, first 2 shown]
	s_lshl_b64 s[8:9], s[6:7], 2
	s_delay_alu instid0(SALU_CYCLE_1)
	s_add_u32 s8, s40, s8
	s_addc_u32 s9, s41, s9
	global_load_b32 v0, v1, s[8:9]
	s_waitcnt vmcnt(0)
	v_cmp_eq_u32_e32 vcc_lo, s6, v0
	v_readfirstlane_b32 s10, v0
	s_cbranch_vccz .LBB69_124
	s_branch .LBB69_120
.LBB69_122:                             ;   in Loop: Header=BB69_124 Depth=2
	s_or_b32 exec_lo, exec_lo, s14
	s_waitcnt lgkmcnt(0)
	s_waitcnt_vscnt null, 0x0
	s_barrier
	buffer_gl0_inv
.LBB69_123:                             ;   in Loop: Header=BB69_124 Depth=2
	global_load_b32 v0, v1, s[8:9]
	s_waitcnt vmcnt(0)
	v_cmp_ne_u32_e32 vcc_lo, s6, v0
	v_readfirstlane_b32 s10, v0
	s_cbranch_vccz .LBB69_120
.LBB69_124:                             ;   Parent Loop BB69_121 Depth=1
                                        ; =>  This Loop Header: Depth=2
                                        ;       Child Loop BB69_129 Depth 3
                                        ;       Child Loop BB69_134 Depth 3
	;; [unrolled: 1-line block ×3, first 2 shown]
	s_delay_alu instid0(VALU_DEP_1) | instskip(NEXT) | instid1(SALU_CYCLE_1)
	s_ashr_i32 s11, s10, 31
	s_lshl_b64 s[12:13], s[10:11], 2
	s_delay_alu instid0(SALU_CYCLE_1)
	s_add_u32 s14, s40, s12
	s_addc_u32 s15, s41, s13
	global_load_b32 v0, v1, s[14:15]
	s_waitcnt vmcnt(0)
	s_barrier
	buffer_gl0_inv
	v_readfirstlane_b32 s12, v0
	s_and_saveexec_b32 s13, s2
; %bb.125:                              ;   in Loop: Header=BB69_124 Depth=2
	v_mov_b32_e32 v0, s10
	s_delay_alu instid0(VALU_DEP_2)
	v_mov_b32_e32 v2, s12
	s_clause 0x1
	global_store_b32 v1, v0, s[14:15]
	global_store_b32 v1, v2, s[8:9]
; %bb.126:                              ;   in Loop: Header=BB69_124 Depth=2
	s_or_b32 exec_lo, exec_lo, s13
	s_delay_alu instid0(SALU_CYCLE_1)
	s_and_not1_b32 vcc_lo, exec_lo, s19
	s_waitcnt_vscnt null, 0x0
	s_barrier
	buffer_gl0_inv
	s_cbranch_vccnz .LBB69_131
; %bb.127:                              ;   in Loop: Header=BB69_124 Depth=2
	s_and_saveexec_b32 s58, s3
	s_cbranch_execz .LBB69_130
; %bb.128:                              ;   in Loop: Header=BB69_124 Depth=2
	v_mov_b32_e32 v0, v41
	s_ashr_i32 s13, s12, 31
	s_mov_b32 s59, 0
	s_lshl_b64 s[14:15], s[10:11], 3
	s_lshl_b64 s[16:17], s[12:13], 3
	.p2align	6
.LBB69_129:                             ;   Parent Loop BB69_121 Depth=1
                                        ;     Parent Loop BB69_124 Depth=2
                                        ; =>    This Inner Loop Header: Depth=3
	v_mad_u64_u32 v[2:3], null, v0, s30, 0
	s_delay_alu instid0(VALU_DEP_1) | instskip(NEXT) | instid1(VALU_DEP_1)
	v_mad_u64_u32 v[4:5], null, v0, s20, v[3:4]
	v_dual_mov_b32 v3, v4 :: v_dual_add_nc_u32 v0, s46, v0
	s_delay_alu instid0(VALU_DEP_1) | instskip(NEXT) | instid1(VALU_DEP_1)
	v_lshlrev_b64 v[2:3], 3, v[2:3]
	v_add_co_u32 v4, vcc_lo, s34, v2
	s_delay_alu instid0(VALU_DEP_2) | instskip(NEXT) | instid1(VALU_DEP_2)
	v_add_co_ci_u32_e32 v5, vcc_lo, s35, v3, vcc_lo
	v_add_co_u32 v2, vcc_lo, v4, s16
	s_delay_alu instid0(VALU_DEP_2)
	v_add_co_ci_u32_e32 v3, vcc_lo, s17, v5, vcc_lo
	v_add_co_u32 v4, vcc_lo, v4, s14
	v_add_co_ci_u32_e32 v5, vcc_lo, s15, v5, vcc_lo
	v_cmp_le_u32_e32 vcc_lo, s25, v0
	s_clause 0x1
	flat_load_b64 v[6:7], v[2:3]
	flat_load_b64 v[8:9], v[4:5]
	s_waitcnt vmcnt(1) lgkmcnt(1)
	flat_store_b64 v[4:5], v[6:7]
	s_waitcnt vmcnt(0) lgkmcnt(1)
	flat_store_b64 v[2:3], v[8:9]
	s_or_b32 s59, vcc_lo, s59
	s_delay_alu instid0(SALU_CYCLE_1)
	s_and_not1_b32 exec_lo, exec_lo, s59
	s_cbranch_execnz .LBB69_129
.LBB69_130:                             ;   in Loop: Header=BB69_124 Depth=2
	s_or_b32 exec_lo, exec_lo, s58
	s_waitcnt lgkmcnt(0)
	s_waitcnt_vscnt null, 0x0
	s_barrier
	buffer_gl0_inv
.LBB69_131:                             ;   in Loop: Header=BB69_124 Depth=2
	s_and_not1_b32 vcc_lo, exec_lo, s31
	s_cbranch_vccnz .LBB69_136
; %bb.132:                              ;   in Loop: Header=BB69_124 Depth=2
	s_and_saveexec_b32 s13, s4
	s_cbranch_execz .LBB69_135
; %bb.133:                              ;   in Loop: Header=BB69_124 Depth=2
	s_mul_hi_i32 s15, s10, s33
	s_mul_i32 s14, s10, s33
	s_mul_hi_i32 s17, s12, s33
	s_lshl_b64 s[14:15], s[14:15], 3
	s_mul_i32 s16, s12, s33
	s_add_u32 s14, s28, s14
	s_addc_u32 s15, s29, s15
	s_lshl_b64 s[16:17], s[16:17], 3
	v_mov_b32_e32 v0, v41
	s_add_u32 s16, s28, s16
	s_addc_u32 s17, s29, s17
	s_mov_b32 s58, 0
	.p2align	6
.LBB69_134:                             ;   Parent Loop BB69_121 Depth=1
                                        ;     Parent Loop BB69_124 Depth=2
                                        ; =>    This Inner Loop Header: Depth=3
	s_delay_alu instid0(VALU_DEP_1) | instskip(SKIP_1) | instid1(VALU_DEP_2)
	v_lshlrev_b64 v[2:3], 3, v[0:1]
	v_add_nc_u32_e32 v0, s46, v0
	v_add_co_u32 v4, vcc_lo, s16, v2
	s_delay_alu instid0(VALU_DEP_3)
	v_add_co_ci_u32_e32 v5, vcc_lo, s17, v3, vcc_lo
	v_add_co_u32 v2, vcc_lo, s14, v2
	v_add_co_ci_u32_e32 v3, vcc_lo, s15, v3, vcc_lo
	v_cmp_le_u32_e32 vcc_lo, s26, v0
	s_clause 0x1
	flat_load_b64 v[6:7], v[4:5]
	flat_load_b64 v[8:9], v[2:3]
	s_waitcnt vmcnt(1) lgkmcnt(1)
	flat_store_b64 v[2:3], v[6:7]
	s_waitcnt vmcnt(0) lgkmcnt(1)
	flat_store_b64 v[4:5], v[8:9]
	s_or_b32 s58, vcc_lo, s58
	s_delay_alu instid0(SALU_CYCLE_1)
	s_and_not1_b32 exec_lo, exec_lo, s58
	s_cbranch_execnz .LBB69_134
.LBB69_135:                             ;   in Loop: Header=BB69_124 Depth=2
	s_or_b32 exec_lo, exec_lo, s13
	s_waitcnt lgkmcnt(0)
	s_waitcnt_vscnt null, 0x0
	s_barrier
	buffer_gl0_inv
.LBB69_136:                             ;   in Loop: Header=BB69_124 Depth=2
	s_and_not1_b32 vcc_lo, exec_lo, s55
	s_cbranch_vccnz .LBB69_123
; %bb.137:                              ;   in Loop: Header=BB69_124 Depth=2
	s_and_saveexec_b32 s14, s5
	s_cbranch_execz .LBB69_122
; %bb.138:                              ;   in Loop: Header=BB69_124 Depth=2
	v_mov_b32_e32 v0, v41
	s_ashr_i32 s13, s12, 31
	s_mov_b32 s15, 0
	s_lshl_b64 s[10:11], s[10:11], 3
	s_lshl_b64 s[12:13], s[12:13], 3
	.p2align	6
.LBB69_139:                             ;   Parent Loop BB69_121 Depth=1
                                        ;     Parent Loop BB69_124 Depth=2
                                        ; =>    This Inner Loop Header: Depth=3
	v_mad_u64_u32 v[2:3], null, v0, s57, 0
	s_delay_alu instid0(VALU_DEP_1) | instskip(NEXT) | instid1(VALU_DEP_1)
	v_mad_u64_u32 v[4:5], null, v0, s56, v[3:4]
	v_dual_mov_b32 v3, v4 :: v_dual_add_nc_u32 v0, s46, v0
	s_delay_alu instid0(VALU_DEP_1) | instskip(NEXT) | instid1(VALU_DEP_1)
	v_lshlrev_b64 v[2:3], 3, v[2:3]
	v_add_co_u32 v4, vcc_lo, s44, v2
	s_delay_alu instid0(VALU_DEP_2) | instskip(NEXT) | instid1(VALU_DEP_2)
	v_add_co_ci_u32_e32 v5, vcc_lo, s45, v3, vcc_lo
	v_add_co_u32 v2, vcc_lo, v4, s12
	s_delay_alu instid0(VALU_DEP_2)
	v_add_co_ci_u32_e32 v3, vcc_lo, s13, v5, vcc_lo
	v_add_co_u32 v4, vcc_lo, v4, s10
	v_add_co_ci_u32_e32 v5, vcc_lo, s11, v5, vcc_lo
	v_cmp_le_u32_e32 vcc_lo, s27, v0
	s_clause 0x1
	flat_load_b64 v[6:7], v[2:3]
	flat_load_b64 v[8:9], v[4:5]
	s_waitcnt vmcnt(1) lgkmcnt(1)
	flat_store_b64 v[4:5], v[6:7]
	s_waitcnt vmcnt(0) lgkmcnt(1)
	flat_store_b64 v[2:3], v[8:9]
	s_or_b32 s15, vcc_lo, s15
	s_delay_alu instid0(SALU_CYCLE_1)
	s_and_not1_b32 exec_lo, exec_lo, s15
	s_cbranch_execnz .LBB69_139
	s_branch .LBB69_122
.LBB69_140:
	s_mov_b32 s56, exec_lo
.LBB69_141:
	s_or_b32 exec_lo, exec_lo, s18
	s_branch .LBB69_228
.LBB69_142:
	s_and_b32 vcc_lo, exec_lo, s48
	s_mov_b32 s56, -1
	s_cbranch_vccz .LBB69_228
; %bb.143:
	v_or3_b32 v0, v43, v42, v44
	s_mov_b32 s16, exec_lo
	s_waitcnt_vscnt null, 0x0
	s_barrier
	buffer_gl0_inv
	s_barrier
	buffer_gl0_inv
	v_cmpx_eq_u32_e32 0, v0
	s_cbranch_execz .LBB69_212
; %bb.144:
	s_cmpk_lt_u32 s24, 0x2be
	s_cbranch_scc1 .LBB69_151
; %bb.145:
	v_dual_mov_b32 v4, 0 :: v_dual_mov_b32 v5, 0x1000
	s_mov_b64 s[2:3], 0x2bd
	s_mov_b32 s5, 0
	s_mov_b64 s[6:7], s[36:37]
	s_set_inst_prefetch_distance 0x1
	s_branch .LBB69_147
	.p2align	6
.LBB69_146:                             ;   in Loop: Header=BB69_147 Depth=1
	s_lshl_b64 s[8:9], s[12:13], 3
	s_delay_alu instid0(SALU_CYCLE_1)
	s_add_u32 s8, s36, s8
	s_addc_u32 s9, s37, s9
	s_add_u32 s2, s2, 1
	s_addc_u32 s3, s3, 0
	s_add_u32 s6, s6, 8
	s_addc_u32 s7, s7, 0
	s_cmp_eq_u32 s2, s24
	global_store_b64 v4, v[0:1], s[8:9]
	s_cbranch_scc1 .LBB69_151
.LBB69_147:                             ; =>This Loop Header: Depth=1
                                        ;     Child Loop BB69_149 Depth 2
	s_mov_b32 s4, s2
	s_mov_b64 s[10:11], s[6:7]
	s_lshl_b64 s[8:9], s[4:5], 3
	s_delay_alu instid0(SALU_CYCLE_1)
	s_add_u32 s8, s36, s8
	s_addc_u32 s9, s37, s9
	global_load_b64 v[0:1], v4, s[8:9]
	s_mov_b64 s[8:9], s[2:3]
	s_branch .LBB69_149
	.p2align	6
.LBB69_148:                             ;   in Loop: Header=BB69_149 Depth=2
	s_add_u32 s12, s8, 0xfffffd43
	s_addc_u32 s13, s9, -1
	global_store_b64 v5, v[2:3], s[10:11] offset:1512
	s_add_u32 s10, s10, 0xffffea18
	s_addc_u32 s11, s11, -1
	s_cmpk_lt_i32 s8, 0x57a
	s_mov_b64 s[8:9], s[12:13]
	s_cselect_b32 s4, -1, 0
	s_delay_alu instid0(SALU_CYCLE_1)
	s_and_not1_b32 vcc_lo, exec_lo, s4
	s_cbranch_vccz .LBB69_146
.LBB69_149:                             ;   Parent Loop BB69_147 Depth=1
                                        ; =>  This Inner Loop Header: Depth=2
	global_load_b64 v[2:3], v4, s[10:11]
	s_mov_b32 s4, -1
	s_waitcnt vmcnt(0)
	v_cmp_nlt_f64_e32 vcc_lo, v[2:3], v[0:1]
	s_cbranch_vccz .LBB69_148
; %bb.150:                              ;   in Loop: Header=BB69_149 Depth=2
	s_mov_b64 s[12:13], s[8:9]
                                        ; implicit-def: $sgpr10_sgpr11
	s_and_not1_b32 vcc_lo, exec_lo, s4
	s_cbranch_vccnz .LBB69_149
	s_branch .LBB69_146
.LBB69_151:
	s_set_inst_prefetch_distance 0x2
	s_cmpk_lt_i32 s24, 0x12e
	s_cbranch_scc1 .LBB69_160
; %bb.152:
	v_mov_b32_e32 v4, 0
	s_mov_b64 s[2:3], 0x12d
	s_mov_b32 s5, 0
	s_mov_b64 s[6:7], s[36:37]
	s_set_inst_prefetch_distance 0x1
	s_branch .LBB69_154
	.p2align	6
.LBB69_153:                             ;   in Loop: Header=BB69_154 Depth=1
	s_lshl_b64 s[8:9], s[8:9], 3
	s_delay_alu instid0(SALU_CYCLE_1)
	s_add_u32 s8, s36, s8
	s_addc_u32 s9, s37, s9
	s_add_u32 s2, s2, 1
	s_addc_u32 s3, s3, 0
	;; [unrolled: 2-line block ×3, first 2 shown]
	s_cmp_lg_u32 s2, s24
	global_store_b64 v4, v[0:1], s[8:9]
	s_cbranch_scc0 .LBB69_160
.LBB69_154:                             ; =>This Loop Header: Depth=1
                                        ;     Child Loop BB69_156 Depth 2
	s_mov_b32 s4, s2
	s_mov_b64 s[10:11], s[6:7]
	s_lshl_b64 s[8:9], s[4:5], 3
	s_delay_alu instid0(SALU_CYCLE_1)
	s_add_u32 s8, s36, s8
	s_addc_u32 s9, s37, s9
	global_load_b64 v[0:1], v4, s[8:9]
	s_mov_b64 s[8:9], s[2:3]
	s_branch .LBB69_156
	.p2align	6
.LBB69_155:                             ;   in Loop: Header=BB69_156 Depth=2
	s_add_u32 s12, s8, 0xfffffed3
	s_addc_u32 s13, s9, -1
	global_store_b64 v4, v[2:3], s[10:11] offset:2408
	s_add_u32 s10, s10, 0xfffff698
	s_addc_u32 s11, s11, -1
	s_cmpk_lt_i32 s8, 0x25a
	s_mov_b32 s4, 0
	s_cselect_b32 s14, -1, 0
	s_mov_b64 s[8:9], s[12:13]
	s_and_not1_b32 vcc_lo, exec_lo, s14
	s_cbranch_vccz .LBB69_158
.LBB69_156:                             ;   Parent Loop BB69_154 Depth=1
                                        ; =>  This Inner Loop Header: Depth=2
	global_load_b64 v[2:3], v4, s[10:11]
	s_mov_b32 s4, -1
	s_waitcnt vmcnt(0)
	v_cmp_nlt_f64_e32 vcc_lo, v[2:3], v[0:1]
	s_cbranch_vccz .LBB69_155
; %bb.157:                              ;   in Loop: Header=BB69_154 Depth=1
                                        ; implicit-def: $sgpr10_sgpr11
                                        ; implicit-def: $sgpr12_sgpr13
.LBB69_158:                             ;   in Loop: Header=BB69_154 Depth=1
	s_and_not1_b32 vcc_lo, exec_lo, s4
	s_cbranch_vccz .LBB69_153
; %bb.159:                              ;   in Loop: Header=BB69_154 Depth=1
	s_bfe_i64 s[8:9], s[12:13], 0x200000
	s_branch .LBB69_153
.LBB69_160:
	s_set_inst_prefetch_distance 0x2
	s_cmpk_lt_i32 s24, 0x85
	s_cbranch_scc1 .LBB69_169
; %bb.161:
	v_mov_b32_e32 v4, 0
	s_mov_b64 s[2:3], 0x84
	s_mov_b32 s5, 0
	s_mov_b64 s[6:7], s[36:37]
	s_set_inst_prefetch_distance 0x1
	s_branch .LBB69_163
	.p2align	6
.LBB69_162:                             ;   in Loop: Header=BB69_163 Depth=1
	s_lshl_b64 s[8:9], s[8:9], 3
	s_delay_alu instid0(SALU_CYCLE_1)
	s_add_u32 s8, s36, s8
	s_addc_u32 s9, s37, s9
	s_add_u32 s2, s2, 1
	s_addc_u32 s3, s3, 0
	;; [unrolled: 2-line block ×3, first 2 shown]
	s_cmp_lg_u32 s2, s24
	global_store_b64 v4, v[0:1], s[8:9]
	s_cbranch_scc0 .LBB69_169
.LBB69_163:                             ; =>This Loop Header: Depth=1
                                        ;     Child Loop BB69_165 Depth 2
	s_mov_b32 s4, s2
	s_mov_b64 s[10:11], s[6:7]
	s_lshl_b64 s[8:9], s[4:5], 3
	s_delay_alu instid0(SALU_CYCLE_1)
	s_add_u32 s8, s36, s8
	s_addc_u32 s9, s37, s9
	global_load_b64 v[0:1], v4, s[8:9]
	s_mov_b64 s[8:9], s[2:3]
	s_branch .LBB69_165
	.p2align	6
.LBB69_164:                             ;   in Loop: Header=BB69_165 Depth=2
	s_add_u32 s12, s8, 0xffffff7c
	s_addc_u32 s13, s9, -1
	global_store_b64 v4, v[2:3], s[10:11] offset:1056
	s_add_u32 s10, s10, 0xfffffbe0
	s_addc_u32 s11, s11, -1
	s_cmpk_lt_i32 s8, 0x108
	s_mov_b32 s4, 0
	s_cselect_b32 s14, -1, 0
	s_mov_b64 s[8:9], s[12:13]
	s_and_not1_b32 vcc_lo, exec_lo, s14
	s_cbranch_vccz .LBB69_167
.LBB69_165:                             ;   Parent Loop BB69_163 Depth=1
                                        ; =>  This Inner Loop Header: Depth=2
	global_load_b64 v[2:3], v4, s[10:11]
	s_mov_b32 s4, -1
	s_waitcnt vmcnt(0)
	v_cmp_nlt_f64_e32 vcc_lo, v[2:3], v[0:1]
	s_cbranch_vccz .LBB69_164
; %bb.166:                              ;   in Loop: Header=BB69_163 Depth=1
                                        ; implicit-def: $sgpr10_sgpr11
                                        ; implicit-def: $sgpr12_sgpr13
.LBB69_167:                             ;   in Loop: Header=BB69_163 Depth=1
	s_and_not1_b32 vcc_lo, exec_lo, s4
	s_cbranch_vccz .LBB69_162
; %bb.168:                              ;   in Loop: Header=BB69_163 Depth=1
	s_bfe_i64 s[8:9], s[12:13], 0x200000
	s_branch .LBB69_162
.LBB69_169:
	s_set_inst_prefetch_distance 0x2
	s_cmp_lt_i32 s24, 58
	s_cbranch_scc1 .LBB69_178
; %bb.170:
	v_mov_b32_e32 v4, 0
	s_mov_b64 s[2:3], 57
	s_mov_b32 s5, 0
	s_mov_b64 s[6:7], s[36:37]
	s_set_inst_prefetch_distance 0x1
	s_branch .LBB69_172
	.p2align	6
.LBB69_171:                             ;   in Loop: Header=BB69_172 Depth=1
	s_lshl_b64 s[8:9], s[8:9], 3
	s_delay_alu instid0(SALU_CYCLE_1)
	s_add_u32 s8, s36, s8
	s_addc_u32 s9, s37, s9
	s_add_u32 s2, s2, 1
	s_addc_u32 s3, s3, 0
	;; [unrolled: 2-line block ×3, first 2 shown]
	s_cmp_lg_u32 s2, s24
	global_store_b64 v4, v[0:1], s[8:9]
	s_cbranch_scc0 .LBB69_178
.LBB69_172:                             ; =>This Loop Header: Depth=1
                                        ;     Child Loop BB69_174 Depth 2
	s_mov_b32 s4, s2
	s_mov_b64 s[10:11], s[6:7]
	s_lshl_b64 s[8:9], s[4:5], 3
	s_delay_alu instid0(SALU_CYCLE_1)
	s_add_u32 s8, s36, s8
	s_addc_u32 s9, s37, s9
	global_load_b64 v[0:1], v4, s[8:9]
	s_mov_b64 s[8:9], s[2:3]
	s_branch .LBB69_174
	.p2align	6
.LBB69_173:                             ;   in Loop: Header=BB69_174 Depth=2
	s_add_u32 s12, s8, 0xffffffc7
	s_addc_u32 s13, s9, -1
	global_store_b64 v4, v[2:3], s[10:11] offset:456
	s_add_u32 s10, s10, 0xfffffe38
	s_addc_u32 s11, s11, -1
	s_cmpk_lt_i32 s8, 0x72
	s_mov_b32 s4, 0
	s_cselect_b32 s14, -1, 0
	s_mov_b64 s[8:9], s[12:13]
	s_and_not1_b32 vcc_lo, exec_lo, s14
	s_cbranch_vccz .LBB69_176
.LBB69_174:                             ;   Parent Loop BB69_172 Depth=1
                                        ; =>  This Inner Loop Header: Depth=2
	global_load_b64 v[2:3], v4, s[10:11]
	s_mov_b32 s4, -1
	s_waitcnt vmcnt(0)
	v_cmp_nlt_f64_e32 vcc_lo, v[2:3], v[0:1]
	s_cbranch_vccz .LBB69_173
; %bb.175:                              ;   in Loop: Header=BB69_172 Depth=1
                                        ; implicit-def: $sgpr10_sgpr11
                                        ; implicit-def: $sgpr12_sgpr13
.LBB69_176:                             ;   in Loop: Header=BB69_172 Depth=1
	s_and_not1_b32 vcc_lo, exec_lo, s4
	s_cbranch_vccz .LBB69_171
; %bb.177:                              ;   in Loop: Header=BB69_172 Depth=1
	s_bfe_i64 s[8:9], s[12:13], 0x200000
	s_branch .LBB69_171
.LBB69_178:
	s_set_inst_prefetch_distance 0x2
	s_cmp_lt_i32 s24, 24
	s_cbranch_scc1 .LBB69_187
; %bb.179:
	v_mov_b32_e32 v4, 0
	s_mov_b64 s[2:3], 23
	s_mov_b32 s5, 0
	s_mov_b64 s[6:7], s[36:37]
	s_set_inst_prefetch_distance 0x1
	s_branch .LBB69_181
	.p2align	6
.LBB69_180:                             ;   in Loop: Header=BB69_181 Depth=1
	s_lshl_b64 s[8:9], s[8:9], 3
	s_delay_alu instid0(SALU_CYCLE_1)
	s_add_u32 s8, s36, s8
	s_addc_u32 s9, s37, s9
	s_add_u32 s2, s2, 1
	s_addc_u32 s3, s3, 0
	;; [unrolled: 2-line block ×3, first 2 shown]
	s_cmp_lg_u32 s2, s24
	global_store_b64 v4, v[0:1], s[8:9]
	s_cbranch_scc0 .LBB69_187
.LBB69_181:                             ; =>This Loop Header: Depth=1
                                        ;     Child Loop BB69_183 Depth 2
	s_mov_b32 s4, s2
	s_mov_b64 s[10:11], s[6:7]
	s_lshl_b64 s[8:9], s[4:5], 3
	s_delay_alu instid0(SALU_CYCLE_1)
	s_add_u32 s8, s36, s8
	s_addc_u32 s9, s37, s9
	global_load_b64 v[0:1], v4, s[8:9]
	s_mov_b64 s[8:9], s[2:3]
	s_branch .LBB69_183
	.p2align	6
.LBB69_182:                             ;   in Loop: Header=BB69_183 Depth=2
	s_add_u32 s12, s8, 0xffffffe9
	s_addc_u32 s13, s9, -1
	global_store_b64 v4, v[2:3], s[10:11] offset:184
	s_add_u32 s10, s10, 0xffffff48
	s_addc_u32 s11, s11, -1
	s_cmp_lt_i32 s8, 46
	s_mov_b32 s4, 0
	s_cselect_b32 s14, -1, 0
	s_mov_b64 s[8:9], s[12:13]
	s_and_not1_b32 vcc_lo, exec_lo, s14
	s_cbranch_vccz .LBB69_185
.LBB69_183:                             ;   Parent Loop BB69_181 Depth=1
                                        ; =>  This Inner Loop Header: Depth=2
	global_load_b64 v[2:3], v4, s[10:11]
	s_mov_b32 s4, -1
	s_waitcnt vmcnt(0)
	v_cmp_nlt_f64_e32 vcc_lo, v[2:3], v[0:1]
	s_cbranch_vccz .LBB69_182
; %bb.184:                              ;   in Loop: Header=BB69_181 Depth=1
                                        ; implicit-def: $sgpr10_sgpr11
                                        ; implicit-def: $sgpr12_sgpr13
.LBB69_185:                             ;   in Loop: Header=BB69_181 Depth=1
	s_and_not1_b32 vcc_lo, exec_lo, s4
	s_cbranch_vccz .LBB69_180
; %bb.186:                              ;   in Loop: Header=BB69_181 Depth=1
	s_bfe_i64 s[8:9], s[12:13], 0x200000
	s_branch .LBB69_180
.LBB69_187:
	s_set_inst_prefetch_distance 0x2
	s_cmp_lt_i32 s24, 11
	s_cbranch_scc1 .LBB69_196
; %bb.188:
	v_mov_b32_e32 v4, 0
	s_mov_b64 s[2:3], 10
	s_mov_b32 s5, 0
	s_mov_b64 s[6:7], s[36:37]
	s_set_inst_prefetch_distance 0x1
	s_branch .LBB69_190
	.p2align	6
.LBB69_189:                             ;   in Loop: Header=BB69_190 Depth=1
	s_lshl_b64 s[8:9], s[8:9], 3
	s_delay_alu instid0(SALU_CYCLE_1)
	s_add_u32 s8, s36, s8
	s_addc_u32 s9, s37, s9
	s_add_u32 s2, s2, 1
	s_addc_u32 s3, s3, 0
	;; [unrolled: 2-line block ×3, first 2 shown]
	s_cmp_lg_u32 s2, s24
	global_store_b64 v4, v[0:1], s[8:9]
	s_cbranch_scc0 .LBB69_196
.LBB69_190:                             ; =>This Loop Header: Depth=1
                                        ;     Child Loop BB69_192 Depth 2
	s_mov_b32 s4, s2
	s_mov_b64 s[10:11], s[6:7]
	s_lshl_b64 s[8:9], s[4:5], 3
	s_delay_alu instid0(SALU_CYCLE_1)
	s_add_u32 s8, s36, s8
	s_addc_u32 s9, s37, s9
	global_load_b64 v[0:1], v4, s[8:9]
	s_mov_b64 s[8:9], s[2:3]
	s_branch .LBB69_192
	.p2align	6
.LBB69_191:                             ;   in Loop: Header=BB69_192 Depth=2
	s_add_u32 s12, s8, -10
	s_addc_u32 s13, s9, -1
	global_store_b64 v4, v[2:3], s[10:11] offset:80
	s_add_u32 s10, s10, 0xffffffb0
	s_addc_u32 s11, s11, -1
	s_cmp_lt_i32 s8, 20
	s_mov_b32 s4, 0
	s_cselect_b32 s14, -1, 0
	s_mov_b64 s[8:9], s[12:13]
	s_and_not1_b32 vcc_lo, exec_lo, s14
	s_cbranch_vccz .LBB69_194
.LBB69_192:                             ;   Parent Loop BB69_190 Depth=1
                                        ; =>  This Inner Loop Header: Depth=2
	global_load_b64 v[2:3], v4, s[10:11]
	s_mov_b32 s4, -1
	s_waitcnt vmcnt(0)
	v_cmp_nlt_f64_e32 vcc_lo, v[2:3], v[0:1]
	s_cbranch_vccz .LBB69_191
; %bb.193:                              ;   in Loop: Header=BB69_190 Depth=1
                                        ; implicit-def: $sgpr10_sgpr11
                                        ; implicit-def: $sgpr12_sgpr13
.LBB69_194:                             ;   in Loop: Header=BB69_190 Depth=1
	s_and_not1_b32 vcc_lo, exec_lo, s4
	s_cbranch_vccz .LBB69_189
; %bb.195:                              ;   in Loop: Header=BB69_190 Depth=1
	s_bfe_i64 s[8:9], s[12:13], 0x200000
	s_branch .LBB69_189
.LBB69_196:
	s_set_inst_prefetch_distance 0x2
	s_cmp_lt_i32 s24, 5
	s_cbranch_scc1 .LBB69_205
; %bb.197:
	s_add_u32 s2, s50, s52
	v_mov_b32_e32 v4, 0
	s_addc_u32 s3, s51, s53
	s_add_u32 s2, s2, 32
	s_addc_u32 s3, s3, 0
	s_mov_b64 s[4:5], 4
	s_mov_b32 s7, 0
	s_set_inst_prefetch_distance 0x1
	s_branch .LBB69_199
	.p2align	6
.LBB69_198:                             ;   in Loop: Header=BB69_199 Depth=1
	s_lshl_b64 s[8:9], s[8:9], 3
	s_delay_alu instid0(SALU_CYCLE_1)
	s_add_u32 s8, s36, s8
	s_addc_u32 s9, s37, s9
	s_add_u32 s4, s4, 1
	s_addc_u32 s5, s5, 0
	;; [unrolled: 2-line block ×3, first 2 shown]
	s_cmp_lg_u32 s4, s24
	global_store_b64 v4, v[0:1], s[8:9]
	s_cbranch_scc0 .LBB69_205
.LBB69_199:                             ; =>This Loop Header: Depth=1
                                        ;     Child Loop BB69_201 Depth 2
	s_mov_b32 s6, s4
	s_mov_b64 s[10:11], s[2:3]
	s_lshl_b64 s[8:9], s[6:7], 3
	s_delay_alu instid0(SALU_CYCLE_1)
	s_add_u32 s8, s36, s8
	s_addc_u32 s9, s37, s9
	global_load_b64 v[0:1], v4, s[8:9]
	s_mov_b64 s[8:9], s[4:5]
	s_branch .LBB69_201
	.p2align	6
.LBB69_200:                             ;   in Loop: Header=BB69_201 Depth=2
	s_add_u32 s12, s8, -4
	s_addc_u32 s13, s9, -1
	s_cmp_lt_i32 s8, 8
	global_store_b64 v4, v[2:3], s[10:11]
	s_mov_b32 s6, 0
	s_cselect_b32 s17, -1, 0
	s_mov_b64 s[8:9], s[12:13]
	s_mov_b64 s[10:11], s[14:15]
	s_and_not1_b32 vcc_lo, exec_lo, s17
	s_cbranch_vccz .LBB69_203
.LBB69_201:                             ;   Parent Loop BB69_199 Depth=1
                                        ; =>  This Inner Loop Header: Depth=2
	global_load_b64 v[2:3], v4, s[10:11] offset:-32
	s_add_u32 s14, s10, 0xffffffe0
	s_addc_u32 s15, s11, -1
	s_mov_b32 s6, -1
	s_waitcnt vmcnt(0)
	v_cmp_nlt_f64_e32 vcc_lo, v[2:3], v[0:1]
	s_cbranch_vccz .LBB69_200
; %bb.202:                              ;   in Loop: Header=BB69_199 Depth=1
                                        ; implicit-def: $sgpr10_sgpr11
                                        ; implicit-def: $sgpr12_sgpr13
.LBB69_203:                             ;   in Loop: Header=BB69_199 Depth=1
	s_and_not1_b32 vcc_lo, exec_lo, s6
	s_cbranch_vccz .LBB69_198
; %bb.204:                              ;   in Loop: Header=BB69_199 Depth=1
	s_bfe_i64 s[8:9], s[12:13], 0x200000
	s_branch .LBB69_198
.LBB69_205:
	s_set_inst_prefetch_distance 0x2
	s_cmp_lt_i32 s24, 2
	s_cbranch_scc1 .LBB69_212
; %bb.206:
	s_add_u32 s2, s50, s52
	v_mov_b32_e32 v4, 0
	s_addc_u32 s3, s51, s53
	s_add_u32 s2, s2, 8
	s_addc_u32 s3, s3, 0
	s_mov_b64 s[4:5], 1
	s_mov_b32 s7, 0
	s_set_inst_prefetch_distance 0x1
	s_branch .LBB69_208
	.p2align	6
.LBB69_207:                             ;   in Loop: Header=BB69_208 Depth=1
	s_lshl_b64 s[8:9], s[12:13], 3
	s_delay_alu instid0(SALU_CYCLE_1)
	s_add_u32 s8, s36, s8
	s_addc_u32 s9, s37, s9
	s_add_u32 s4, s4, 1
	s_addc_u32 s5, s5, 0
	;; [unrolled: 2-line block ×3, first 2 shown]
	s_cmp_eq_u32 s4, s24
	global_store_b64 v4, v[0:1], s[8:9]
	s_cbranch_scc1 .LBB69_212
.LBB69_208:                             ; =>This Loop Header: Depth=1
                                        ;     Child Loop BB69_210 Depth 2
	s_mov_b32 s6, s4
	s_mov_b64 s[10:11], s[2:3]
	s_lshl_b64 s[8:9], s[6:7], 3
	s_delay_alu instid0(SALU_CYCLE_1)
	s_add_u32 s8, s36, s8
	s_addc_u32 s9, s37, s9
	global_load_b64 v[0:1], v4, s[8:9]
	s_mov_b64 s[8:9], s[4:5]
	s_branch .LBB69_210
	.p2align	6
.LBB69_209:                             ;   in Loop: Header=BB69_210 Depth=2
	global_store_b64 v4, v[2:3], s[10:11]
	s_add_u32 s10, s8, -1
	s_addc_u32 s11, s9, -1
	s_cmp_lt_i32 s8, 2
	s_mov_b64 s[12:13], 0
	s_cselect_b32 s6, -1, 0
	s_mov_b64 s[8:9], s[10:11]
	s_mov_b64 s[10:11], s[14:15]
	s_and_not1_b32 vcc_lo, exec_lo, s6
	s_cbranch_vccz .LBB69_207
.LBB69_210:                             ;   Parent Loop BB69_208 Depth=1
                                        ; =>  This Inner Loop Header: Depth=2
	global_load_b64 v[2:3], v4, s[10:11] offset:-8
	s_add_u32 s14, s10, -8
	s_addc_u32 s15, s11, -1
	s_mov_b32 s6, -1
	s_waitcnt vmcnt(0)
	v_cmp_nlt_f64_e32 vcc_lo, v[2:3], v[0:1]
	s_cbranch_vccz .LBB69_209
; %bb.211:                              ;   in Loop: Header=BB69_210 Depth=2
	s_mov_b64 s[12:13], s[8:9]
                                        ; implicit-def: $sgpr10_sgpr11
	s_and_not1_b32 vcc_lo, exec_lo, s6
	s_cbranch_vccnz .LBB69_210
	s_branch .LBB69_207
.LBB69_212:
	s_set_inst_prefetch_distance 0x2
	s_or_b32 exec_lo, exec_lo, s16
	s_cmp_lt_i32 s24, 2
	s_mov_b32 s56, 0
	s_cselect_b32 s5, -1, 0
	s_waitcnt_vscnt null, 0x0
	s_and_b32 vcc_lo, exec_lo, s5
	s_barrier
	buffer_gl0_inv
	s_cbranch_vccnz .LBB69_220
; %bb.213:
	s_add_i32 s4, s24, -1
	s_mov_b32 s5, -1
	s_mov_b32 s2, 0
	s_mov_b32 s3, exec_lo
	v_cmpx_gt_u32_e64 s4, v41
	s_cbranch_execz .LBB69_222
; %bb.214:
	v_dual_mov_b32 v1, 0 :: v_dual_mov_b32 v0, v41
	s_add_u32 s5, s36, 8
	s_addc_u32 s8, s37, 0
	s_mov_b32 s6, 0
                                        ; implicit-def: $sgpr7
	s_set_inst_prefetch_distance 0x1
	s_branch .LBB69_216
	.p2align	6
.LBB69_215:                             ;   in Loop: Header=BB69_216 Depth=1
	s_or_b32 exec_lo, exec_lo, s11
	s_xor_b32 s2, s2, -1
	s_and_b32 s9, exec_lo, s10
	s_delay_alu instid0(SALU_CYCLE_1) | instskip(SKIP_2) | instid1(SALU_CYCLE_1)
	s_or_b32 s6, s9, s6
	s_and_not1_b32 s7, s7, exec_lo
	s_and_b32 s2, s2, exec_lo
	s_or_b32 s7, s7, s2
	s_and_not1_b32 exec_lo, exec_lo, s6
	s_cbranch_execz .LBB69_221
.LBB69_216:                             ; =>This Inner Loop Header: Depth=1
	v_lshlrev_b64 v[2:3], 3, v[0:1]
	s_mov_b32 s10, exec_lo
                                        ; implicit-def: $sgpr2
	s_delay_alu instid0(VALU_DEP_1) | instskip(NEXT) | instid1(VALU_DEP_2)
	v_add_co_u32 v2, vcc_lo, s36, v2
	v_add_co_ci_u32_e32 v3, vcc_lo, s37, v3, vcc_lo
	global_load_b64 v[2:3], v[2:3], off
	s_waitcnt vmcnt(0)
	v_cmp_u_f64_e64 s9, v[2:3], v[2:3]
	v_cmpx_o_f64_e32 v[2:3], v[2:3]
	s_cbranch_execz .LBB69_218
; %bb.217:                              ;   in Loop: Header=BB69_216 Depth=1
	v_ashrrev_i32_e32 v5, 31, v0
	v_mov_b32_e32 v4, v0
	s_delay_alu instid0(VALU_DEP_4) | instskip(NEXT) | instid1(VALU_DEP_1)
	s_and_not1_b32 s9, s9, exec_lo
	v_lshlrev_b64 v[4:5], 3, v[4:5]
	s_delay_alu instid0(VALU_DEP_1) | instskip(NEXT) | instid1(VALU_DEP_2)
	v_add_co_u32 v4, vcc_lo, s5, v4
	v_add_co_ci_u32_e32 v5, vcc_lo, s8, v5, vcc_lo
	global_load_b64 v[4:5], v[4:5], off
	s_waitcnt vmcnt(0)
	v_cmp_u_f64_e32 vcc_lo, v[4:5], v[4:5]
	v_cmp_ge_f64_e64 s2, v[2:3], v[4:5]
	s_delay_alu instid0(VALU_DEP_1) | instskip(NEXT) | instid1(SALU_CYCLE_1)
	s_or_b32 s2, vcc_lo, s2
	s_and_b32 s11, s2, exec_lo
	s_mov_b32 s2, -1
	s_or_b32 s9, s9, s11
.LBB69_218:                             ;   in Loop: Header=BB69_216 Depth=1
	s_or_b32 exec_lo, exec_lo, s10
	s_mov_b32 s10, -1
	s_delay_alu instid0(VALU_DEP_2)
	s_and_saveexec_b32 s11, s9
	s_cbranch_execz .LBB69_215
; %bb.219:                              ;   in Loop: Header=BB69_216 Depth=1
	v_add_nc_u32_e32 v0, s46, v0
	s_and_not1_b32 s2, s2, exec_lo
	s_delay_alu instid0(VALU_DEP_1)
	v_cmp_le_u32_e32 vcc_lo, s4, v0
	s_or_not1_b32 s10, vcc_lo, exec_lo
	s_branch .LBB69_215
.LBB69_220:
	s_mov_b32 s2, 0
	s_branch .LBB69_223
.LBB69_221:
	s_set_inst_prefetch_distance 0x2
	s_or_b32 exec_lo, exec_lo, s6
	s_delay_alu instid0(SALU_CYCLE_1)
	s_mov_b32 s2, exec_lo
	s_or_not1_b32 s5, s7, exec_lo
.LBB69_222:
	s_or_b32 exec_lo, exec_lo, s3
.LBB69_223:
	s_and_saveexec_b32 s3, s5
	s_cbranch_execz .LBB69_225
; %bb.224:
	s_mov_b32 s56, exec_lo
	s_barrier
	s_and_not1_b32 s2, s2, exec_lo
	buffer_gl0_inv
.LBB69_225:
	s_or_b32 exec_lo, exec_lo, s3
	s_and_saveexec_b32 s40, s2
	s_cbranch_execz .LBB69_227
; %bb.226:
	s_add_u32 s8, s0, 0x90
	s_addc_u32 s9, s1, 0
	s_getpc_b64 s[0:1]
	s_add_u32 s0, s0, __PRETTY_FUNCTION__._ZN9rocsolver6v33100L21shell_sort_descendingIdiEEvT0_PT_PS2_@rel32@lo+4
	s_addc_u32 s1, s1, __PRETTY_FUNCTION__._ZN9rocsolver6v33100L21shell_sort_descendingIdiEEvT0_PT_PS2_@rel32@hi+12
	s_delay_alu instid0(SALU_CYCLE_1) | instskip(SKIP_3) | instid1(SALU_CYCLE_1)
	v_dual_mov_b32 v0, s0 :: v_dual_mov_b32 v1, s1
	s_getpc_b64 s[2:3]
	s_add_u32 s2, s2, __assert_fail@rel32@lo+4
	s_addc_u32 s3, s3, __assert_fail@rel32@hi+12
	s_swappc_b64 s[30:31], s[2:3]
	s_or_b32 s54, s54, exec_lo
.LBB69_227:
	s_or_b32 exec_lo, exec_lo, s40
.LBB69_228:
	s_and_saveexec_b32 s0, s54
; %bb.229:
	; divergent unreachable
; %bb.230:
	s_delay_alu instid0(SALU_CYCLE_1)
	s_or_b32 exec_lo, exec_lo, s0
	s_and_saveexec_b32 s0, s56
	s_cbranch_execz .LBB69_232
; %bb.231:
	s_waitcnt_vscnt null, 0x0
	s_barrier
	buffer_gl0_inv
.LBB69_232:
	s_or_b32 exec_lo, exec_lo, s0
	s_cbranch_execnz .LBB69_256
.LBB69_233:
	s_cmp_lt_i32 s24, 2
	s_cbranch_scc1 .LBB69_256
; %bb.234:
	s_cmp_lg_u32 s25, 0
	v_mul_lo_u32 v2, s47, v41
	s_cselect_b32 s14, -1, 0
	s_cmp_lg_u32 s26, 0
	v_mul_lo_u32 v3, s49, v41
	s_cselect_b32 s15, -1, 0
	s_cmp_lg_u32 s27, 0
	v_cmp_eq_u32_e64 s0, 0, v41
	s_cselect_b32 s16, -1, 0
	s_add_i32 s17, s24, -2
	v_cmp_gt_i32_e64 s1, s25, v41
	v_cmp_gt_i32_e64 s2, s26, v41
	;; [unrolled: 1-line block ×3, first 2 shown]
	s_add_u32 s4, s50, s52
	v_mov_b32_e32 v4, 0
	s_addc_u32 s7, s51, s53
	s_add_u32 s6, s4, 8
	s_mov_b32 s5, 0
	s_addc_u32 s7, s7, 0
	s_mul_i32 s18, s47, s21
	s_mul_i32 s19, s49, s21
	s_mov_b32 s20, 0
	s_mov_b32 s30, 0
	s_branch .LBB69_237
.LBB69_235:                             ;   in Loop: Header=BB69_237 Depth=1
	s_or_b32 exec_lo, exec_lo, s9
	s_waitcnt lgkmcnt(0)
	s_waitcnt_vscnt null, 0x0
	s_barrier
	buffer_gl0_inv
.LBB69_236:                             ;   in Loop: Header=BB69_237 Depth=1
	s_add_u32 s6, s6, 8
	s_addc_u32 s7, s7, 0
	s_add_i32 s20, s20, s43
	s_cmp_eq_u32 s4, s17
	s_cbranch_scc1 .LBB69_256
.LBB69_237:                             ; =>This Loop Header: Depth=1
                                        ;     Child Loop BB69_238 Depth 2
                                        ;     Child Loop BB69_245 Depth 2
	;; [unrolled: 1-line block ×4, first 2 shown]
	s_mov_b32 s4, s30
	s_mov_b64 s[12:13], s[6:7]
	s_lshl_b64 s[8:9], s[4:5], 3
	s_delay_alu instid0(SALU_CYCLE_1)
	s_add_u32 s10, s36, s8
	s_addc_u32 s11, s37, s9
	s_add_i32 s30, s30, 1
	global_load_b64 v[0:1], v4, s[10:11]
	s_mov_b32 s9, s30
	s_mov_b32 s8, s4
.LBB69_238:                             ;   Parent Loop BB69_237 Depth=1
                                        ; =>  This Inner Loop Header: Depth=2
	global_load_b64 v[5:6], v4, s[12:13]
	s_waitcnt vmcnt(0)
	v_cmp_gt_f64_e32 vcc_lo, v[5:6], v[0:1]
	s_and_b32 s31, vcc_lo, exec_lo
	v_dual_cndmask_b32 v1, v1, v6 :: v_dual_cndmask_b32 v0, v0, v5
	s_cselect_b32 s8, s9, s8
	s_add_i32 s9, s9, 1
	s_add_u32 s12, s12, 8
	s_addc_u32 s13, s13, 0
	s_cmp_lt_i32 s9, s24
	s_cbranch_scc1 .LBB69_238
; %bb.239:                              ;   in Loop: Header=BB69_237 Depth=1
	s_cmp_eq_u32 s8, s4
	s_waitcnt_vscnt null, 0x0
	s_barrier
	buffer_gl0_inv
	s_cbranch_scc1 .LBB69_236
; %bb.240:                              ;   in Loop: Header=BB69_237 Depth=1
	s_and_saveexec_b32 s12, s0
	s_cbranch_execz .LBB69_242
; %bb.241:                              ;   in Loop: Header=BB69_237 Depth=1
	global_load_b64 v[5:6], v4, s[10:11]
	s_ashr_i32 s9, s8, 31
	s_delay_alu instid0(SALU_CYCLE_1) | instskip(NEXT) | instid1(SALU_CYCLE_1)
	s_lshl_b64 s[40:41], s[8:9], 3
	s_add_u32 s40, s36, s40
	s_addc_u32 s41, s37, s41
	s_waitcnt vmcnt(0)
	s_clause 0x1
	global_store_b64 v4, v[5:6], s[40:41]
	global_store_b64 v4, v[0:1], s[10:11]
.LBB69_242:                             ;   in Loop: Header=BB69_237 Depth=1
	s_or_b32 exec_lo, exec_lo, s12
	s_delay_alu instid0(SALU_CYCLE_1)
	s_and_not1_b32 vcc_lo, exec_lo, s14
	s_cbranch_vccnz .LBB69_247
; %bb.243:                              ;   in Loop: Header=BB69_237 Depth=1
	s_and_saveexec_b32 s9, s1
	s_cbranch_execz .LBB69_246
; %bb.244:                              ;   in Loop: Header=BB69_237 Depth=1
	v_dual_mov_b32 v0, v2 :: v_dual_mov_b32 v1, v41
	s_mov_b32 s10, 0
	.p2align	6
.LBB69_245:                             ;   Parent Loop BB69_237 Depth=1
                                        ; =>  This Inner Loop Header: Depth=2
	s_delay_alu instid0(VALU_DEP_1) | instskip(SKIP_1) | instid1(VALU_DEP_3)
	v_add_nc_u32_e32 v5, s4, v0
	v_add_nc_u32_e32 v7, s8, v0
	;; [unrolled: 1-line block ×4, first 2 shown]
	s_delay_alu instid0(VALU_DEP_4) | instskip(NEXT) | instid1(VALU_DEP_4)
	v_ashrrev_i32_e32 v6, 31, v5
	v_ashrrev_i32_e32 v8, 31, v7
	s_delay_alu instid0(VALU_DEP_2) | instskip(NEXT) | instid1(VALU_DEP_2)
	v_lshlrev_b64 v[5:6], 3, v[5:6]
	v_lshlrev_b64 v[7:8], 3, v[7:8]
	s_delay_alu instid0(VALU_DEP_2) | instskip(NEXT) | instid1(VALU_DEP_3)
	v_add_co_u32 v5, vcc_lo, s34, v5
	v_add_co_ci_u32_e32 v6, vcc_lo, s35, v6, vcc_lo
	s_delay_alu instid0(VALU_DEP_3) | instskip(NEXT) | instid1(VALU_DEP_4)
	v_add_co_u32 v7, vcc_lo, s34, v7
	v_add_co_ci_u32_e32 v8, vcc_lo, s35, v8, vcc_lo
	v_cmp_le_i32_e32 vcc_lo, s25, v1
	s_clause 0x1
	flat_load_b64 v[9:10], v[5:6]
	flat_load_b64 v[11:12], v[7:8]
	s_waitcnt vmcnt(1) lgkmcnt(1)
	flat_store_b64 v[7:8], v[9:10]
	s_waitcnt vmcnt(0) lgkmcnt(1)
	flat_store_b64 v[5:6], v[11:12]
	s_or_b32 s10, vcc_lo, s10
	s_delay_alu instid0(SALU_CYCLE_1)
	s_and_not1_b32 exec_lo, exec_lo, s10
	s_cbranch_execnz .LBB69_245
.LBB69_246:                             ;   in Loop: Header=BB69_237 Depth=1
	s_or_b32 exec_lo, exec_lo, s9
	s_waitcnt lgkmcnt(0)
	s_waitcnt_vscnt null, 0x0
	s_barrier
	buffer_gl0_inv
.LBB69_247:                             ;   in Loop: Header=BB69_237 Depth=1
	s_and_not1_b32 vcc_lo, exec_lo, s15
	s_cbranch_vccnz .LBB69_252
; %bb.248:                              ;   in Loop: Header=BB69_237 Depth=1
	s_and_saveexec_b32 s9, s2
	s_cbranch_execz .LBB69_251
; %bb.249:                              ;   in Loop: Header=BB69_237 Depth=1
	v_mov_b32_e32 v0, v41
	s_mul_i32 s10, s8, s43
	s_mov_b32 s11, 0
	.p2align	6
.LBB69_250:                             ;   Parent Loop BB69_237 Depth=1
                                        ; =>  This Inner Loop Header: Depth=2
	s_delay_alu instid0(VALU_DEP_1) | instskip(SKIP_2) | instid1(VALU_DEP_3)
	v_add_nc_u32_e32 v5, s20, v0
	v_add_nc_u32_e32 v7, s10, v0
	v_add_nc_u32_e32 v0, s21, v0
	v_ashrrev_i32_e32 v6, 31, v5
	s_delay_alu instid0(VALU_DEP_3) | instskip(NEXT) | instid1(VALU_DEP_2)
	v_ashrrev_i32_e32 v8, 31, v7
	v_lshlrev_b64 v[5:6], 3, v[5:6]
	s_delay_alu instid0(VALU_DEP_2) | instskip(NEXT) | instid1(VALU_DEP_2)
	v_lshlrev_b64 v[7:8], 3, v[7:8]
	v_add_co_u32 v5, vcc_lo, s28, v5
	s_delay_alu instid0(VALU_DEP_3) | instskip(NEXT) | instid1(VALU_DEP_3)
	v_add_co_ci_u32_e32 v6, vcc_lo, s29, v6, vcc_lo
	v_add_co_u32 v7, vcc_lo, s28, v7
	s_delay_alu instid0(VALU_DEP_4)
	v_add_co_ci_u32_e32 v8, vcc_lo, s29, v8, vcc_lo
	v_cmp_le_i32_e32 vcc_lo, s26, v0
	s_clause 0x1
	flat_load_b64 v[9:10], v[5:6]
	flat_load_b64 v[11:12], v[7:8]
	s_waitcnt vmcnt(1) lgkmcnt(1)
	flat_store_b64 v[7:8], v[9:10]
	s_waitcnt vmcnt(0) lgkmcnt(1)
	flat_store_b64 v[5:6], v[11:12]
	s_or_b32 s11, vcc_lo, s11
	s_delay_alu instid0(SALU_CYCLE_1)
	s_and_not1_b32 exec_lo, exec_lo, s11
	s_cbranch_execnz .LBB69_250
.LBB69_251:                             ;   in Loop: Header=BB69_237 Depth=1
	s_or_b32 exec_lo, exec_lo, s9
	s_waitcnt lgkmcnt(0)
	s_waitcnt_vscnt null, 0x0
	s_barrier
	buffer_gl0_inv
.LBB69_252:                             ;   in Loop: Header=BB69_237 Depth=1
	s_and_not1_b32 vcc_lo, exec_lo, s16
	s_cbranch_vccnz .LBB69_236
; %bb.253:                              ;   in Loop: Header=BB69_237 Depth=1
	s_and_saveexec_b32 s9, s3
	s_cbranch_execz .LBB69_235
; %bb.254:                              ;   in Loop: Header=BB69_237 Depth=1
	v_dual_mov_b32 v0, v3 :: v_dual_mov_b32 v1, v41
	s_mov_b32 s10, 0
	.p2align	6
.LBB69_255:                             ;   Parent Loop BB69_237 Depth=1
                                        ; =>  This Inner Loop Header: Depth=2
	s_delay_alu instid0(VALU_DEP_1) | instskip(SKIP_1) | instid1(VALU_DEP_3)
	v_add_nc_u32_e32 v5, s4, v0
	v_add_nc_u32_e32 v7, s8, v0
	;; [unrolled: 1-line block ×4, first 2 shown]
	s_delay_alu instid0(VALU_DEP_4) | instskip(NEXT) | instid1(VALU_DEP_4)
	v_ashrrev_i32_e32 v6, 31, v5
	v_ashrrev_i32_e32 v8, 31, v7
	s_delay_alu instid0(VALU_DEP_2) | instskip(NEXT) | instid1(VALU_DEP_2)
	v_lshlrev_b64 v[5:6], 3, v[5:6]
	v_lshlrev_b64 v[7:8], 3, v[7:8]
	s_delay_alu instid0(VALU_DEP_2) | instskip(NEXT) | instid1(VALU_DEP_3)
	v_add_co_u32 v5, vcc_lo, s44, v5
	v_add_co_ci_u32_e32 v6, vcc_lo, s45, v6, vcc_lo
	s_delay_alu instid0(VALU_DEP_3) | instskip(NEXT) | instid1(VALU_DEP_4)
	v_add_co_u32 v7, vcc_lo, s44, v7
	v_add_co_ci_u32_e32 v8, vcc_lo, s45, v8, vcc_lo
	v_cmp_le_i32_e32 vcc_lo, s27, v1
	s_clause 0x1
	flat_load_b64 v[9:10], v[5:6]
	flat_load_b64 v[11:12], v[7:8]
	s_waitcnt vmcnt(1) lgkmcnt(1)
	flat_store_b64 v[7:8], v[9:10]
	s_waitcnt vmcnt(0) lgkmcnt(1)
	flat_store_b64 v[5:6], v[11:12]
	s_or_b32 s10, vcc_lo, s10
	s_delay_alu instid0(SALU_CYCLE_1)
	s_and_not1_b32 exec_lo, exec_lo, s10
	s_cbranch_execnz .LBB69_255
	s_branch .LBB69_235
.LBB69_256:
	s_mov_b32 s2, 0
.LBB69_257:
	s_delay_alu instid0(SALU_CYCLE_1)
	s_and_not1_b32 vcc_lo, exec_lo, s2
	s_cbranch_vccnz .LBB69_260
; %bb.258:
	s_mov_b32 s0, exec_lo
	v_cmpx_eq_u32_e32 0, v41
	s_cbranch_execz .LBB69_260
; %bb.259:
	v_dual_mov_b32 v0, 0 :: v_dual_mov_b32 v1, s42
	s_add_u32 s0, s38, s22
	s_addc_u32 s1, s39, s23
	global_store_b32 v0, v1, s[0:1]
.LBB69_260:
	s_endpgm
	.section	.rodata,"a",@progbits
	.p2align	6, 0x0
	.amdhsa_kernel _ZN9rocsolver6v33100L14bdsqr_finalizeIddPdS2_S2_EEviiiiPT0_lS4_lT1_iilT2_iilT3_iilPiS8_S8_
		.amdhsa_group_segment_fixed_size 0
		.amdhsa_private_segment_fixed_size 64
		.amdhsa_kernarg_size 400
		.amdhsa_user_sgpr_count 14
		.amdhsa_user_sgpr_dispatch_ptr 0
		.amdhsa_user_sgpr_queue_ptr 0
		.amdhsa_user_sgpr_kernarg_segment_ptr 1
		.amdhsa_user_sgpr_dispatch_id 0
		.amdhsa_user_sgpr_private_segment_size 0
		.amdhsa_wavefront_size32 1
		.amdhsa_uses_dynamic_stack 0
		.amdhsa_enable_private_segment 1
		.amdhsa_system_sgpr_workgroup_id_x 1
		.amdhsa_system_sgpr_workgroup_id_y 1
		.amdhsa_system_sgpr_workgroup_id_z 0
		.amdhsa_system_sgpr_workgroup_info 0
		.amdhsa_system_vgpr_workitem_id 2
		.amdhsa_next_free_vgpr 45
		.amdhsa_next_free_sgpr 60
		.amdhsa_reserve_vcc 1
		.amdhsa_float_round_mode_32 0
		.amdhsa_float_round_mode_16_64 0
		.amdhsa_float_denorm_mode_32 3
		.amdhsa_float_denorm_mode_16_64 3
		.amdhsa_dx10_clamp 1
		.amdhsa_ieee_mode 1
		.amdhsa_fp16_overflow 0
		.amdhsa_workgroup_processor_mode 1
		.amdhsa_memory_ordered 1
		.amdhsa_forward_progress 0
		.amdhsa_shared_vgpr_count 0
		.amdhsa_exception_fp_ieee_invalid_op 0
		.amdhsa_exception_fp_denorm_src 0
		.amdhsa_exception_fp_ieee_div_zero 0
		.amdhsa_exception_fp_ieee_overflow 0
		.amdhsa_exception_fp_ieee_underflow 0
		.amdhsa_exception_fp_ieee_inexact 0
		.amdhsa_exception_int_div_zero 0
	.end_amdhsa_kernel
	.section	.text._ZN9rocsolver6v33100L14bdsqr_finalizeIddPdS2_S2_EEviiiiPT0_lS4_lT1_iilT2_iilT3_iilPiS8_S8_,"axG",@progbits,_ZN9rocsolver6v33100L14bdsqr_finalizeIddPdS2_S2_EEviiiiPT0_lS4_lT1_iilT2_iilT3_iilPiS8_S8_,comdat
.Lfunc_end69:
	.size	_ZN9rocsolver6v33100L14bdsqr_finalizeIddPdS2_S2_EEviiiiPT0_lS4_lT1_iilT2_iilT3_iilPiS8_S8_, .Lfunc_end69-_ZN9rocsolver6v33100L14bdsqr_finalizeIddPdS2_S2_EEviiiiPT0_lS4_lT1_iilT2_iilT3_iilPiS8_S8_
                                        ; -- End function
	.section	.AMDGPU.csdata,"",@progbits
; Kernel info:
; codeLenInByte = 8572
; NumSgprs: 62
; NumVgprs: 45
; ScratchSize: 64
; MemoryBound: 0
; FloatMode: 240
; IeeeMode: 1
; LDSByteSize: 0 bytes/workgroup (compile time only)
; SGPRBlocks: 7
; VGPRBlocks: 5
; NumSGPRsForWavesPerEU: 62
; NumVGPRsForWavesPerEU: 45
; Occupancy: 16
; WaveLimiterHint : 1
; COMPUTE_PGM_RSRC2:SCRATCH_EN: 1
; COMPUTE_PGM_RSRC2:USER_SGPR: 14
; COMPUTE_PGM_RSRC2:TRAP_HANDLER: 0
; COMPUTE_PGM_RSRC2:TGID_X_EN: 1
; COMPUTE_PGM_RSRC2:TGID_Y_EN: 1
; COMPUTE_PGM_RSRC2:TGID_Z_EN: 0
; COMPUTE_PGM_RSRC2:TIDIG_COMP_CNT: 2
	.section	.text._ZN9rocsolver6v33100L8copy_matIdPdS2_NS0_7no_maskEEEviiT0_iilT1_iilT2_13rocblas_fill_17rocblas_diagonal_,"axG",@progbits,_ZN9rocsolver6v33100L8copy_matIdPdS2_NS0_7no_maskEEEviiT0_iilT1_iilT2_13rocblas_fill_17rocblas_diagonal_,comdat
	.globl	_ZN9rocsolver6v33100L8copy_matIdPdS2_NS0_7no_maskEEEviiT0_iilT1_iilT2_13rocblas_fill_17rocblas_diagonal_ ; -- Begin function _ZN9rocsolver6v33100L8copy_matIdPdS2_NS0_7no_maskEEEviiT0_iilT1_iilT2_13rocblas_fill_17rocblas_diagonal_
	.p2align	8
	.type	_ZN9rocsolver6v33100L8copy_matIdPdS2_NS0_7no_maskEEEviiT0_iilT1_iilT2_13rocblas_fill_17rocblas_diagonal_,@function
_ZN9rocsolver6v33100L8copy_matIdPdS2_NS0_7no_maskEEEviiT0_iilT1_iilT2_13rocblas_fill_17rocblas_diagonal_: ; @_ZN9rocsolver6v33100L8copy_matIdPdS2_NS0_7no_maskEEEviiT0_iilT1_iilT2_13rocblas_fill_17rocblas_diagonal_
; %bb.0:
	s_clause 0x1
	s_load_b32 s4, s[0:1], 0x54
	s_load_b64 s[2:3], s[0:1], 0x0
	v_and_b32_e32 v2, 0x3ff, v0
	v_bfe_u32 v3, v0, 10, 10
	s_waitcnt lgkmcnt(0)
	s_lshr_b32 s5, s4, 16
	s_and_b32 s4, s4, 0xffff
	s_delay_alu instid0(VALU_DEP_1) | instid1(SALU_CYCLE_1)
	v_mad_u64_u32 v[0:1], null, s13, s4, v[2:3]
	v_mad_u64_u32 v[1:2], null, s14, s5, v[3:4]
	s_delay_alu instid0(VALU_DEP_2) | instskip(NEXT) | instid1(VALU_DEP_2)
	v_cmp_gt_u32_e32 vcc_lo, s2, v0
	v_cmp_gt_u32_e64 s2, s3, v1
	s_delay_alu instid0(VALU_DEP_1) | instskip(NEXT) | instid1(SALU_CYCLE_1)
	s_and_b32 s2, s2, vcc_lo
	s_and_saveexec_b32 s3, s2
	s_cbranch_execz .LBB70_14
; %bb.1:
	s_load_b64 s[4:5], s[0:1], 0x3c
	s_waitcnt lgkmcnt(0)
	s_cmpk_lt_i32 s4, 0x7a
	s_cbranch_scc1 .LBB70_4
; %bb.2:
	s_cmpk_gt_i32 s4, 0x7a
	s_cbranch_scc0 .LBB70_5
; %bb.3:
	s_cmpk_lg_i32 s4, 0x7b
	s_mov_b32 s3, -1
	s_cselect_b32 s6, -1, 0
	s_cbranch_execz .LBB70_6
	s_branch .LBB70_7
.LBB70_4:
	s_mov_b32 s6, 0
	s_mov_b32 s3, 0
	s_cbranch_execnz .LBB70_8
	s_branch .LBB70_10
.LBB70_5:
	s_mov_b32 s3, 0
	s_mov_b32 s6, 0
.LBB70_6:
	v_cmp_gt_u32_e32 vcc_lo, v0, v1
	v_cmp_le_u32_e64 s2, v0, v1
	s_and_not1_b32 s3, s3, exec_lo
	s_and_not1_b32 s6, s6, exec_lo
	s_and_b32 s7, vcc_lo, exec_lo
	s_delay_alu instid0(VALU_DEP_1)
	s_and_b32 s2, s2, exec_lo
	s_or_b32 s3, s3, s7
	s_or_b32 s6, s6, s2
.LBB70_7:
	s_branch .LBB70_10
.LBB70_8:
	s_cmpk_eq_i32 s4, 0x79
	s_mov_b32 s6, -1
	s_cbranch_scc0 .LBB70_10
; %bb.9:
	v_cmp_gt_u32_e32 vcc_lo, v1, v0
	v_cmp_le_u32_e64 s2, v1, v0
	s_and_not1_b32 s3, s3, exec_lo
	s_and_b32 s4, vcc_lo, exec_lo
	s_delay_alu instid0(VALU_DEP_1)
	s_or_not1_b32 s6, s2, exec_lo
	s_or_b32 s3, s3, s4
.LBB70_10:
	s_and_saveexec_b32 s2, s6
; %bb.11:
	v_cmp_eq_u32_e32 vcc_lo, v0, v1
	s_cmpk_eq_i32 s5, 0x83
	s_cselect_b32 s4, -1, 0
	s_and_not1_b32 s3, s3, exec_lo
	s_and_b32 s4, s4, vcc_lo
	s_delay_alu instid0(SALU_CYCLE_1) | instskip(NEXT) | instid1(SALU_CYCLE_1)
	s_and_b32 s4, s4, exec_lo
	s_or_b32 s3, s3, s4
; %bb.12:
	s_or_b32 exec_lo, exec_lo, s2
	s_delay_alu instid0(SALU_CYCLE_1)
	s_and_b32 exec_lo, exec_lo, s3
	s_cbranch_execz .LBB70_14
; %bb.13:
	s_load_b256 s[4:11], s[0:1], 0x8
	s_waitcnt lgkmcnt(0)
	v_mad_u64_u32 v[2:3], null, v1, s7, v[0:1]
	s_mul_i32 s2, s15, s9
	s_mul_hi_u32 s9, s15, s8
	v_mov_b32_e32 v3, 0
	s_mul_i32 s8, s15, s8
	s_add_i32 s9, s9, s2
	s_ashr_i32 s3, s6, 31
	s_lshl_b64 s[8:9], s[8:9], 3
	s_mov_b32 s2, s6
	v_lshlrev_b64 v[4:5], 3, v[2:3]
	s_add_u32 s4, s4, s8
	s_addc_u32 s5, s5, s9
	s_lshl_b64 s[2:3], s[2:3], 3
	s_delay_alu instid0(SALU_CYCLE_1)
	s_add_u32 s2, s4, s2
	s_addc_u32 s3, s5, s3
	v_add_co_u32 v4, vcc_lo, s2, v4
	v_add_co_ci_u32_e32 v5, vcc_lo, s3, v5, vcc_lo
	s_load_b128 s[0:3], s[0:1], 0x28
	global_load_b64 v[4:5], v[4:5], off
	s_waitcnt lgkmcnt(0)
	v_mad_u64_u32 v[6:7], null, v1, s1, v[0:1]
	s_mul_i32 s3, s15, s3
	s_mul_hi_u32 s4, s15, s2
	v_mov_b32_e32 v7, v3
	s_add_i32 s3, s4, s3
	s_mul_i32 s2, s15, s2
	s_ashr_i32 s5, s0, 31
	s_lshl_b64 s[2:3], s[2:3], 3
	s_mov_b32 s4, s0
	v_lshlrev_b64 v[0:1], 3, v[6:7]
	s_add_u32 s2, s10, s2
	s_addc_u32 s3, s11, s3
	s_lshl_b64 s[0:1], s[4:5], 3
	s_delay_alu instid0(SALU_CYCLE_1)
	s_add_u32 s0, s2, s0
	s_addc_u32 s1, s3, s1
	v_add_co_u32 v0, vcc_lo, s0, v0
	v_add_co_ci_u32_e32 v1, vcc_lo, s1, v1, vcc_lo
	s_waitcnt vmcnt(0)
	global_store_b64 v[0:1], v[4:5], off
.LBB70_14:
	s_nop 0
	s_sendmsg sendmsg(MSG_DEALLOC_VGPRS)
	s_endpgm
	.section	.rodata,"a",@progbits
	.p2align	6, 0x0
	.amdhsa_kernel _ZN9rocsolver6v33100L8copy_matIdPdS2_NS0_7no_maskEEEviiT0_iilT1_iilT2_13rocblas_fill_17rocblas_diagonal_
		.amdhsa_group_segment_fixed_size 0
		.amdhsa_private_segment_fixed_size 0
		.amdhsa_kernarg_size 328
		.amdhsa_user_sgpr_count 13
		.amdhsa_user_sgpr_dispatch_ptr 0
		.amdhsa_user_sgpr_queue_ptr 0
		.amdhsa_user_sgpr_kernarg_segment_ptr 1
		.amdhsa_user_sgpr_dispatch_id 0
		.amdhsa_user_sgpr_private_segment_size 0
		.amdhsa_wavefront_size32 1
		.amdhsa_uses_dynamic_stack 0
		.amdhsa_enable_private_segment 0
		.amdhsa_system_sgpr_workgroup_id_x 1
		.amdhsa_system_sgpr_workgroup_id_y 1
		.amdhsa_system_sgpr_workgroup_id_z 1
		.amdhsa_system_sgpr_workgroup_info 0
		.amdhsa_system_vgpr_workitem_id 1
		.amdhsa_next_free_vgpr 8
		.amdhsa_next_free_sgpr 16
		.amdhsa_reserve_vcc 1
		.amdhsa_float_round_mode_32 0
		.amdhsa_float_round_mode_16_64 0
		.amdhsa_float_denorm_mode_32 3
		.amdhsa_float_denorm_mode_16_64 3
		.amdhsa_dx10_clamp 1
		.amdhsa_ieee_mode 1
		.amdhsa_fp16_overflow 0
		.amdhsa_workgroup_processor_mode 1
		.amdhsa_memory_ordered 1
		.amdhsa_forward_progress 0
		.amdhsa_shared_vgpr_count 0
		.amdhsa_exception_fp_ieee_invalid_op 0
		.amdhsa_exception_fp_denorm_src 0
		.amdhsa_exception_fp_ieee_div_zero 0
		.amdhsa_exception_fp_ieee_overflow 0
		.amdhsa_exception_fp_ieee_underflow 0
		.amdhsa_exception_fp_ieee_inexact 0
		.amdhsa_exception_int_div_zero 0
	.end_amdhsa_kernel
	.section	.text._ZN9rocsolver6v33100L8copy_matIdPdS2_NS0_7no_maskEEEviiT0_iilT1_iilT2_13rocblas_fill_17rocblas_diagonal_,"axG",@progbits,_ZN9rocsolver6v33100L8copy_matIdPdS2_NS0_7no_maskEEEviiT0_iilT1_iilT2_13rocblas_fill_17rocblas_diagonal_,comdat
.Lfunc_end70:
	.size	_ZN9rocsolver6v33100L8copy_matIdPdS2_NS0_7no_maskEEEviiT0_iilT1_iilT2_13rocblas_fill_17rocblas_diagonal_, .Lfunc_end70-_ZN9rocsolver6v33100L8copy_matIdPdS2_NS0_7no_maskEEEviiT0_iilT1_iilT2_13rocblas_fill_17rocblas_diagonal_
                                        ; -- End function
	.section	.AMDGPU.csdata,"",@progbits
; Kernel info:
; codeLenInByte = 540
; NumSgprs: 18
; NumVgprs: 8
; ScratchSize: 0
; MemoryBound: 0
; FloatMode: 240
; IeeeMode: 1
; LDSByteSize: 0 bytes/workgroup (compile time only)
; SGPRBlocks: 2
; VGPRBlocks: 0
; NumSGPRsForWavesPerEU: 18
; NumVGPRsForWavesPerEU: 8
; Occupancy: 16
; WaveLimiterHint : 0
; COMPUTE_PGM_RSRC2:SCRATCH_EN: 0
; COMPUTE_PGM_RSRC2:USER_SGPR: 13
; COMPUTE_PGM_RSRC2:TRAP_HANDLER: 0
; COMPUTE_PGM_RSRC2:TGID_X_EN: 1
; COMPUTE_PGM_RSRC2:TGID_Y_EN: 1
; COMPUTE_PGM_RSRC2:TGID_Z_EN: 1
; COMPUTE_PGM_RSRC2:TIDIG_COMP_CNT: 1
	.section	.text._ZN9rocsolver6v33100L6iota_nI19rocblas_complex_numIfEEEvPT_jS4_,"axG",@progbits,_ZN9rocsolver6v33100L6iota_nI19rocblas_complex_numIfEEEvPT_jS4_,comdat
	.globl	_ZN9rocsolver6v33100L6iota_nI19rocblas_complex_numIfEEEvPT_jS4_ ; -- Begin function _ZN9rocsolver6v33100L6iota_nI19rocblas_complex_numIfEEEvPT_jS4_
	.p2align	8
	.type	_ZN9rocsolver6v33100L6iota_nI19rocblas_complex_numIfEEEvPT_jS4_,@function
_ZN9rocsolver6v33100L6iota_nI19rocblas_complex_numIfEEEvPT_jS4_: ; @_ZN9rocsolver6v33100L6iota_nI19rocblas_complex_numIfEEEvPT_jS4_
; %bb.0:
	s_load_b32 s2, s[0:1], 0x8
	s_waitcnt lgkmcnt(0)
	v_cmp_gt_u32_e32 vcc_lo, s2, v0
	s_and_saveexec_b32 s2, vcc_lo
	s_cbranch_execz .LBB71_2
; %bb.1:
	s_clause 0x1
	s_load_b64 s[2:3], s[0:1], 0xc
	s_load_b64 s[0:1], s[0:1], 0x0
	v_cvt_f32_ubyte0_e32 v1, v0
	s_waitcnt lgkmcnt(0)
	s_delay_alu instid0(VALU_DEP_1)
	v_dual_add_f32 v1, s2, v1 :: v_dual_lshlrev_b32 v0, 3, v0
	v_add_f32_e64 v2, s3, 0
	global_store_b64 v0, v[1:2], s[0:1]
.LBB71_2:
	s_nop 0
	s_sendmsg sendmsg(MSG_DEALLOC_VGPRS)
	s_endpgm
	.section	.rodata,"a",@progbits
	.p2align	6, 0x0
	.amdhsa_kernel _ZN9rocsolver6v33100L6iota_nI19rocblas_complex_numIfEEEvPT_jS4_
		.amdhsa_group_segment_fixed_size 0
		.amdhsa_private_segment_fixed_size 0
		.amdhsa_kernarg_size 20
		.amdhsa_user_sgpr_count 15
		.amdhsa_user_sgpr_dispatch_ptr 0
		.amdhsa_user_sgpr_queue_ptr 0
		.amdhsa_user_sgpr_kernarg_segment_ptr 1
		.amdhsa_user_sgpr_dispatch_id 0
		.amdhsa_user_sgpr_private_segment_size 0
		.amdhsa_wavefront_size32 1
		.amdhsa_uses_dynamic_stack 0
		.amdhsa_enable_private_segment 0
		.amdhsa_system_sgpr_workgroup_id_x 1
		.amdhsa_system_sgpr_workgroup_id_y 0
		.amdhsa_system_sgpr_workgroup_id_z 0
		.amdhsa_system_sgpr_workgroup_info 0
		.amdhsa_system_vgpr_workitem_id 0
		.amdhsa_next_free_vgpr 3
		.amdhsa_next_free_sgpr 4
		.amdhsa_reserve_vcc 1
		.amdhsa_float_round_mode_32 0
		.amdhsa_float_round_mode_16_64 0
		.amdhsa_float_denorm_mode_32 3
		.amdhsa_float_denorm_mode_16_64 3
		.amdhsa_dx10_clamp 1
		.amdhsa_ieee_mode 1
		.amdhsa_fp16_overflow 0
		.amdhsa_workgroup_processor_mode 1
		.amdhsa_memory_ordered 1
		.amdhsa_forward_progress 0
		.amdhsa_shared_vgpr_count 0
		.amdhsa_exception_fp_ieee_invalid_op 0
		.amdhsa_exception_fp_denorm_src 0
		.amdhsa_exception_fp_ieee_div_zero 0
		.amdhsa_exception_fp_ieee_overflow 0
		.amdhsa_exception_fp_ieee_underflow 0
		.amdhsa_exception_fp_ieee_inexact 0
		.amdhsa_exception_int_div_zero 0
	.end_amdhsa_kernel
	.section	.text._ZN9rocsolver6v33100L6iota_nI19rocblas_complex_numIfEEEvPT_jS4_,"axG",@progbits,_ZN9rocsolver6v33100L6iota_nI19rocblas_complex_numIfEEEvPT_jS4_,comdat
.Lfunc_end71:
	.size	_ZN9rocsolver6v33100L6iota_nI19rocblas_complex_numIfEEEvPT_jS4_, .Lfunc_end71-_ZN9rocsolver6v33100L6iota_nI19rocblas_complex_numIfEEEvPT_jS4_
                                        ; -- End function
	.section	.AMDGPU.csdata,"",@progbits
; Kernel info:
; codeLenInByte = 92
; NumSgprs: 6
; NumVgprs: 3
; ScratchSize: 0
; MemoryBound: 0
; FloatMode: 240
; IeeeMode: 1
; LDSByteSize: 0 bytes/workgroup (compile time only)
; SGPRBlocks: 0
; VGPRBlocks: 0
; NumSGPRsForWavesPerEU: 6
; NumVGPRsForWavesPerEU: 3
; Occupancy: 16
; WaveLimiterHint : 0
; COMPUTE_PGM_RSRC2:SCRATCH_EN: 0
; COMPUTE_PGM_RSRC2:USER_SGPR: 15
; COMPUTE_PGM_RSRC2:TRAP_HANDLER: 0
; COMPUTE_PGM_RSRC2:TGID_X_EN: 1
; COMPUTE_PGM_RSRC2:TGID_Y_EN: 0
; COMPUTE_PGM_RSRC2:TGID_Z_EN: 0
; COMPUTE_PGM_RSRC2:TIDIG_COMP_CNT: 0
	.section	.text._ZN9rocsolver6v33100L18geqr2_kernel_smallILi256E19rocblas_complex_numIfEifPS3_EEvT1_S5_T3_lS5_lPT2_lPT0_l,"axG",@progbits,_ZN9rocsolver6v33100L18geqr2_kernel_smallILi256E19rocblas_complex_numIfEifPS3_EEvT1_S5_T3_lS5_lPT2_lPT0_l,comdat
	.globl	_ZN9rocsolver6v33100L18geqr2_kernel_smallILi256E19rocblas_complex_numIfEifPS3_EEvT1_S5_T3_lS5_lPT2_lPT0_l ; -- Begin function _ZN9rocsolver6v33100L18geqr2_kernel_smallILi256E19rocblas_complex_numIfEifPS3_EEvT1_S5_T3_lS5_lPT2_lPT0_l
	.p2align	8
	.type	_ZN9rocsolver6v33100L18geqr2_kernel_smallILi256E19rocblas_complex_numIfEifPS3_EEvT1_S5_T3_lS5_lPT2_lPT0_l,@function
_ZN9rocsolver6v33100L18geqr2_kernel_smallILi256E19rocblas_complex_numIfEifPS3_EEvT1_S5_T3_lS5_lPT2_lPT0_l: ; @_ZN9rocsolver6v33100L18geqr2_kernel_smallILi256E19rocblas_complex_numIfEifPS3_EEvT1_S5_T3_lS5_lPT2_lPT0_l
; %bb.0:
	s_clause 0x4
	s_load_b256 s[4:11], s[0:1], 0x20
	s_load_b64 s[12:13], s[0:1], 0x0
	s_load_b128 s[24:27], s[0:1], 0x8
	s_load_b32 s17, s[0:1], 0x18
	s_load_b64 s[2:3], s[0:1], 0x40
	s_ashr_i32 s21, s15, 31
	v_and_b32_e32 v1, 0x7f, v0
	v_lshrrev_b32_e32 v5, 7, v0
	s_delay_alu instid0(VALU_DEP_2)
	v_lshlrev_b32_e32 v6, 3, v1
	s_waitcnt lgkmcnt(0)
	s_mul_i32 s0, s15, s5
	s_mul_hi_u32 s1, s15, s4
	s_mul_i32 s5, s21, s4
	s_add_i32 s1, s1, s0
	s_mul_i32 s0, s15, s4
	s_add_i32 s1, s1, s5
	s_delay_alu instid0(SALU_CYCLE_1) | instskip(SKIP_4) | instid1(SALU_CYCLE_1)
	s_lshl_b64 s[4:5], s[0:1], 3
	v_cmp_gt_i32_e64 s0, s12, v1
	s_add_u32 s1, s24, s4
	s_addc_u32 s16, s25, s5
	s_lshl_b64 s[4:5], s[26:27], 3
	s_add_u32 s14, s1, s4
	s_addc_u32 s16, s16, s5
	s_and_saveexec_b32 s4, s0
	s_cbranch_execz .LBB72_6
; %bb.1:
	v_lshrrev_b32_e32 v7, 7, v0
	s_mov_b32 s5, 0
	s_lshl_b32 s18, s12, 4
	s_lshl_b32 s19, s17, 1
	v_mov_b32_e32 v9, v1
	v_mul_lo_u32 v2, s12, v7
	v_cmp_gt_i32_e32 vcc_lo, s13, v7
	s_delay_alu instid0(VALU_DEP_2) | instskip(SKIP_1) | instid1(VALU_DEP_2)
	v_lshlrev_b32_e32 v4, 3, v2
	v_mad_u64_u32 v[2:3], null, s17, v7, v[1:2]
	v_add3_u32 v8, v4, v6, 0
	s_set_inst_prefetch_distance 0x1
	s_branch .LBB72_3
	.p2align	6
.LBB72_2:                               ;   in Loop: Header=BB72_3 Depth=1
	s_or_b32 exec_lo, exec_lo, s20
	v_add_nc_u32_e32 v9, 0x80, v9
	v_add_nc_u32_e32 v8, 0x400, v8
	;; [unrolled: 1-line block ×3, first 2 shown]
	s_delay_alu instid0(VALU_DEP_3) | instskip(NEXT) | instid1(VALU_DEP_1)
	v_cmp_le_i32_e64 s1, s12, v9
	s_or_b32 s5, s1, s5
	s_delay_alu instid0(SALU_CYCLE_1)
	s_and_not1_b32 exec_lo, exec_lo, s5
	s_cbranch_execz .LBB72_6
.LBB72_3:                               ; =>This Loop Header: Depth=1
                                        ;     Child Loop BB72_5 Depth 2
	s_and_saveexec_b32 s20, vcc_lo
	s_cbranch_execz .LBB72_2
; %bb.4:                                ;   in Loop: Header=BB72_3 Depth=1
	s_delay_alu instid0(VALU_DEP_2)
	v_dual_mov_b32 v3, v2 :: v_dual_mov_b32 v10, v8
	v_mov_b32_e32 v11, v7
	s_mov_b32 s22, 0
	.p2align	6
.LBB72_5:                               ;   Parent Loop BB72_3 Depth=1
                                        ; =>  This Inner Loop Header: Depth=2
	s_delay_alu instid0(VALU_DEP_2) | instskip(NEXT) | instid1(VALU_DEP_2)
	v_ashrrev_i32_e32 v4, 31, v3
	v_add_nc_u32_e32 v11, 2, v11
	s_delay_alu instid0(VALU_DEP_2) | instskip(SKIP_1) | instid1(VALU_DEP_2)
	v_lshlrev_b64 v[12:13], 3, v[3:4]
	v_add_nc_u32_e32 v3, s19, v3
	v_add_co_u32 v12, s1, s14, v12
	s_delay_alu instid0(VALU_DEP_1)
	v_add_co_ci_u32_e64 v13, s1, s16, v13, s1
	v_cmp_le_i32_e64 s1, s13, v11
	global_load_b64 v[12:13], v[12:13], off
	s_or_b32 s22, s1, s22
	s_waitcnt vmcnt(0)
	ds_store_b64 v10, v[12:13]
	v_add_nc_u32_e32 v10, s18, v10
	s_and_not1_b32 exec_lo, exec_lo, s22
	s_cbranch_execnz .LBB72_5
	s_branch .LBB72_2
.LBB72_6:
	s_set_inst_prefetch_distance 0x2
	s_or_b32 exec_lo, exec_lo, s4
	s_min_i32 s18, s13, s12
	s_waitcnt lgkmcnt(0)
	s_cmp_lt_i32 s18, 1
	s_barrier
	buffer_gl0_inv
	s_cbranch_scc1 .LBB72_44
; %bb.7:
	v_mbcnt_lo_u32_b32 v2, -1, 0
	s_mul_i32 s1, s15, s9
	s_mul_hi_u32 s4, s15, s8
	s_mul_i32 s5, s21, s8
	s_add_i32 s1, s4, s1
	v_cmp_ne_u32_e32 vcc_lo, 31, v2
	s_mul_i32 s4, s15, s8
	s_add_i32 s5, s1, s5
	s_mul_i32 s1, s15, s3
	s_lshl_b64 s[4:5], s[4:5], 2
	v_add_co_ci_u32_e32 v3, vcc_lo, 0, v2, vcc_lo
	v_cmp_gt_u32_e32 vcc_lo, 30, v2
	s_mul_hi_u32 s3, s15, s2
	s_add_u32 s19, s6, s4
	s_addc_u32 s20, s7, s5
	s_add_i32 s1, s3, s1
	v_cndmask_b32_e64 v4, 0, 1, vcc_lo
	v_cmp_gt_u32_e32 vcc_lo, 28, v2
	s_mul_i32 s3, s21, s2
	s_mul_i32 s2, s15, s2
	s_add_i32 s3, s1, s3
	v_lshlrev_b32_e32 v7, 2, v3
	v_cndmask_b32_e64 v8, 0, 1, vcc_lo
	v_cmp_gt_u32_e32 vcc_lo, 24, v2
	v_dual_mov_b32 v16, 1.0 :: v_dual_lshlrev_b32 v3, 1, v4
	s_lshl_b64 s[2:3], s[2:3], 3
	s_delay_alu instid0(VALU_DEP_3)
	v_lshlrev_b32_e32 v4, 2, v8
	v_cndmask_b32_e64 v9, 0, 1, vcc_lo
	v_cmp_gt_u32_e32 vcc_lo, 16, v2
	s_mul_i32 s1, s13, s12
	s_add_u32 s15, s10, s2
	s_addc_u32 s21, s11, s3
	v_lshlrev_b32_e32 v11, 3, v9
	v_cndmask_b32_e64 v10, 0, 1, vcc_lo
	s_lshl_b32 s1, s1, 3
	v_add_lshl_u32 v8, v3, v2, 2
	v_add_lshl_u32 v9, v4, v2, 2
	s_add_i32 s22, s1, 0
	v_lshlrev_b32_e32 v12, 4, v10
	v_add_lshl_u32 v10, v11, v2, 2
	s_lshl_b32 s1, s13, 3
	v_and_b32_e32 v13, 31, v0
	s_add_i32 s23, s22, s1
	v_add_lshl_u32 v11, v12, v2, 2
	v_mad_u64_u32 v[2:3], null, s12, v0, s[12:13]
	v_lshrrev_b32_e32 v4, 2, v0
	v_lshlrev_b32_e32 v3, 3, v0
	s_cmp_lg_u64 s[6:7], 0
	v_cmp_eq_u32_e64 s1, 0, v13
	s_cselect_b32 s7, -1, 0
	s_lshl_b32 s24, s12, 3
	v_cmp_eq_u32_e64 s2, 0, v0
	v_add3_u32 v12, v3, 0, 8
	v_lshl_add_u32 v13, v2, 3, 0
	v_add3_u32 v14, 0, s24, v3
	v_dual_mov_b32 v2, 0 :: v_dual_add_nc_u32 v15, s23, v4
	s_mov_b32 s9, 0
	s_add_i32 s25, s24, 8
	s_lshl_b32 s26, s12, 11
	s_mov_b32 s27, 0
	s_mov_b32 s8, s9
	s_branch .LBB72_9
.LBB72_8:                               ;   in Loop: Header=BB72_9 Depth=1
	s_set_inst_prefetch_distance 0x2
	s_or_b32 exec_lo, exec_lo, s4
	v_add_nc_u32_e32 v12, s25, v12
	v_add_nc_u32_e32 v13, s25, v13
	v_add_nc_u32_e32 v14, s25, v14
	s_add_i32 s8, s8, 1
	s_add_i32 s27, s27, s25
	s_cmp_eq_u32 s8, s18
	s_waitcnt lgkmcnt(0)
	s_barrier
	buffer_gl0_inv
	s_cbranch_scc1 .LBB72_44
.LBB72_9:                               ; =>This Loop Header: Depth=1
                                        ;     Child Loop BB72_11 Depth 2
                                        ;     Child Loop BB72_30 Depth 2
	;; [unrolled: 1-line block ×3, first 2 shown]
                                        ;       Child Loop BB72_36 Depth 3
                                        ;     Child Loop BB72_40 Depth 2
                                        ;       Child Loop BB72_42 Depth 3
	s_sub_i32 s28, s12, s8
	v_dual_mov_b32 v3, 0 :: v_dual_mov_b32 v4, 0
	s_add_i32 s30, s28, -1
	s_delay_alu instid0(SALU_CYCLE_1) | instskip(NEXT) | instid1(VALU_DEP_1)
	v_cmp_gt_i32_e64 s3, s30, v0
	s_and_saveexec_b32 s4, s3
	s_cbranch_execz .LBB72_13
; %bb.10:                               ;   in Loop: Header=BB72_9 Depth=1
	v_dual_mov_b32 v3, 0 :: v_dual_mov_b32 v18, v0
	v_dual_mov_b32 v17, v12 :: v_dual_mov_b32 v4, 0
	s_mov_b32 s5, 0
	.p2align	6
.LBB72_11:                              ;   Parent Loop BB72_9 Depth=1
                                        ; =>  This Inner Loop Header: Depth=2
	ds_load_b64 v[19:20], v17
	v_add_nc_u32_e32 v18, 0x100, v18
	v_add_nc_u32_e32 v17, 0x800, v17
	s_delay_alu instid0(VALU_DEP_2) | instskip(SKIP_4) | instid1(VALU_DEP_2)
	v_cmp_le_i32_e32 vcc_lo, s30, v18
	s_or_b32 s5, vcc_lo, s5
	s_waitcnt lgkmcnt(0)
	v_mul_f32_e32 v21, v20, v20
	v_mul_f32_e32 v22, v20, v19
	v_fmac_f32_e32 v21, v19, v19
	s_delay_alu instid0(VALU_DEP_2) | instskip(NEXT) | instid1(VALU_DEP_1)
	v_fma_f32 v19, v19, v20, -v22
	v_dual_add_f32 v4, v4, v21 :: v_dual_add_f32 v3, v3, v19
	s_and_not1_b32 exec_lo, exec_lo, s5
	s_cbranch_execnz .LBB72_11
; %bb.12:                               ;   in Loop: Header=BB72_9 Depth=1
	s_or_b32 exec_lo, exec_lo, s5
.LBB72_13:                              ;   in Loop: Header=BB72_9 Depth=1
	s_delay_alu instid0(SALU_CYCLE_1)
	s_or_b32 exec_lo, exec_lo, s4
	ds_bpermute_b32 v17, v7, v4
	ds_bpermute_b32 v18, v7, v3
	s_waitcnt lgkmcnt(0)
	v_dual_add_f32 v4, v4, v17 :: v_dual_add_f32 v3, v3, v18
	ds_bpermute_b32 v17, v8, v4
	ds_bpermute_b32 v18, v8, v3
	s_waitcnt lgkmcnt(0)
	v_dual_add_f32 v4, v4, v17 :: v_dual_add_f32 v3, v3, v18
	;; [unrolled: 4-line block ×4, first 2 shown]
	ds_bpermute_b32 v3, v11, v19
	ds_bpermute_b32 v17, v11, v4
	s_waitcnt lgkmcnt(1)
	v_add_f32_e32 v3, v19, v3
	s_and_saveexec_b32 s4, s1
	s_cbranch_execz .LBB72_15
; %bb.14:                               ;   in Loop: Header=BB72_9 Depth=1
	s_waitcnt lgkmcnt(0)
	v_add_f32_e32 v4, v4, v17
	ds_store_2addr_b32 v15, v3, v4 offset0:2 offset1:3
.LBB72_15:                              ;   in Loop: Header=BB72_9 Depth=1
	s_or_b32 exec_lo, exec_lo, s4
	s_lshl_b32 s4, s8, 3
	s_mul_i32 s5, s8, s12
	s_add_i32 s29, s4, 0
	s_lshl_b32 s4, s5, 3
	s_waitcnt lgkmcnt(0)
	s_add_i32 s29, s29, s4
	s_barrier
	buffer_gl0_inv
	s_and_saveexec_b32 s31, s2
	s_cbranch_execz .LBB72_28
; %bb.16:                               ;   in Loop: Header=BB72_9 Depth=1
	v_mov_b32_e32 v4, s23
	s_lshl_b64 s[4:5], s[8:9], 2
	s_mov_b32 s34, 0
	s_add_u32 s10, s19, s4
	s_addc_u32 s11, s20, s5
	ds_load_2addr_b32 v[17:18], v4 offset0:4 offset1:6
	ds_load_2addr_b32 v[19:20], v4 offset0:8 offset1:10
	s_mov_b32 s6, exec_lo
                                        ; implicit-def: $sgpr4
                                        ; implicit-def: $sgpr5
                                        ; implicit-def: $sgpr33
                                        ; implicit-def: $sgpr35
	s_waitcnt lgkmcnt(1)
	v_add_f32_e32 v3, v3, v17
	ds_load_2addr_b32 v[21:22], v4 offset0:12 offset1:14
	v_add_f32_e32 v3, v3, v18
	s_waitcnt lgkmcnt(1)
	s_delay_alu instid0(VALU_DEP_1) | instskip(SKIP_4) | instid1(VALU_DEP_1)
	v_dual_mov_b32 v17, s29 :: v_dual_add_f32 v18, v3, v19
	ds_load_b32 v4, v4 offset:64
	ds_load_b32 v3, v17 offset:4
	v_add_f32_e32 v17, v18, v20
	s_waitcnt lgkmcnt(2)
	v_add_f32_e32 v17, v17, v21
	s_delay_alu instid0(VALU_DEP_1) | instskip(SKIP_1) | instid1(VALU_DEP_1)
	v_add_f32_e32 v17, v17, v22
	s_waitcnt lgkmcnt(0)
	v_dual_add_f32 v17, v17, v4 :: v_dual_mul_f32 v4, v3, v3
	s_delay_alu instid0(VALU_DEP_1) | instskip(NEXT) | instid1(VALU_DEP_1)
	v_max_f32_e32 v18, v17, v4
	v_cmpx_nlt_f32_e32 0, v18
	s_xor_b32 s6, exec_lo, s6
	s_cbranch_execz .LBB72_20
; %bb.17:                               ;   in Loop: Header=BB72_9 Depth=1
	v_dual_mov_b32 v3, v2 :: v_dual_mov_b32 v4, s23
	s_mov_b32 s33, 0
	s_and_b32 vcc_lo, exec_lo, s7
                                        ; implicit-def: $sgpr4
                                        ; implicit-def: $sgpr5
	ds_store_b64 v4, v[2:3]
	s_cbranch_vccz .LBB72_19
; %bb.18:                               ;   in Loop: Header=BB72_9 Depth=1
	v_mov_b32_e32 v3, s29
	s_mov_b32 s34, -1
	s_mov_b32 s5, 1.0
	s_mov_b32 s4, 0
	ds_load_b32 v4, v3
	ds_store_b32 v3, v16
	s_waitcnt lgkmcnt(1)
	global_store_b32 v2, v4, s[10:11]
.LBB72_19:                              ;   in Loop: Header=BB72_9 Depth=1
	s_mov_b32 s35, 1.0
	s_and_b32 s34, s34, exec_lo
                                        ; implicit-def: $vgpr4
                                        ; implicit-def: $vgpr17
                                        ; implicit-def: $vgpr3
.LBB72_20:                              ;   in Loop: Header=BB72_9 Depth=1
	s_or_saveexec_b32 s36, s6
	v_dual_mov_b32 v18, s4 :: v_dual_mov_b32 v19, s5
	s_xor_b32 exec_lo, exec_lo, s36
	s_cbranch_execz .LBB72_25
; %bb.21:                               ;   in Loop: Header=BB72_9 Depth=1
	v_mov_b32_e32 v18, s29
	ds_load_b32 v18, v18
	s_waitcnt lgkmcnt(0)
	v_fma_f32 v19, v18, v18, v4
	s_delay_alu instid0(VALU_DEP_1) | instskip(NEXT) | instid1(VALU_DEP_1)
	v_add_f32_e32 v17, v17, v19
	v_mul_f32_e32 v19, 0x4f800000, v17
	v_cmp_gt_f32_e32 vcc_lo, 0xf800000, v17
	s_delay_alu instid0(VALU_DEP_2) | instskip(NEXT) | instid1(VALU_DEP_1)
	v_cndmask_b32_e32 v17, v17, v19, vcc_lo
	v_sqrt_f32_e32 v19, v17
	s_waitcnt_depctr 0xfff
	v_add_nc_u32_e32 v20, -1, v19
	v_add_nc_u32_e32 v21, 1, v19
	s_delay_alu instid0(VALU_DEP_2) | instskip(NEXT) | instid1(VALU_DEP_2)
	v_fma_f32 v22, -v20, v19, v17
	v_fma_f32 v23, -v21, v19, v17
	s_delay_alu instid0(VALU_DEP_2) | instskip(NEXT) | instid1(VALU_DEP_1)
	v_cmp_ge_f32_e64 s4, 0, v22
	v_cndmask_b32_e64 v19, v19, v20, s4
	s_delay_alu instid0(VALU_DEP_3) | instskip(NEXT) | instid1(VALU_DEP_1)
	v_cmp_lt_f32_e64 s4, 0, v23
	v_cndmask_b32_e64 v19, v19, v21, s4
	s_delay_alu instid0(VALU_DEP_1) | instskip(NEXT) | instid1(VALU_DEP_1)
	v_mul_f32_e32 v20, 0x37800000, v19
	v_cndmask_b32_e32 v19, v19, v20, vcc_lo
	v_cmp_class_f32_e64 vcc_lo, v17, 0x260
	s_delay_alu instid0(VALU_DEP_2) | instskip(SKIP_1) | instid1(VALU_DEP_2)
	v_cndmask_b32_e32 v17, v19, v17, vcc_lo
	v_cmp_le_f32_e32 vcc_lo, 0, v18
	v_cndmask_b32_e64 v17, v17, -v17, vcc_lo
	s_delay_alu instid0(VALU_DEP_1) | instskip(SKIP_2) | instid1(VALU_DEP_3)
	v_dual_sub_f32 v19, v18, v17 :: v_dual_sub_f32 v18, v17, v18
	v_div_scale_f32 v20, null, v17, v17, -v3
	v_div_scale_f32 v28, s4, -v3, v17, -v3
	v_div_scale_f32 v21, null, v17, v17, v18
	s_delay_alu instid0(VALU_DEP_3) | instskip(SKIP_1) | instid1(VALU_DEP_2)
	v_rcp_f32_e32 v24, v20
	v_div_scale_f32 v29, s5, v18, v17, v18
	v_rcp_f32_e32 v25, v21
	s_waitcnt_depctr 0xfff
	v_fma_f32 v31, -v20, v24, 1.0
	v_fma_f32 v32, -v21, v25, 1.0
	v_fmac_f32_e32 v4, v19, v19
	s_delay_alu instid0(VALU_DEP_2) | instskip(NEXT) | instid1(VALU_DEP_2)
	v_dual_fmac_f32 v24, v31, v24 :: v_dual_fmac_f32 v25, v32, v25
	v_div_scale_f32 v22, null, v4, v4, v19
	v_div_scale_f32 v23, null, v4, v4, -v3
	v_div_scale_f32 v30, vcc_lo, v19, v4, v19
	s_delay_alu instid0(VALU_DEP_3) | instskip(NEXT) | instid1(VALU_DEP_2)
	v_rcp_f32_e32 v26, v22
	v_rcp_f32_e32 v27, v23
	v_div_scale_f32 v35, s6, -v3, v4, -v3
	s_waitcnt_depctr 0xfff
	v_fma_f32 v33, -v22, v26, 1.0
	v_fma_f32 v34, -v23, v27, 1.0
	s_delay_alu instid0(VALU_DEP_2) | instskip(NEXT) | instid1(VALU_DEP_1)
	v_fmac_f32_e32 v26, v33, v26
	v_mul_f32_e32 v32, v30, v26
	s_delay_alu instid0(VALU_DEP_1) | instskip(NEXT) | instid1(VALU_DEP_1)
	v_fma_f32 v37, -v22, v32, v30
	v_dual_fmac_f32 v27, v34, v27 :: v_dual_fmac_f32 v32, v37, v26
	s_delay_alu instid0(VALU_DEP_1) | instskip(NEXT) | instid1(VALU_DEP_2)
	v_dual_mul_f32 v31, v28, v24 :: v_dual_mul_f32 v34, v35, v27
	v_fma_f32 v22, -v22, v32, v30
	s_delay_alu instid0(VALU_DEP_2) | instskip(NEXT) | instid1(VALU_DEP_3)
	v_fma_f32 v36, -v20, v31, v28
	v_fma_f32 v39, -v23, v34, v35
	v_mul_f32_e32 v33, v29, v25
	s_delay_alu instid0(VALU_DEP_4) | instskip(NEXT) | instid1(VALU_DEP_3)
	v_div_fmas_f32 v22, v22, v26, v32
	v_dual_fmac_f32 v31, v36, v24 :: v_dual_fmac_f32 v34, v39, v27
	s_delay_alu instid0(VALU_DEP_3) | instskip(SKIP_1) | instid1(VALU_DEP_3)
	v_fma_f32 v38, -v21, v33, v29
	s_mov_b32 vcc_lo, s6
	v_div_fixup_f32 v19, v22, v4, v19
	s_delay_alu instid0(VALU_DEP_3) | instskip(SKIP_2) | instid1(VALU_DEP_2)
	v_fma_f32 v20, -v20, v31, v28
	v_fma_f32 v23, -v23, v34, v35
	v_fmac_f32_e32 v33, v38, v25
	v_div_fmas_f32 v23, v23, v27, v34
	s_delay_alu instid0(VALU_DEP_2) | instskip(SKIP_1) | instid1(VALU_DEP_1)
	v_fma_f32 v21, -v21, v33, v29
	s_mov_b32 vcc_lo, s5
	v_div_fmas_f32 v21, v21, v25, v33
	s_mov_b32 vcc_lo, s4
	v_mov_b32_e32 v25, s23
	v_div_fmas_f32 v24, v20, v24, v31
	s_and_b32 vcc_lo, exec_lo, s7
	v_div_fixup_f32 v20, v21, v17, v18
	v_div_fixup_f32 v18, v23, v4, -v3
	s_delay_alu instid0(VALU_DEP_3)
	v_div_fixup_f32 v21, v24, v17, -v3
	ds_store_b64 v25, v[20:21]
	s_cbranch_vccz .LBB72_43
; %bb.22:                               ;   in Loop: Header=BB72_9 Depth=1
	v_mov_b32_e32 v3, s29
	global_store_b32 v2, v17, s[10:11]
	ds_store_b32 v3, v16
	s_cbranch_execnz .LBB72_24
.LBB72_23:                              ;   in Loop: Header=BB72_9 Depth=1
	v_mov_b32_e32 v3, s29
	ds_store_b32 v3, v17
.LBB72_24:                              ;   in Loop: Header=BB72_9 Depth=1
	s_or_b32 s34, s34, exec_lo
.LBB72_25:                              ;   in Loop: Header=BB72_9 Depth=1
	s_or_b32 exec_lo, exec_lo, s36
	v_dual_mov_b32 v3, s35 :: v_dual_mov_b32 v4, s33
	s_and_saveexec_b32 s4, s34
	s_cbranch_execz .LBB72_27
; %bb.26:                               ;   in Loop: Header=BB72_9 Depth=1
	v_dual_mov_b32 v17, s29 :: v_dual_mov_b32 v4, v18
	v_mov_b32_e32 v3, v19
	ds_store_b32 v17, v2 offset:4
.LBB72_27:                              ;   in Loop: Header=BB72_9 Depth=1
	s_or_b32 exec_lo, exec_lo, s4
	v_mov_b32_e32 v19, s23
	s_lshl_b64 s[4:5], s[8:9], 3
	s_delay_alu instid0(SALU_CYCLE_1)
	s_add_u32 s4, s15, s4
	s_addc_u32 s5, s21, s5
	ds_load_b64 v[17:18], v19
	s_waitcnt lgkmcnt(0)
	global_store_b64 v2, v[17:18], s[4:5]
	v_xor_b32_e32 v18, 0x80000000, v18
	ds_store_2addr_b64 v19, v[17:18], v[3:4] offset1:1
.LBB72_28:                              ;   in Loop: Header=BB72_9 Depth=1
	s_or_b32 exec_lo, exec_lo, s31
	s_waitcnt lgkmcnt(0)
	s_waitcnt_vscnt null, 0x0
	s_barrier
	buffer_gl0_inv
	s_and_saveexec_b32 s4, s3
	s_cbranch_execz .LBB72_31
; %bb.29:                               ;   in Loop: Header=BB72_9 Depth=1
	v_mov_b32_e32 v3, v0
	s_mov_b32 s3, 0
	s_mov_b32 s5, 0
	.p2align	6
.LBB72_30:                              ;   Parent Loop BB72_9 Depth=1
                                        ; =>  This Inner Loop Header: Depth=2
	s_delay_alu instid0(VALU_DEP_1)
	v_dual_mov_b32 v4, s23 :: v_dual_add_nc_u32 v3, 0x100, v3
	v_add_nc_u32_e32 v22, s5, v12
	s_addk_i32 s5, 0x800
	ds_load_b64 v[17:18], v4 offset:8
	ds_load_b64 v[19:20], v22
	v_cmp_le_i32_e32 vcc_lo, s30, v3
	s_or_b32 s3, vcc_lo, s3
	s_waitcnt lgkmcnt(0)
	v_mul_f32_e32 v4, v18, v20
	v_mul_f32_e32 v21, v17, v20
	s_delay_alu instid0(VALU_DEP_2) | instskip(NEXT) | instid1(VALU_DEP_2)
	v_fma_f32 v20, v17, v19, -v4
	v_fmac_f32_e32 v21, v18, v19
	ds_store_b64 v22, v[20:21]
	s_and_not1_b32 exec_lo, exec_lo, s3
	s_cbranch_execnz .LBB72_30
.LBB72_31:                              ;   in Loop: Header=BB72_9 Depth=1
	s_or_b32 exec_lo, exec_lo, s4
	s_not_b32 s3, s8
	s_mov_b32 s4, exec_lo
	s_add_i32 s3, s3, s13
	s_waitcnt lgkmcnt(0)
	s_barrier
	buffer_gl0_inv
	v_cmpx_gt_i32_e64 s3, v0
	s_cbranch_execz .LBB72_37
; %bb.32:                               ;   in Loop: Header=BB72_9 Depth=1
	v_dual_mov_b32 v3, v13 :: v_dual_mov_b32 v4, v0
	s_cmp_gt_i32 s28, 0
	s_mov_b32 s5, 0
	s_cselect_b32 s6, -1, 0
	s_set_inst_prefetch_distance 0x1
	s_branch .LBB72_34
	.p2align	6
.LBB72_33:                              ;   in Loop: Header=BB72_34 Depth=2
	v_mov_b32_e32 v19, s23
	v_lshl_add_u32 v22, v4, 3, s22
	v_add_nc_u32_e32 v4, 0x100, v4
	v_add_nc_u32_e32 v3, s26, v3
	ds_load_b64 v[19:20], v19
	v_cmp_le_i32_e32 vcc_lo, s3, v4
	s_or_b32 s5, vcc_lo, s5
	s_waitcnt lgkmcnt(0)
	v_mul_f32_e32 v23, v17, v20
	v_mul_f32_e32 v21, v18, v20
	s_delay_alu instid0(VALU_DEP_2) | instskip(NEXT) | instid1(VALU_DEP_2)
	v_fma_f32 v20, v18, v19, -v23
	v_fmac_f32_e32 v21, v17, v19
	ds_store_b64 v22, v[20:21]
	s_and_not1_b32 exec_lo, exec_lo, s5
	s_cbranch_execz .LBB72_37
.LBB72_34:                              ;   Parent Loop BB72_9 Depth=1
                                        ; =>  This Loop Header: Depth=2
                                        ;       Child Loop BB72_36 Depth 3
	v_dual_mov_b32 v17, 0 :: v_dual_mov_b32 v18, 0
	s_and_not1_b32 vcc_lo, exec_lo, s6
	s_cbranch_vccnz .LBB72_33
; %bb.35:                               ;   in Loop: Header=BB72_34 Depth=2
	v_dual_mov_b32 v17, 0 :: v_dual_mov_b32 v18, 0
	v_mov_b32_e32 v19, v3
	s_mov_b32 s10, 0
	s_mov_b32 s11, s27
	.p2align	6
.LBB72_36:                              ;   Parent Loop BB72_9 Depth=1
                                        ;     Parent Loop BB72_34 Depth=2
                                        ; =>    This Inner Loop Header: Depth=3
	s_delay_alu instid0(SALU_CYCLE_1)
	v_mov_b32_e32 v22, s11
	s_add_i32 s10, s10, 1
	s_add_i32 s11, s11, 8
	s_cmp_ge_i32 s10, s28
	ds_load_b64 v[20:21], v19
	ds_load_b64 v[22:23], v22
	s_waitcnt lgkmcnt(0)
	v_dual_mul_f32 v24, v23, v21 :: v_dual_add_nc_u32 v19, 8, v19
	v_mul_f32_e32 v23, v23, v20
	s_delay_alu instid0(VALU_DEP_2) | instskip(NEXT) | instid1(VALU_DEP_2)
	v_fmac_f32_e32 v24, v22, v20
	v_fma_f32 v20, v22, v21, -v23
	s_delay_alu instid0(VALU_DEP_2) | instskip(NEXT) | instid1(VALU_DEP_2)
	v_add_f32_e32 v18, v18, v24
	v_add_f32_e32 v17, v17, v20
	s_cbranch_scc0 .LBB72_36
	s_branch .LBB72_33
.LBB72_37:                              ;   in Loop: Header=BB72_9 Depth=1
	s_set_inst_prefetch_distance 0x2
	s_or_b32 exec_lo, exec_lo, s4
	s_delay_alu instid0(SALU_CYCLE_1)
	s_mov_b32 s4, exec_lo
	s_waitcnt lgkmcnt(0)
	s_barrier
	buffer_gl0_inv
	v_cmpx_gt_i32_e64 s28, v0
	s_cbranch_execz .LBB72_8
; %bb.38:                               ;   in Loop: Header=BB72_9 Depth=1
	v_dual_mov_b32 v3, v14 :: v_dual_mov_b32 v4, v0
	s_cmp_gt_i32 s3, 0
	s_mov_b32 s5, 0
	s_cselect_b32 s6, -1, 0
	s_set_inst_prefetch_distance 0x1
	s_branch .LBB72_40
	.p2align	6
.LBB72_39:                              ;   in Loop: Header=BB72_40 Depth=2
	v_add_nc_u32_e32 v4, 0x100, v4
	v_add_nc_u32_e32 v3, 0x800, v3
	s_delay_alu instid0(VALU_DEP_2) | instskip(SKIP_1) | instid1(SALU_CYCLE_1)
	v_cmp_le_i32_e32 vcc_lo, s28, v4
	s_or_b32 s5, vcc_lo, s5
	s_and_not1_b32 exec_lo, exec_lo, s5
	s_cbranch_execz .LBB72_8
.LBB72_40:                              ;   Parent Loop BB72_9 Depth=1
                                        ; =>  This Loop Header: Depth=2
                                        ;       Child Loop BB72_42 Depth 3
	s_and_not1_b32 vcc_lo, exec_lo, s6
	s_cbranch_vccnz .LBB72_39
; %bb.41:                               ;   in Loop: Header=BB72_40 Depth=2
	v_lshl_add_u32 v17, v4, 3, s29
	v_mov_b32_e32 v18, v3
	s_mov_b32 s10, 0
	s_mov_b32 s11, s22
	.p2align	6
.LBB72_42:                              ;   Parent Loop BB72_9 Depth=1
                                        ;     Parent Loop BB72_40 Depth=2
                                        ; =>    This Inner Loop Header: Depth=3
	s_delay_alu instid0(SALU_CYCLE_1)
	v_mov_b32_e32 v21, s11
	s_add_i32 s10, s10, 1
	s_add_i32 s11, s11, 8
	s_cmp_ge_i32 s10, s3
	ds_load_b64 v[19:20], v17
	ds_load_b64 v[21:22], v21
	;; [unrolled: 1-line block ×3, first 2 shown]
	s_waitcnt lgkmcnt(1)
	v_mul_f32_e32 v25, v22, v20
	v_mul_f32_e32 v20, v21, v20
	s_delay_alu instid0(VALU_DEP_2) | instskip(SKIP_1) | instid1(VALU_DEP_1)
	v_fma_f32 v21, v21, v19, -v25
	s_waitcnt lgkmcnt(0)
	v_dual_fmac_f32 v20, v22, v19 :: v_dual_sub_f32 v19, v23, v21
	s_delay_alu instid0(VALU_DEP_1)
	v_sub_f32_e32 v20, v24, v20
	ds_store_b64 v18, v[19:20]
	v_add_nc_u32_e32 v18, s24, v18
	s_cbranch_scc0 .LBB72_42
	s_branch .LBB72_39
.LBB72_43:                              ;   in Loop: Header=BB72_9 Depth=1
	s_branch .LBB72_23
.LBB72_44:
	s_and_saveexec_b32 s1, s0
	s_cbranch_execz .LBB72_50
; %bb.45:
	v_mul_lo_u32 v0, s12, v5
	v_mad_u64_u32 v[2:3], null, s17, v5, v[1:2]
	v_cmp_gt_i32_e32 vcc_lo, s13, v5
	s_lshl_b32 s2, s17, 1
	s_mov_b32 s3, 0
	s_lshl_b32 s4, s12, 4
	s_delay_alu instid0(VALU_DEP_3) | instskip(NEXT) | instid1(VALU_DEP_1)
	v_lshlrev_b32_e32 v0, 3, v0
	v_add3_u32 v0, v0, v6, 0
	s_set_inst_prefetch_distance 0x1
	s_branch .LBB72_47
	.p2align	6
.LBB72_46:                              ;   in Loop: Header=BB72_47 Depth=1
	s_or_b32 exec_lo, exec_lo, s5
	v_add_nc_u32_e32 v1, 0x80, v1
	v_add_nc_u32_e32 v2, 0x80, v2
	v_add_nc_u32_e32 v0, 0x400, v0
	s_delay_alu instid0(VALU_DEP_3) | instskip(NEXT) | instid1(VALU_DEP_1)
	v_cmp_le_i32_e64 s0, s12, v1
	s_or_b32 s3, s0, s3
	s_delay_alu instid0(SALU_CYCLE_1)
	s_and_not1_b32 exec_lo, exec_lo, s3
	s_cbranch_execz .LBB72_50
.LBB72_47:                              ; =>This Loop Header: Depth=1
                                        ;     Child Loop BB72_49 Depth 2
	s_and_saveexec_b32 s5, vcc_lo
	s_cbranch_execz .LBB72_46
; %bb.48:                               ;   in Loop: Header=BB72_47 Depth=1
	v_dual_mov_b32 v6, v0 :: v_dual_mov_b32 v3, v2
	v_mov_b32_e32 v7, v5
	s_mov_b32 s6, 0
	.p2align	6
.LBB72_49:                              ;   Parent Loop BB72_47 Depth=1
                                        ; =>  This Inner Loop Header: Depth=2
	ds_load_b64 v[8:9], v6
	v_ashrrev_i32_e32 v4, 31, v3
	v_add_nc_u32_e32 v7, 2, v7
	v_add_nc_u32_e32 v6, s4, v6
	s_delay_alu instid0(VALU_DEP_3) | instskip(NEXT) | instid1(VALU_DEP_3)
	v_lshlrev_b64 v[10:11], 3, v[3:4]
	v_cmp_le_i32_e64 s0, s13, v7
	v_add_nc_u32_e32 v3, s2, v3
	s_delay_alu instid0(VALU_DEP_2) | instskip(NEXT) | instid1(VALU_DEP_3)
	s_or_b32 s6, s0, s6
	v_add_co_u32 v10, s1, s14, v10
	s_delay_alu instid0(VALU_DEP_1)
	v_add_co_ci_u32_e64 v11, s1, s16, v11, s1
	s_waitcnt lgkmcnt(0)
	global_store_b64 v[10:11], v[8:9], off
	s_and_not1_b32 exec_lo, exec_lo, s6
	s_cbranch_execnz .LBB72_49
	s_branch .LBB72_46
.LBB72_50:
	s_set_inst_prefetch_distance 0x2
	s_nop 0
	s_sendmsg sendmsg(MSG_DEALLOC_VGPRS)
	s_endpgm
	.section	.rodata,"a",@progbits
	.p2align	6, 0x0
	.amdhsa_kernel _ZN9rocsolver6v33100L18geqr2_kernel_smallILi256E19rocblas_complex_numIfEifPS3_EEvT1_S5_T3_lS5_lPT2_lPT0_l
		.amdhsa_group_segment_fixed_size 0
		.amdhsa_private_segment_fixed_size 0
		.amdhsa_kernarg_size 72
		.amdhsa_user_sgpr_count 14
		.amdhsa_user_sgpr_dispatch_ptr 0
		.amdhsa_user_sgpr_queue_ptr 0
		.amdhsa_user_sgpr_kernarg_segment_ptr 1
		.amdhsa_user_sgpr_dispatch_id 0
		.amdhsa_user_sgpr_private_segment_size 0
		.amdhsa_wavefront_size32 1
		.amdhsa_uses_dynamic_stack 0
		.amdhsa_enable_private_segment 0
		.amdhsa_system_sgpr_workgroup_id_x 1
		.amdhsa_system_sgpr_workgroup_id_y 0
		.amdhsa_system_sgpr_workgroup_id_z 1
		.amdhsa_system_sgpr_workgroup_info 0
		.amdhsa_system_vgpr_workitem_id 0
		.amdhsa_next_free_vgpr 40
		.amdhsa_next_free_sgpr 37
		.amdhsa_reserve_vcc 1
		.amdhsa_float_round_mode_32 0
		.amdhsa_float_round_mode_16_64 0
		.amdhsa_float_denorm_mode_32 3
		.amdhsa_float_denorm_mode_16_64 3
		.amdhsa_dx10_clamp 1
		.amdhsa_ieee_mode 1
		.amdhsa_fp16_overflow 0
		.amdhsa_workgroup_processor_mode 1
		.amdhsa_memory_ordered 1
		.amdhsa_forward_progress 0
		.amdhsa_shared_vgpr_count 0
		.amdhsa_exception_fp_ieee_invalid_op 0
		.amdhsa_exception_fp_denorm_src 0
		.amdhsa_exception_fp_ieee_div_zero 0
		.amdhsa_exception_fp_ieee_overflow 0
		.amdhsa_exception_fp_ieee_underflow 0
		.amdhsa_exception_fp_ieee_inexact 0
		.amdhsa_exception_int_div_zero 0
	.end_amdhsa_kernel
	.section	.text._ZN9rocsolver6v33100L18geqr2_kernel_smallILi256E19rocblas_complex_numIfEifPS3_EEvT1_S5_T3_lS5_lPT2_lPT0_l,"axG",@progbits,_ZN9rocsolver6v33100L18geqr2_kernel_smallILi256E19rocblas_complex_numIfEifPS3_EEvT1_S5_T3_lS5_lPT2_lPT0_l,comdat
.Lfunc_end72:
	.size	_ZN9rocsolver6v33100L18geqr2_kernel_smallILi256E19rocblas_complex_numIfEifPS3_EEvT1_S5_T3_lS5_lPT2_lPT0_l, .Lfunc_end72-_ZN9rocsolver6v33100L18geqr2_kernel_smallILi256E19rocblas_complex_numIfEifPS3_EEvT1_S5_T3_lS5_lPT2_lPT0_l
                                        ; -- End function
	.section	.AMDGPU.csdata,"",@progbits
; Kernel info:
; codeLenInByte = 3024
; NumSgprs: 39
; NumVgprs: 40
; ScratchSize: 0
; MemoryBound: 0
; FloatMode: 240
; IeeeMode: 1
; LDSByteSize: 0 bytes/workgroup (compile time only)
; SGPRBlocks: 4
; VGPRBlocks: 4
; NumSGPRsForWavesPerEU: 39
; NumVGPRsForWavesPerEU: 40
; Occupancy: 16
; WaveLimiterHint : 0
; COMPUTE_PGM_RSRC2:SCRATCH_EN: 0
; COMPUTE_PGM_RSRC2:USER_SGPR: 14
; COMPUTE_PGM_RSRC2:TRAP_HANDLER: 0
; COMPUTE_PGM_RSRC2:TGID_X_EN: 1
; COMPUTE_PGM_RSRC2:TGID_Y_EN: 0
; COMPUTE_PGM_RSRC2:TGID_Z_EN: 1
; COMPUTE_PGM_RSRC2:TIDIG_COMP_CNT: 0
	.section	.text._ZN9rocsolver6v33100L16reset_batch_infoI19rocblas_complex_numIfEiiPS3_EEvT2_lT0_T1_,"axG",@progbits,_ZN9rocsolver6v33100L16reset_batch_infoI19rocblas_complex_numIfEiiPS3_EEvT2_lT0_T1_,comdat
	.globl	_ZN9rocsolver6v33100L16reset_batch_infoI19rocblas_complex_numIfEiiPS3_EEvT2_lT0_T1_ ; -- Begin function _ZN9rocsolver6v33100L16reset_batch_infoI19rocblas_complex_numIfEiiPS3_EEvT2_lT0_T1_
	.p2align	8
	.type	_ZN9rocsolver6v33100L16reset_batch_infoI19rocblas_complex_numIfEiiPS3_EEvT2_lT0_T1_,@function
_ZN9rocsolver6v33100L16reset_batch_infoI19rocblas_complex_numIfEiiPS3_EEvT2_lT0_T1_: ; @_ZN9rocsolver6v33100L16reset_batch_infoI19rocblas_complex_numIfEiiPS3_EEvT2_lT0_T1_
; %bb.0:
	s_clause 0x1
	s_load_b32 s4, s[0:1], 0x24
	s_load_b64 s[2:3], s[0:1], 0x10
	s_waitcnt lgkmcnt(0)
	s_and_b32 s4, s4, 0xffff
	s_delay_alu instid0(SALU_CYCLE_1) | instskip(NEXT) | instid1(VALU_DEP_1)
	v_mad_u64_u32 v[1:2], null, s14, s4, v[0:1]
	v_cmp_gt_i32_e32 vcc_lo, s2, v1
	s_and_saveexec_b32 s2, vcc_lo
	s_cbranch_execz .LBB73_2
; %bb.1:
	s_load_b128 s[4:7], s[0:1], 0x0
	v_ashrrev_i32_e32 v2, 31, v1
	s_ashr_i32 s0, s15, 31
	v_mov_b32_e32 v3, 0
	s_delay_alu instid0(VALU_DEP_2)
	v_lshlrev_b64 v[0:1], 3, v[1:2]
	v_cvt_f32_i32_e32 v2, s3
	s_waitcnt lgkmcnt(0)
	s_mul_i32 s1, s15, s7
	s_mul_hi_u32 s2, s15, s6
	s_mul_i32 s7, s0, s6
	s_add_i32 s1, s2, s1
	s_mul_i32 s0, s15, s6
	s_add_i32 s1, s1, s7
	s_delay_alu instid0(SALU_CYCLE_1) | instskip(NEXT) | instid1(SALU_CYCLE_1)
	s_lshl_b64 s[0:1], s[0:1], 3
	s_add_u32 s0, s4, s0
	s_addc_u32 s1, s5, s1
	v_add_co_u32 v0, vcc_lo, s0, v0
	v_add_co_ci_u32_e32 v1, vcc_lo, s1, v1, vcc_lo
	global_store_b64 v[0:1], v[2:3], off
.LBB73_2:
	s_nop 0
	s_sendmsg sendmsg(MSG_DEALLOC_VGPRS)
	s_endpgm
	.section	.rodata,"a",@progbits
	.p2align	6, 0x0
	.amdhsa_kernel _ZN9rocsolver6v33100L16reset_batch_infoI19rocblas_complex_numIfEiiPS3_EEvT2_lT0_T1_
		.amdhsa_group_segment_fixed_size 0
		.amdhsa_private_segment_fixed_size 0
		.amdhsa_kernarg_size 280
		.amdhsa_user_sgpr_count 14
		.amdhsa_user_sgpr_dispatch_ptr 0
		.amdhsa_user_sgpr_queue_ptr 0
		.amdhsa_user_sgpr_kernarg_segment_ptr 1
		.amdhsa_user_sgpr_dispatch_id 0
		.amdhsa_user_sgpr_private_segment_size 0
		.amdhsa_wavefront_size32 1
		.amdhsa_uses_dynamic_stack 0
		.amdhsa_enable_private_segment 0
		.amdhsa_system_sgpr_workgroup_id_x 1
		.amdhsa_system_sgpr_workgroup_id_y 1
		.amdhsa_system_sgpr_workgroup_id_z 0
		.amdhsa_system_sgpr_workgroup_info 0
		.amdhsa_system_vgpr_workitem_id 0
		.amdhsa_next_free_vgpr 4
		.amdhsa_next_free_sgpr 16
		.amdhsa_reserve_vcc 1
		.amdhsa_float_round_mode_32 0
		.amdhsa_float_round_mode_16_64 0
		.amdhsa_float_denorm_mode_32 3
		.amdhsa_float_denorm_mode_16_64 3
		.amdhsa_dx10_clamp 1
		.amdhsa_ieee_mode 1
		.amdhsa_fp16_overflow 0
		.amdhsa_workgroup_processor_mode 1
		.amdhsa_memory_ordered 1
		.amdhsa_forward_progress 0
		.amdhsa_shared_vgpr_count 0
		.amdhsa_exception_fp_ieee_invalid_op 0
		.amdhsa_exception_fp_denorm_src 0
		.amdhsa_exception_fp_ieee_div_zero 0
		.amdhsa_exception_fp_ieee_overflow 0
		.amdhsa_exception_fp_ieee_underflow 0
		.amdhsa_exception_fp_ieee_inexact 0
		.amdhsa_exception_int_div_zero 0
	.end_amdhsa_kernel
	.section	.text._ZN9rocsolver6v33100L16reset_batch_infoI19rocblas_complex_numIfEiiPS3_EEvT2_lT0_T1_,"axG",@progbits,_ZN9rocsolver6v33100L16reset_batch_infoI19rocblas_complex_numIfEiiPS3_EEvT2_lT0_T1_,comdat
.Lfunc_end73:
	.size	_ZN9rocsolver6v33100L16reset_batch_infoI19rocblas_complex_numIfEiiPS3_EEvT2_lT0_T1_, .Lfunc_end73-_ZN9rocsolver6v33100L16reset_batch_infoI19rocblas_complex_numIfEiiPS3_EEvT2_lT0_T1_
                                        ; -- End function
	.section	.AMDGPU.csdata,"",@progbits
; Kernel info:
; codeLenInByte = 168
; NumSgprs: 18
; NumVgprs: 4
; ScratchSize: 0
; MemoryBound: 0
; FloatMode: 240
; IeeeMode: 1
; LDSByteSize: 0 bytes/workgroup (compile time only)
; SGPRBlocks: 2
; VGPRBlocks: 0
; NumSGPRsForWavesPerEU: 18
; NumVGPRsForWavesPerEU: 4
; Occupancy: 16
; WaveLimiterHint : 0
; COMPUTE_PGM_RSRC2:SCRATCH_EN: 0
; COMPUTE_PGM_RSRC2:USER_SGPR: 14
; COMPUTE_PGM_RSRC2:TRAP_HANDLER: 0
; COMPUTE_PGM_RSRC2:TGID_X_EN: 1
; COMPUTE_PGM_RSRC2:TGID_Y_EN: 1
; COMPUTE_PGM_RSRC2:TGID_Z_EN: 0
; COMPUTE_PGM_RSRC2:TIDIG_COMP_CNT: 0
	.section	.text._ZN9rocsolver6v33100L8set_diagI19rocblas_complex_numIfEifPS3_TnNSt9enable_ifIXaa18rocblas_is_complexIT_Ent18rocblas_is_complexIT1_EEiE4typeELi0EEEvPS7_llT2_lT0_lSC_b,"axG",@progbits,_ZN9rocsolver6v33100L8set_diagI19rocblas_complex_numIfEifPS3_TnNSt9enable_ifIXaa18rocblas_is_complexIT_Ent18rocblas_is_complexIT1_EEiE4typeELi0EEEvPS7_llT2_lT0_lSC_b,comdat
	.globl	_ZN9rocsolver6v33100L8set_diagI19rocblas_complex_numIfEifPS3_TnNSt9enable_ifIXaa18rocblas_is_complexIT_Ent18rocblas_is_complexIT1_EEiE4typeELi0EEEvPS7_llT2_lT0_lSC_b ; -- Begin function _ZN9rocsolver6v33100L8set_diagI19rocblas_complex_numIfEifPS3_TnNSt9enable_ifIXaa18rocblas_is_complexIT_Ent18rocblas_is_complexIT1_EEiE4typeELi0EEEvPS7_llT2_lT0_lSC_b
	.p2align	8
	.type	_ZN9rocsolver6v33100L8set_diagI19rocblas_complex_numIfEifPS3_TnNSt9enable_ifIXaa18rocblas_is_complexIT_Ent18rocblas_is_complexIT1_EEiE4typeELi0EEEvPS7_llT2_lT0_lSC_b,@function
_ZN9rocsolver6v33100L8set_diagI19rocblas_complex_numIfEifPS3_TnNSt9enable_ifIXaa18rocblas_is_complexIT_Ent18rocblas_is_complexIT1_EEiE4typeELi0EEEvPS7_llT2_lT0_lSC_b: ; @_ZN9rocsolver6v33100L8set_diagI19rocblas_complex_numIfEifPS3_TnNSt9enable_ifIXaa18rocblas_is_complexIT_Ent18rocblas_is_complexIT1_EEiE4typeELi0EEEvPS7_llT2_lT0_lSC_b
; %bb.0:
	s_clause 0x1
	s_load_b32 s4, s[0:1], 0x4c
	s_load_b64 s[2:3], s[0:1], 0x38
	v_bfe_u32 v2, v0, 10, 10
	s_waitcnt lgkmcnt(0)
	s_lshr_b32 s4, s4, 16
	s_delay_alu instid0(VALU_DEP_1) | instid1(SALU_CYCLE_1)
	v_mad_u64_u32 v[0:1], null, s15, s4, v[2:3]
	s_delay_alu instid0(VALU_DEP_1)
	v_cmp_gt_i32_e32 vcc_lo, s2, v0
	s_and_saveexec_b32 s2, vcc_lo
	s_cbranch_execz .LBB74_5
; %bb.1:
	s_clause 0x3
	s_load_b32 s2, s[0:1], 0x28
	s_load_b64 s[12:13], s[0:1], 0x30
	s_load_b256 s[4:11], s[0:1], 0x0
	s_load_b64 s[0:1], s[0:1], 0x20
	s_bitcmp1_b32 s3, 0
	s_cselect_b32 s15, -1, 0
	s_ashr_i32 s16, s14, 31
	s_waitcnt lgkmcnt(0)
	v_mad_u64_u32 v[1:2], null, v0, s2, v[0:1]
	s_mul_i32 s2, s14, s13
	s_mul_hi_u32 s3, s14, s12
	s_mul_i32 s13, s16, s12
	s_add_i32 s3, s3, s2
	s_mul_i32 s2, s14, s12
	s_add_i32 s3, s3, s13
	s_delay_alu instid0(VALU_DEP_1)
	v_ashrrev_i32_e32 v2, 31, v1
	s_lshl_b64 s[2:3], s[2:3], 3
	s_mul_i32 s16, s16, s8
	s_add_u32 s2, s10, s2
	s_addc_u32 s3, s11, s3
	v_lshlrev_b64 v[2:3], 3, v[1:2]
	s_lshl_b64 s[0:1], s[0:1], 3
	v_ashrrev_i32_e32 v1, 31, v0
	s_add_u32 s0, s2, s0
	s_addc_u32 s1, s3, s1
	s_delay_alu instid0(VALU_DEP_2)
	v_add_co_u32 v2, vcc_lo, s0, v2
	v_add_co_ci_u32_e32 v3, vcc_lo, s1, v3, vcc_lo
	s_mul_i32 s0, s14, s9
	s_mul_hi_u32 s1, s14, s8
	v_lshlrev_b64 v[0:1], 2, v[0:1]
	global_load_b32 v4, v[2:3], off
	s_add_i32 s1, s1, s0
	s_mul_i32 s0, s14, s8
	s_add_i32 s1, s1, s16
	s_delay_alu instid0(SALU_CYCLE_1) | instskip(NEXT) | instid1(SALU_CYCLE_1)
	s_lshl_b64 s[0:1], s[0:1], 2
	s_add_u32 s2, s4, s0
	s_addc_u32 s3, s5, s1
	s_lshl_b64 s[0:1], s[6:7], 2
	s_delay_alu instid0(SALU_CYCLE_1)
	s_add_u32 s0, s2, s0
	s_addc_u32 s1, s3, s1
	v_add_co_u32 v0, vcc_lo, s0, v0
	v_add_co_ci_u32_e32 v1, vcc_lo, s1, v1, vcc_lo
	s_and_b32 vcc_lo, exec_lo, s15
	s_waitcnt vmcnt(0)
	global_store_b32 v[0:1], v4, off
	s_cbranch_vccnz .LBB74_3
; %bb.2:
	global_load_b32 v5, v[2:3], off offset:4
	s_branch .LBB74_4
.LBB74_3:
	v_dual_mov_b32 v5, 0 :: v_dual_mov_b32 v4, 1.0
.LBB74_4:
	s_waitcnt vmcnt(0)
	global_store_b64 v[2:3], v[4:5], off
.LBB74_5:
	s_nop 0
	s_sendmsg sendmsg(MSG_DEALLOC_VGPRS)
	s_endpgm
	.section	.rodata,"a",@progbits
	.p2align	6, 0x0
	.amdhsa_kernel _ZN9rocsolver6v33100L8set_diagI19rocblas_complex_numIfEifPS3_TnNSt9enable_ifIXaa18rocblas_is_complexIT_Ent18rocblas_is_complexIT1_EEiE4typeELi0EEEvPS7_llT2_lT0_lSC_b
		.amdhsa_group_segment_fixed_size 0
		.amdhsa_private_segment_fixed_size 0
		.amdhsa_kernarg_size 320
		.amdhsa_user_sgpr_count 14
		.amdhsa_user_sgpr_dispatch_ptr 0
		.amdhsa_user_sgpr_queue_ptr 0
		.amdhsa_user_sgpr_kernarg_segment_ptr 1
		.amdhsa_user_sgpr_dispatch_id 0
		.amdhsa_user_sgpr_private_segment_size 0
		.amdhsa_wavefront_size32 1
		.amdhsa_uses_dynamic_stack 0
		.amdhsa_enable_private_segment 0
		.amdhsa_system_sgpr_workgroup_id_x 1
		.amdhsa_system_sgpr_workgroup_id_y 1
		.amdhsa_system_sgpr_workgroup_id_z 0
		.amdhsa_system_sgpr_workgroup_info 0
		.amdhsa_system_vgpr_workitem_id 1
		.amdhsa_next_free_vgpr 6
		.amdhsa_next_free_sgpr 17
		.amdhsa_reserve_vcc 1
		.amdhsa_float_round_mode_32 0
		.amdhsa_float_round_mode_16_64 0
		.amdhsa_float_denorm_mode_32 3
		.amdhsa_float_denorm_mode_16_64 3
		.amdhsa_dx10_clamp 1
		.amdhsa_ieee_mode 1
		.amdhsa_fp16_overflow 0
		.amdhsa_workgroup_processor_mode 1
		.amdhsa_memory_ordered 1
		.amdhsa_forward_progress 0
		.amdhsa_shared_vgpr_count 0
		.amdhsa_exception_fp_ieee_invalid_op 0
		.amdhsa_exception_fp_denorm_src 0
		.amdhsa_exception_fp_ieee_div_zero 0
		.amdhsa_exception_fp_ieee_overflow 0
		.amdhsa_exception_fp_ieee_underflow 0
		.amdhsa_exception_fp_ieee_inexact 0
		.amdhsa_exception_int_div_zero 0
	.end_amdhsa_kernel
	.section	.text._ZN9rocsolver6v33100L8set_diagI19rocblas_complex_numIfEifPS3_TnNSt9enable_ifIXaa18rocblas_is_complexIT_Ent18rocblas_is_complexIT1_EEiE4typeELi0EEEvPS7_llT2_lT0_lSC_b,"axG",@progbits,_ZN9rocsolver6v33100L8set_diagI19rocblas_complex_numIfEifPS3_TnNSt9enable_ifIXaa18rocblas_is_complexIT_Ent18rocblas_is_complexIT1_EEiE4typeELi0EEEvPS7_llT2_lT0_lSC_b,comdat
.Lfunc_end74:
	.size	_ZN9rocsolver6v33100L8set_diagI19rocblas_complex_numIfEifPS3_TnNSt9enable_ifIXaa18rocblas_is_complexIT_Ent18rocblas_is_complexIT1_EEiE4typeELi0EEEvPS7_llT2_lT0_lSC_b, .Lfunc_end74-_ZN9rocsolver6v33100L8set_diagI19rocblas_complex_numIfEifPS3_TnNSt9enable_ifIXaa18rocblas_is_complexIT_Ent18rocblas_is_complexIT1_EEiE4typeELi0EEEvPS7_llT2_lT0_lSC_b
                                        ; -- End function
	.section	.AMDGPU.csdata,"",@progbits
; Kernel info:
; codeLenInByte = 356
; NumSgprs: 19
; NumVgprs: 6
; ScratchSize: 0
; MemoryBound: 0
; FloatMode: 240
; IeeeMode: 1
; LDSByteSize: 0 bytes/workgroup (compile time only)
; SGPRBlocks: 2
; VGPRBlocks: 0
; NumSGPRsForWavesPerEU: 19
; NumVGPRsForWavesPerEU: 6
; Occupancy: 16
; WaveLimiterHint : 0
; COMPUTE_PGM_RSRC2:SCRATCH_EN: 0
; COMPUTE_PGM_RSRC2:USER_SGPR: 14
; COMPUTE_PGM_RSRC2:TRAP_HANDLER: 0
; COMPUTE_PGM_RSRC2:TGID_X_EN: 1
; COMPUTE_PGM_RSRC2:TGID_Y_EN: 1
; COMPUTE_PGM_RSRC2:TGID_Z_EN: 0
; COMPUTE_PGM_RSRC2:TIDIG_COMP_CNT: 1
	.section	.text._ZN9rocsolver6v33100L11set_taubetaI19rocblas_complex_numIfEifPS3_EEvPT_lS6_T2_llPT1_ll,"axG",@progbits,_ZN9rocsolver6v33100L11set_taubetaI19rocblas_complex_numIfEifPS3_EEvPT_lS6_T2_llPT1_ll,comdat
	.globl	_ZN9rocsolver6v33100L11set_taubetaI19rocblas_complex_numIfEifPS3_EEvPT_lS6_T2_llPT1_ll ; -- Begin function _ZN9rocsolver6v33100L11set_taubetaI19rocblas_complex_numIfEifPS3_EEvPT_lS6_T2_llPT1_ll
	.p2align	8
	.type	_ZN9rocsolver6v33100L11set_taubetaI19rocblas_complex_numIfEifPS3_EEvPT_lS6_T2_llPT1_ll,@function
_ZN9rocsolver6v33100L11set_taubetaI19rocblas_complex_numIfEifPS3_EEvPT_lS6_T2_llPT1_ll: ; @_ZN9rocsolver6v33100L11set_taubetaI19rocblas_complex_numIfEifPS3_EEvPT_lS6_T2_llPT1_ll
; %bb.0:
	s_mov_b32 s2, s15
	s_load_b512 s[4:19], s[0:1], 0x0
	s_ashr_i32 s3, s2, 31
	s_mov_b64 s[20:21], 0
	s_waitcnt lgkmcnt(0)
	s_cmp_eq_u64 s[16:17], 0
	s_cbranch_scc1 .LBB75_2
; %bb.1:
	s_load_b64 s[0:1], s[0:1], 0x40
	s_waitcnt lgkmcnt(0)
	s_mul_i32 s1, s2, s1
	s_mul_hi_u32 s20, s2, s0
	s_mul_i32 s21, s3, s0
	s_add_i32 s1, s20, s1
	s_mul_i32 s0, s2, s0
	s_add_i32 s1, s1, s21
	s_delay_alu instid0(SALU_CYCLE_1) | instskip(NEXT) | instid1(SALU_CYCLE_1)
	s_lshl_b64 s[0:1], s[0:1], 2
	s_add_u32 s16, s16, s0
	s_addc_u32 s17, s17, s1
	s_lshl_b64 s[0:1], s[18:19], 2
	s_delay_alu instid0(SALU_CYCLE_1)
	s_add_u32 s20, s16, s0
	s_addc_u32 s21, s17, s1
.LBB75_2:
	s_mul_i32 s0, s2, s15
	s_mul_hi_u32 s1, s2, s14
	s_mul_i32 s15, s3, s14
	s_add_i32 s1, s1, s0
	s_mul_i32 s0, s2, s14
	s_add_i32 s1, s1, s15
	s_mul_i32 s7, s2, s7
	s_lshl_b64 s[0:1], s[0:1], 3
	s_delay_alu instid0(SALU_CYCLE_1) | instskip(SKIP_2) | instid1(SALU_CYCLE_1)
	s_add_u32 s10, s10, s0
	s_addc_u32 s11, s11, s1
	s_lshl_b64 s[0:1], s[12:13], 3
	s_add_u32 s10, s10, s0
	s_mul_hi_u32 s0, s2, s6
	s_addc_u32 s11, s11, s1
	s_add_i32 s0, s0, s7
	s_mul_i32 s1, s3, s6
	s_delay_alu instid0(SALU_CYCLE_1) | instskip(SKIP_1) | instid1(SALU_CYCLE_1)
	s_add_i32 s1, s0, s1
	s_mul_i32 s0, s2, s6
	s_lshl_b64 s[0:1], s[0:1], 3
	s_delay_alu instid0(SALU_CYCLE_1)
	s_add_u32 s4, s4, s0
	s_addc_u32 s5, s5, s1
	s_lshl_b64 s[0:1], s[2:3], 3
	s_mov_b32 s2, -1
	s_add_u32 s6, s8, s0
	s_addc_u32 s7, s9, s1
	s_load_b32 s3, s[10:11], 0x4
	s_load_b32 s0, s[6:7], 0x0
	s_cmp_lg_u64 s[20:21], 0
	s_mov_b32 s1, 0
	s_cselect_b32 s8, -1, 0
	s_waitcnt lgkmcnt(0)
	v_mul_f32_e64 v2, s3, s3
	v_max_f32_e64 v0, s0, s0
	s_delay_alu instid0(VALU_DEP_1) | instskip(NEXT) | instid1(VALU_DEP_1)
	v_max_f32_e32 v0, v0, v2
	v_cmp_nlt_f32_e32 vcc_lo, 0, v0
	s_cbranch_vccz .LBB75_5
; %bb.3:
	v_dual_mov_b32 v1, 0 :: v_dual_mov_b32 v0, 1.0
	s_mov_b32 s2, 0
	s_and_b32 vcc_lo, exec_lo, s8
	s_delay_alu instid0(VALU_DEP_1)
	v_mov_b32_e32 v3, v1
	v_mov_b32_e32 v4, v1
	s_clause 0x1
	global_store_b64 v1, v[0:1], s[6:7]
	global_store_b64 v1, v[3:4], s[4:5]
	s_cbranch_vccz .LBB75_5
; %bb.4:
	global_load_b32 v5, v1, s[10:11]
	v_dual_mov_b32 v3, s20 :: v_dual_mov_b32 v4, s21
	s_mov_b32 s1, -1
	s_waitcnt vmcnt(0)
	flat_store_b32 v[3:4], v5
	global_store_b32 v1, v0, s[10:11]
.LBB75_5:
	s_and_b32 vcc_lo, exec_lo, s2
	s_cbranch_vccnz .LBB75_8
; %bb.6:
	s_and_not1_b32 vcc_lo, exec_lo, s1
	s_cbranch_vccz .LBB75_13
; %bb.7:
	s_endpgm
.LBB75_8:
	s_load_b32 s1, s[10:11], 0x0
	s_waitcnt lgkmcnt(0)
	v_fma_f32 v0, s1, s1, v2
	s_delay_alu instid0(VALU_DEP_1) | instskip(NEXT) | instid1(VALU_DEP_1)
	v_add_f32_e32 v0, s0, v0
	v_mul_f32_e32 v1, 0x4f800000, v0
	v_cmp_gt_f32_e32 vcc_lo, 0xf800000, v0
	s_delay_alu instid0(VALU_DEP_2) | instskip(NEXT) | instid1(VALU_DEP_1)
	v_cndmask_b32_e32 v0, v0, v1, vcc_lo
	v_sqrt_f32_e32 v1, v0
	s_waitcnt_depctr 0xfff
	v_add_nc_u32_e32 v3, -1, v1
	v_add_nc_u32_e32 v4, 1, v1
	s_delay_alu instid0(VALU_DEP_2) | instskip(NEXT) | instid1(VALU_DEP_2)
	v_fma_f32 v5, -v3, v1, v0
	v_fma_f32 v6, -v4, v1, v0
	s_delay_alu instid0(VALU_DEP_2) | instskip(NEXT) | instid1(VALU_DEP_1)
	v_cmp_ge_f32_e64 s0, 0, v5
	v_cndmask_b32_e64 v1, v1, v3, s0
	s_delay_alu instid0(VALU_DEP_3) | instskip(NEXT) | instid1(VALU_DEP_1)
	v_cmp_lt_f32_e64 s0, 0, v6
	v_cndmask_b32_e64 v1, v1, v4, s0
	v_cmp_ge_f32_e64 s0, s1, 0
	s_delay_alu instid0(VALU_DEP_2) | instskip(NEXT) | instid1(VALU_DEP_1)
	v_mul_f32_e32 v3, 0x37800000, v1
	v_cndmask_b32_e32 v1, v1, v3, vcc_lo
	v_cmp_class_f32_e64 vcc_lo, v0, 0x260
	s_delay_alu instid0(VALU_DEP_2) | instskip(NEXT) | instid1(VALU_DEP_1)
	v_cndmask_b32_e32 v0, v1, v0, vcc_lo
	v_cndmask_b32_e64 v0, v0, -v0, s0
	s_delay_alu instid0(VALU_DEP_1) | instskip(SKIP_2) | instid1(VALU_DEP_3)
	v_sub_f32_e32 v3, s1, v0
	v_div_scale_f32 v1, null, v0, v0, -s3
	v_div_scale_f32 v12, s0, -s3, v0, -s3
	v_fmac_f32_e32 v2, v3, v3
	s_delay_alu instid0(VALU_DEP_3) | instskip(NEXT) | instid1(VALU_DEP_1)
	v_rcp_f32_e32 v8, v1
	v_div_scale_f32 v6, null, v2, v2, v3
	v_div_scale_f32 v7, null, v2, v2, -s3
	v_div_scale_f32 v14, vcc_lo, v3, v2, v3
	s_delay_alu instid0(VALU_DEP_3) | instskip(NEXT) | instid1(VALU_DEP_2)
	v_rcp_f32_e32 v10, v6
	v_rcp_f32_e32 v11, v7
	s_delay_alu instid0(TRANS32_DEP_3)
	v_fma_f32 v15, -v1, v8, 1.0
	v_div_scale_f32 v19, s2, -s3, v2, -s3
	s_waitcnt_depctr 0xfff
	v_fma_f32 v17, -v6, v10, 1.0
	v_subrev_f32_e32 v5, s1, v0
	v_fma_f32 v18, -v7, v11, 1.0
	s_delay_alu instid0(VALU_DEP_3) | instskip(NEXT) | instid1(VALU_DEP_3)
	v_fmac_f32_e32 v10, v17, v10
	v_div_scale_f32 v4, null, v0, v0, v5
	v_div_scale_f32 v13, s1, v5, v0, v5
	s_delay_alu instid0(VALU_DEP_2) | instskip(SKIP_2) | instid1(VALU_DEP_1)
	v_rcp_f32_e32 v9, v4
	s_waitcnt_depctr 0xfff
	v_fma_f32 v16, -v4, v9, 1.0
	v_dual_fmac_f32 v8, v15, v8 :: v_dual_fmac_f32 v9, v16, v9
	s_delay_alu instid0(VALU_DEP_1) | instskip(NEXT) | instid1(VALU_DEP_1)
	v_dual_mul_f32 v15, v12, v8 :: v_dual_mul_f32 v16, v14, v10
	v_fma_f32 v20, -v1, v15, v12
	s_delay_alu instid0(VALU_DEP_2) | instskip(NEXT) | instid1(VALU_DEP_1)
	v_fma_f32 v21, -v6, v16, v14
	v_dual_fmac_f32 v11, v18, v11 :: v_dual_fmac_f32 v16, v21, v10
	s_delay_alu instid0(VALU_DEP_1) | instskip(NEXT) | instid1(VALU_DEP_2)
	v_dual_mul_f32 v17, v13, v9 :: v_dual_mul_f32 v18, v19, v11
	v_fma_f32 v6, -v6, v16, v14
	s_delay_alu instid0(VALU_DEP_2) | instskip(NEXT) | instid1(VALU_DEP_3)
	v_fma_f32 v22, -v4, v17, v13
	v_fma_f32 v23, -v7, v18, v19
	v_fmac_f32_e32 v15, v20, v8
	s_delay_alu instid0(VALU_DEP_4) | instskip(NEXT) | instid1(VALU_DEP_3)
	v_div_fmas_f32 v6, v6, v10, v16
	v_dual_fmac_f32 v17, v22, v9 :: v_dual_fmac_f32 v18, v23, v11
	s_mov_b32 vcc_lo, s2
	s_delay_alu instid0(VALU_DEP_3) | instskip(NEXT) | instid1(VALU_DEP_3)
	v_fma_f32 v1, -v1, v15, v12
	v_div_fixup_f32 v3, v6, v2, v3
	s_delay_alu instid0(VALU_DEP_3) | instskip(SKIP_1) | instid1(VALU_DEP_1)
	v_fma_f32 v4, -v4, v17, v13
	v_fma_f32 v7, -v7, v18, v19
	v_div_fmas_f32 v7, v7, v11, v18
	s_mov_b32 vcc_lo, s1
	s_delay_alu instid0(VALU_DEP_3) | instskip(SKIP_1) | instid1(VALU_DEP_2)
	v_div_fmas_f32 v9, v4, v9, v17
	s_mov_b32 vcc_lo, s0
	v_div_fixup_f32 v4, v7, v2, -s3
	v_div_fmas_f32 v8, v1, v8, v15
	v_mov_b32_e32 v1, 0
	v_div_fixup_f32 v5, v9, v0, v5
	s_mov_b32 s0, -1
	s_and_b32 vcc_lo, exec_lo, s8
	v_div_fixup_f32 v6, v8, v0, -s3
	s_clause 0x1
	global_store_b64 v1, v[3:4], s[6:7]
	global_store_b64 v1, v[5:6], s[4:5]
	s_cbranch_vccz .LBB75_10
; %bb.9:
	v_dual_mov_b32 v2, s20 :: v_dual_mov_b32 v3, s21
	v_mov_b32_e32 v4, 1.0
	s_mov_b32 s0, 0
	flat_store_b32 v[2:3], v0
	s_waitcnt lgkmcnt(0)
	global_store_b32 v1, v4, s[10:11]
.LBB75_10:
	s_and_not1_b32 vcc_lo, exec_lo, s0
	s_cbranch_vccnz .LBB75_12
; %bb.11:
	v_mov_b32_e32 v1, 0
	global_store_b32 v1, v0, s[10:11]
.LBB75_12:
.LBB75_13:
	v_mov_b32_e32 v0, 0
	global_store_b32 v0, v0, s[10:11] offset:4
	s_endpgm
	.section	.rodata,"a",@progbits
	.p2align	6, 0x0
	.amdhsa_kernel _ZN9rocsolver6v33100L11set_taubetaI19rocblas_complex_numIfEifPS3_EEvPT_lS6_T2_llPT1_ll
		.amdhsa_group_segment_fixed_size 0
		.amdhsa_private_segment_fixed_size 0
		.amdhsa_kernarg_size 72
		.amdhsa_user_sgpr_count 15
		.amdhsa_user_sgpr_dispatch_ptr 0
		.amdhsa_user_sgpr_queue_ptr 0
		.amdhsa_user_sgpr_kernarg_segment_ptr 1
		.amdhsa_user_sgpr_dispatch_id 0
		.amdhsa_user_sgpr_private_segment_size 0
		.amdhsa_wavefront_size32 1
		.amdhsa_uses_dynamic_stack 0
		.amdhsa_enable_private_segment 0
		.amdhsa_system_sgpr_workgroup_id_x 1
		.amdhsa_system_sgpr_workgroup_id_y 0
		.amdhsa_system_sgpr_workgroup_id_z 0
		.amdhsa_system_sgpr_workgroup_info 0
		.amdhsa_system_vgpr_workitem_id 0
		.amdhsa_next_free_vgpr 24
		.amdhsa_next_free_sgpr 22
		.amdhsa_reserve_vcc 1
		.amdhsa_float_round_mode_32 0
		.amdhsa_float_round_mode_16_64 0
		.amdhsa_float_denorm_mode_32 3
		.amdhsa_float_denorm_mode_16_64 3
		.amdhsa_dx10_clamp 1
		.amdhsa_ieee_mode 1
		.amdhsa_fp16_overflow 0
		.amdhsa_workgroup_processor_mode 1
		.amdhsa_memory_ordered 1
		.amdhsa_forward_progress 0
		.amdhsa_shared_vgpr_count 0
		.amdhsa_exception_fp_ieee_invalid_op 0
		.amdhsa_exception_fp_denorm_src 0
		.amdhsa_exception_fp_ieee_div_zero 0
		.amdhsa_exception_fp_ieee_overflow 0
		.amdhsa_exception_fp_ieee_underflow 0
		.amdhsa_exception_fp_ieee_inexact 0
		.amdhsa_exception_int_div_zero 0
	.end_amdhsa_kernel
	.section	.text._ZN9rocsolver6v33100L11set_taubetaI19rocblas_complex_numIfEifPS3_EEvPT_lS6_T2_llPT1_ll,"axG",@progbits,_ZN9rocsolver6v33100L11set_taubetaI19rocblas_complex_numIfEifPS3_EEvPT_lS6_T2_llPT1_ll,comdat
.Lfunc_end75:
	.size	_ZN9rocsolver6v33100L11set_taubetaI19rocblas_complex_numIfEifPS3_EEvPT_lS6_T2_llPT1_ll, .Lfunc_end75-_ZN9rocsolver6v33100L11set_taubetaI19rocblas_complex_numIfEifPS3_EEvPT_lS6_T2_llPT1_ll
                                        ; -- End function
	.section	.AMDGPU.csdata,"",@progbits
; Kernel info:
; codeLenInByte = 1052
; NumSgprs: 24
; NumVgprs: 24
; ScratchSize: 0
; MemoryBound: 0
; FloatMode: 240
; IeeeMode: 1
; LDSByteSize: 0 bytes/workgroup (compile time only)
; SGPRBlocks: 2
; VGPRBlocks: 2
; NumSGPRsForWavesPerEU: 24
; NumVGPRsForWavesPerEU: 24
; Occupancy: 16
; WaveLimiterHint : 0
; COMPUTE_PGM_RSRC2:SCRATCH_EN: 0
; COMPUTE_PGM_RSRC2:USER_SGPR: 15
; COMPUTE_PGM_RSRC2:TRAP_HANDLER: 0
; COMPUTE_PGM_RSRC2:TGID_X_EN: 1
; COMPUTE_PGM_RSRC2:TGID_Y_EN: 0
; COMPUTE_PGM_RSRC2:TGID_Z_EN: 0
; COMPUTE_PGM_RSRC2:TIDIG_COMP_CNT: 0
	.section	.text._ZN9rocsolver6v33100L13conj_in_placeI19rocblas_complex_numIfEiPS3_TnNSt9enable_ifIX18rocblas_is_complexIT_EEiE4typeELi0EEEvT0_S9_T1_lS9_l,"axG",@progbits,_ZN9rocsolver6v33100L13conj_in_placeI19rocblas_complex_numIfEiPS3_TnNSt9enable_ifIX18rocblas_is_complexIT_EEiE4typeELi0EEEvT0_S9_T1_lS9_l,comdat
	.globl	_ZN9rocsolver6v33100L13conj_in_placeI19rocblas_complex_numIfEiPS3_TnNSt9enable_ifIX18rocblas_is_complexIT_EEiE4typeELi0EEEvT0_S9_T1_lS9_l ; -- Begin function _ZN9rocsolver6v33100L13conj_in_placeI19rocblas_complex_numIfEiPS3_TnNSt9enable_ifIX18rocblas_is_complexIT_EEiE4typeELi0EEEvT0_S9_T1_lS9_l
	.p2align	8
	.type	_ZN9rocsolver6v33100L13conj_in_placeI19rocblas_complex_numIfEiPS3_TnNSt9enable_ifIX18rocblas_is_complexIT_EEiE4typeELi0EEEvT0_S9_T1_lS9_l,@function
_ZN9rocsolver6v33100L13conj_in_placeI19rocblas_complex_numIfEiPS3_TnNSt9enable_ifIX18rocblas_is_complexIT_EEiE4typeELi0EEEvT0_S9_T1_lS9_l: ; @_ZN9rocsolver6v33100L13conj_in_placeI19rocblas_complex_numIfEiPS3_TnNSt9enable_ifIX18rocblas_is_complexIT_EEiE4typeELi0EEEvT0_S9_T1_lS9_l
; %bb.0:
	s_clause 0x1
	s_load_b32 s4, s[0:1], 0x34
	s_load_b64 s[2:3], s[0:1], 0x0
	v_and_b32_e32 v2, 0x3ff, v0
	v_bfe_u32 v3, v0, 10, 10
	s_waitcnt lgkmcnt(0)
	s_lshr_b32 s5, s4, 16
	s_and_b32 s4, s4, 0xffff
	s_delay_alu instid0(VALU_DEP_1) | instid1(SALU_CYCLE_1)
	v_mad_u64_u32 v[0:1], null, s13, s4, v[2:3]
	v_mad_u64_u32 v[1:2], null, s14, s5, v[3:4]
	s_delay_alu instid0(VALU_DEP_2) | instskip(NEXT) | instid1(VALU_DEP_2)
	v_cmp_gt_i32_e32 vcc_lo, s2, v0
	v_cmp_gt_i32_e64 s2, s3, v1
	s_delay_alu instid0(VALU_DEP_1) | instskip(NEXT) | instid1(SALU_CYCLE_1)
	s_and_b32 s2, vcc_lo, s2
	s_and_saveexec_b32 s3, s2
	s_cbranch_execz .LBB76_2
; %bb.1:
	s_clause 0x2
	s_load_b64 s[4:5], s[0:1], 0x20
	s_load_b32 s6, s[0:1], 0x18
	s_load_b128 s[0:3], s[0:1], 0x8
	s_ashr_i32 s7, s15, 31
	s_waitcnt lgkmcnt(0)
	s_mul_i32 s5, s15, s5
	v_mad_i64_i32 v[2:3], null, v1, s6, 0
	s_mul_hi_u32 s8, s15, s4
	s_mul_i32 s7, s7, s4
	s_add_i32 s5, s8, s5
	s_mul_i32 s4, s15, s4
	s_add_i32 s5, s5, s7
	v_ashrrev_i32_e32 v1, 31, v0
	s_lshl_b64 s[4:5], s[4:5], 3
	v_lshlrev_b64 v[3:4], 3, v[2:3]
	s_add_u32 s4, s0, s4
	s_addc_u32 s5, s1, s5
	s_lshl_b64 s[0:1], s[2:3], 3
	v_lshlrev_b64 v[5:6], 3, v[0:1]
	s_add_u32 s0, s4, s0
	s_addc_u32 s1, s5, s1
	v_add_co_u32 v1, vcc_lo, s0, v3
	v_add_co_ci_u32_e32 v4, vcc_lo, s1, v4, vcc_lo
	v_add_nc_u32_e32 v0, v2, v0
	s_delay_alu instid0(VALU_DEP_3) | instskip(NEXT) | instid1(VALU_DEP_3)
	v_add_co_u32 v3, vcc_lo, v1, v5
	v_add_co_ci_u32_e32 v4, vcc_lo, v4, v6, vcc_lo
	s_delay_alu instid0(VALU_DEP_3) | instskip(SKIP_2) | instid1(VALU_DEP_1)
	v_ashrrev_i32_e32 v1, 31, v0
	global_load_b64 v[3:4], v[3:4], off
	v_lshlrev_b64 v[0:1], 3, v[0:1]
	v_add_co_u32 v0, vcc_lo, s0, v0
	s_delay_alu instid0(VALU_DEP_2)
	v_add_co_ci_u32_e32 v1, vcc_lo, s1, v1, vcc_lo
	s_waitcnt vmcnt(0)
	v_xor_b32_e32 v4, 0x80000000, v4
	global_store_b64 v[0:1], v[3:4], off
.LBB76_2:
	s_nop 0
	s_sendmsg sendmsg(MSG_DEALLOC_VGPRS)
	s_endpgm
	.section	.rodata,"a",@progbits
	.p2align	6, 0x0
	.amdhsa_kernel _ZN9rocsolver6v33100L13conj_in_placeI19rocblas_complex_numIfEiPS3_TnNSt9enable_ifIX18rocblas_is_complexIT_EEiE4typeELi0EEEvT0_S9_T1_lS9_l
		.amdhsa_group_segment_fixed_size 0
		.amdhsa_private_segment_fixed_size 0
		.amdhsa_kernarg_size 296
		.amdhsa_user_sgpr_count 13
		.amdhsa_user_sgpr_dispatch_ptr 0
		.amdhsa_user_sgpr_queue_ptr 0
		.amdhsa_user_sgpr_kernarg_segment_ptr 1
		.amdhsa_user_sgpr_dispatch_id 0
		.amdhsa_user_sgpr_private_segment_size 0
		.amdhsa_wavefront_size32 1
		.amdhsa_uses_dynamic_stack 0
		.amdhsa_enable_private_segment 0
		.amdhsa_system_sgpr_workgroup_id_x 1
		.amdhsa_system_sgpr_workgroup_id_y 1
		.amdhsa_system_sgpr_workgroup_id_z 1
		.amdhsa_system_sgpr_workgroup_info 0
		.amdhsa_system_vgpr_workitem_id 1
		.amdhsa_next_free_vgpr 7
		.amdhsa_next_free_sgpr 16
		.amdhsa_reserve_vcc 1
		.amdhsa_float_round_mode_32 0
		.amdhsa_float_round_mode_16_64 0
		.amdhsa_float_denorm_mode_32 3
		.amdhsa_float_denorm_mode_16_64 3
		.amdhsa_dx10_clamp 1
		.amdhsa_ieee_mode 1
		.amdhsa_fp16_overflow 0
		.amdhsa_workgroup_processor_mode 1
		.amdhsa_memory_ordered 1
		.amdhsa_forward_progress 0
		.amdhsa_shared_vgpr_count 0
		.amdhsa_exception_fp_ieee_invalid_op 0
		.amdhsa_exception_fp_denorm_src 0
		.amdhsa_exception_fp_ieee_div_zero 0
		.amdhsa_exception_fp_ieee_overflow 0
		.amdhsa_exception_fp_ieee_underflow 0
		.amdhsa_exception_fp_ieee_inexact 0
		.amdhsa_exception_int_div_zero 0
	.end_amdhsa_kernel
	.section	.text._ZN9rocsolver6v33100L13conj_in_placeI19rocblas_complex_numIfEiPS3_TnNSt9enable_ifIX18rocblas_is_complexIT_EEiE4typeELi0EEEvT0_S9_T1_lS9_l,"axG",@progbits,_ZN9rocsolver6v33100L13conj_in_placeI19rocblas_complex_numIfEiPS3_TnNSt9enable_ifIX18rocblas_is_complexIT_EEiE4typeELi0EEEvT0_S9_T1_lS9_l,comdat
.Lfunc_end76:
	.size	_ZN9rocsolver6v33100L13conj_in_placeI19rocblas_complex_numIfEiPS3_TnNSt9enable_ifIX18rocblas_is_complexIT_EEiE4typeELi0EEEvT0_S9_T1_lS9_l, .Lfunc_end76-_ZN9rocsolver6v33100L13conj_in_placeI19rocblas_complex_numIfEiPS3_TnNSt9enable_ifIX18rocblas_is_complexIT_EEiE4typeELi0EEEvT0_S9_T1_lS9_l
                                        ; -- End function
	.section	.AMDGPU.csdata,"",@progbits
; Kernel info:
; codeLenInByte = 320
; NumSgprs: 18
; NumVgprs: 7
; ScratchSize: 0
; MemoryBound: 0
; FloatMode: 240
; IeeeMode: 1
; LDSByteSize: 0 bytes/workgroup (compile time only)
; SGPRBlocks: 2
; VGPRBlocks: 0
; NumSGPRsForWavesPerEU: 18
; NumVGPRsForWavesPerEU: 7
; Occupancy: 16
; WaveLimiterHint : 0
; COMPUTE_PGM_RSRC2:SCRATCH_EN: 0
; COMPUTE_PGM_RSRC2:USER_SGPR: 13
; COMPUTE_PGM_RSRC2:TRAP_HANDLER: 0
; COMPUTE_PGM_RSRC2:TGID_X_EN: 1
; COMPUTE_PGM_RSRC2:TGID_Y_EN: 1
; COMPUTE_PGM_RSRC2:TGID_Z_EN: 1
; COMPUTE_PGM_RSRC2:TIDIG_COMP_CNT: 1
	.section	.text._ZN9rocsolver6v33100L16larf_left_kernelILi1024E19rocblas_complex_numIfEiPS3_EEvT1_S5_T2_lS5_lPKT0_lS6_lS5_l,"axG",@progbits,_ZN9rocsolver6v33100L16larf_left_kernelILi1024E19rocblas_complex_numIfEiPS3_EEvT1_S5_T2_lS5_lPKT0_lS6_lS5_l,comdat
	.globl	_ZN9rocsolver6v33100L16larf_left_kernelILi1024E19rocblas_complex_numIfEiPS3_EEvT1_S5_T2_lS5_lPKT0_lS6_lS5_l ; -- Begin function _ZN9rocsolver6v33100L16larf_left_kernelILi1024E19rocblas_complex_numIfEiPS3_EEvT1_S5_T2_lS5_lPKT0_lS6_lS5_l
	.p2align	8
	.type	_ZN9rocsolver6v33100L16larf_left_kernelILi1024E19rocblas_complex_numIfEiPS3_EEvT1_S5_T2_lS5_lPKT0_lS6_lS5_l,@function
_ZN9rocsolver6v33100L16larf_left_kernelILi1024E19rocblas_complex_numIfEiPS3_EEvT1_S5_T2_lS5_lPKT0_lS6_lS5_l: ; @_ZN9rocsolver6v33100L16larf_left_kernelILi1024E19rocblas_complex_numIfEiPS3_EEvT1_S5_T2_lS5_lPKT0_lS6_lS5_l
; %bb.0:
	s_clause 0x4
	s_load_b32 s20, s[0:1], 0x0
	s_load_b64 s[2:3], s[0:1], 0x50
	s_load_b32 s18, s[0:1], 0x48
	s_load_b64 s[12:13], s[0:1], 0x40
	s_load_b256 s[4:11], s[0:1], 0x20
	v_dual_mov_b32 v5, 0 :: v_dual_mov_b32 v6, 0
	v_lshlrev_b32_e32 v3, 3, v0
	s_ashr_i32 s24, s15, 31
	s_mov_b32 s17, 0
	s_waitcnt lgkmcnt(0)
	v_cmp_gt_i32_e32 vcc_lo, s20, v0
	s_mul_i32 s21, s2, s24
	s_mul_hi_u32 s22, s2, s15
	s_mul_i32 s23, s3, s15
	s_mul_i32 s16, s2, s15
	s_mul_hi_i32 s19, s14, s18
	s_mul_i32 s18, s14, s18
	s_and_saveexec_b32 s14, vcc_lo
	s_cbranch_execz .LBB77_6
; %bb.1:
	s_clause 0x1
	s_load_b32 s26, s[0:1], 0x18
	s_load_b128 s[0:3], s[0:1], 0x8
	s_sub_i32 s25, 1, s20
	s_mul_i32 s29, s4, s24
	s_mul_hi_u32 s30, s4, s15
	s_mul_i32 s5, s5, s15
	s_mul_i32 s4, s4, s15
	v_add3_u32 v4, v3, 0, 0x100
	v_mov_b32_e32 v6, v0
	s_delay_alu instid0(VALU_DEP_2)
	v_mov_b32_e32 v5, v4
	s_waitcnt lgkmcnt(0)
	s_ashr_i32 s27, s26, 31
	v_mad_i64_i32 v[1:2], null, s26, v0, 0
	v_cmp_lt_i64_e64 s28, s[26:27], 1
	s_mul_i32 s25, s25, s26
	s_delay_alu instid0(VALU_DEP_1)
	s_and_b32 s28, s28, exec_lo
	s_cselect_b32 s28, s25, 0
	s_add_i32 s25, s30, s29
	s_ashr_i32 s29, s28, 31
	s_add_i32 s5, s25, s5
	s_lshl_b64 s[28:29], s[28:29], 3
	s_lshl_b64 s[2:3], s[2:3], 3
	;; [unrolled: 1-line block ×3, first 2 shown]
	v_lshlrev_b64 v[1:2], 3, v[1:2]
	s_add_u32 s0, s0, s28
	s_addc_u32 s1, s1, s29
	s_add_u32 s0, s0, s2
	s_addc_u32 s1, s1, s3
	;; [unrolled: 2-line block ×3, first 2 shown]
	v_add_co_u32 v1, s0, s0, v1
	s_delay_alu instid0(VALU_DEP_1)
	v_add_co_ci_u32_e64 v2, s0, s1, v2, s0
	s_lshl_b64 s[2:3], s[26:27], 13
	.p2align	6
.LBB77_2:                               ; =>This Inner Loop Header: Depth=1
	global_load_b64 v[7:8], v[1:2], off
	v_add_nc_u32_e32 v6, 0x400, v6
	v_add_co_u32 v1, s0, v1, s2
	s_delay_alu instid0(VALU_DEP_1) | instskip(NEXT) | instid1(VALU_DEP_3)
	v_add_co_ci_u32_e64 v2, s0, s3, v2, s0
	v_cmp_le_i32_e64 s1, s20, v6
	s_delay_alu instid0(VALU_DEP_1)
	s_or_b32 s17, s1, s17
	s_waitcnt vmcnt(0)
	ds_store_b64 v5, v[7:8]
	v_add_nc_u32_e32 v5, 0x2000, v5
	s_and_not1_b32 exec_lo, exec_lo, s17
	s_cbranch_execnz .LBB77_2
; %bb.3:
	s_or_b32 exec_lo, exec_lo, s17
	s_add_i32 s0, s22, s21
	v_dual_mov_b32 v6, 0 :: v_dual_lshlrev_b32 v1, 3, v0
	s_add_i32 s17, s0, s23
	s_lshl_b64 s[0:1], s[18:19], 3
	s_lshl_b64 s[2:3], s[16:17], 3
	v_mov_b32_e32 v5, 0
	s_add_u32 s2, s2, s0
	s_addc_u32 s3, s3, s1
	s_lshl_b64 s[0:1], s[12:13], 3
	v_mov_b32_e32 v7, v0
	s_add_u32 s0, s2, s0
	s_addc_u32 s1, s3, s1
	s_add_u32 s0, s10, s0
	s_addc_u32 s1, s11, s1
	v_add_co_u32 v1, s0, s0, v1
	s_delay_alu instid0(VALU_DEP_1) | instskip(SKIP_1) | instid1(VALU_DEP_2)
	v_add_co_ci_u32_e64 v2, null, s1, 0, s0
	s_mov_b32 s2, 0
	v_add_co_u32 v1, s0, v1, 4
	s_delay_alu instid0(VALU_DEP_1)
	v_add_co_ci_u32_e64 v2, s0, 0, v2, s0
	.p2align	6
.LBB77_4:                               ; =>This Inner Loop Header: Depth=1
	global_load_b64 v[8:9], v[1:2], off offset:-4
	ds_load_b64 v[10:11], v4
	v_add_co_u32 v1, s0, 0x2000, v1
	s_delay_alu instid0(VALU_DEP_1) | instskip(SKIP_4) | instid1(VALU_DEP_2)
	v_add_co_ci_u32_e64 v2, s0, 0, v2, s0
	v_add_nc_u32_e32 v4, 0x2000, v4
	s_waitcnt vmcnt(0) lgkmcnt(0)
	v_mul_f32_e32 v12, v9, v11
	v_mul_f32_e32 v9, v9, v10
	v_dual_fmac_f32 v12, v8, v10 :: v_dual_add_nc_u32 v7, 0x400, v7
	s_delay_alu instid0(VALU_DEP_2) | instskip(NEXT) | instid1(VALU_DEP_2)
	v_fma_f32 v8, v8, v11, -v9
	v_cmp_le_i32_e64 s1, s20, v7
	s_delay_alu instid0(VALU_DEP_3) | instskip(NEXT) | instid1(VALU_DEP_3)
	v_add_f32_e32 v6, v6, v12
	v_add_f32_e32 v5, v5, v8
	s_delay_alu instid0(VALU_DEP_3) | instskip(NEXT) | instid1(SALU_CYCLE_1)
	s_or_b32 s2, s1, s2
	s_and_not1_b32 exec_lo, exec_lo, s2
	s_cbranch_execnz .LBB77_4
; %bb.5:
	s_or_b32 exec_lo, exec_lo, s2
.LBB77_6:
	s_delay_alu instid0(SALU_CYCLE_1) | instskip(SKIP_2) | instid1(VALU_DEP_1)
	s_or_b32 exec_lo, exec_lo, s14
	v_mbcnt_lo_u32_b32 v1, -1, 0
	s_mov_b32 s1, exec_lo
	v_cmp_ne_u32_e64 s0, 31, v1
	s_delay_alu instid0(VALU_DEP_1) | instskip(SKIP_1) | instid1(VALU_DEP_2)
	v_add_co_ci_u32_e64 v2, s0, 0, v1, s0
	v_cmp_gt_u32_e64 s0, 30, v1
	v_lshlrev_b32_e32 v2, 2, v2
	s_delay_alu instid0(VALU_DEP_2)
	v_cndmask_b32_e64 v7, 0, 1, s0
	v_cmp_gt_u32_e64 s0, 28, v1
	ds_bpermute_b32 v4, v2, v6
	ds_bpermute_b32 v2, v2, v5
	s_waitcnt lgkmcnt(1)
	v_dual_add_f32 v4, v6, v4 :: v_dual_lshlrev_b32 v7, 1, v7
	s_delay_alu instid0(VALU_DEP_1)
	v_add_lshl_u32 v7, v7, v1, 2
	s_waitcnt lgkmcnt(0)
	v_add_f32_e32 v2, v5, v2
	ds_bpermute_b32 v5, v7, v4
	ds_bpermute_b32 v6, v7, v2
	v_cndmask_b32_e64 v7, 0, 1, s0
	v_cmp_gt_u32_e64 s0, 24, v1
	s_delay_alu instid0(VALU_DEP_2) | instskip(NEXT) | instid1(VALU_DEP_1)
	v_lshlrev_b32_e32 v7, 2, v7
	v_add_lshl_u32 v7, v7, v1, 2
	s_waitcnt lgkmcnt(1)
	v_add_f32_e32 v4, v4, v5
	s_waitcnt lgkmcnt(0)
	v_add_f32_e32 v2, v2, v6
	ds_bpermute_b32 v5, v7, v4
	ds_bpermute_b32 v6, v7, v2
	v_cndmask_b32_e64 v7, 0, 1, s0
	v_cmp_gt_u32_e64 s0, 16, v1
	s_delay_alu instid0(VALU_DEP_2) | instskip(NEXT) | instid1(VALU_DEP_1)
	v_lshlrev_b32_e32 v7, 3, v7
	v_add_lshl_u32 v7, v7, v1, 2
	s_waitcnt lgkmcnt(0)
	v_add_f32_e32 v2, v2, v6
	ds_bpermute_b32 v6, v7, v2
	v_add_f32_e32 v4, v4, v5
	ds_bpermute_b32 v5, v7, v4
	v_cndmask_b32_e64 v7, 0, 1, s0
	s_delay_alu instid0(VALU_DEP_1) | instskip(NEXT) | instid1(VALU_DEP_1)
	v_lshlrev_b32_e32 v7, 4, v7
	v_add_lshl_u32 v1, v7, v1, 2
	s_waitcnt lgkmcnt(0)
	v_dual_add_f32 v4, v4, v5 :: v_dual_add_f32 v5, v2, v6
	v_and_b32_e32 v6, 31, v0
	ds_bpermute_b32 v2, v1, v4
	ds_bpermute_b32 v1, v1, v5
	s_waitcnt lgkmcnt(0)
	v_dual_add_f32 v2, v4, v2 :: v_dual_add_f32 v1, v5, v1
	v_cmpx_eq_u32_e32 0, v6
	s_cbranch_execz .LBB77_8
; %bb.7:
	v_lshrrev_b32_e32 v4, 2, v0
	s_delay_alu instid0(VALU_DEP_1)
	v_add_nc_u32_e32 v4, 0, v4
	ds_store_2addr_b32 v4, v2, v1 offset1:1
.LBB77_8:
	s_or_b32 exec_lo, exec_lo, s1
	s_delay_alu instid0(SALU_CYCLE_1)
	s_mov_b32 s1, exec_lo
	s_waitcnt lgkmcnt(0)
	s_barrier
	buffer_gl0_inv
	v_cmpx_eq_u32_e32 0, v0
	s_cbranch_execz .LBB77_10
; %bb.9:
	v_mov_b32_e32 v16, 0
	ds_load_2addr_b64 v[4:7], v16 offset0:1 offset1:2
	ds_load_2addr_b64 v[8:11], v16 offset0:3 offset1:4
	s_waitcnt lgkmcnt(1)
	v_dual_add_f32 v1, v1, v5 :: v_dual_add_f32 v2, v2, v4
	ds_load_2addr_b64 v[12:15], v16 offset0:5 offset1:6
	v_dual_add_f32 v1, v1, v7 :: v_dual_add_f32 v2, v2, v6
	ds_load_2addr_b64 v[4:7], v16 offset0:7 offset1:8
	s_waitcnt lgkmcnt(2)
	v_dual_add_f32 v1, v1, v9 :: v_dual_add_f32 v2, v2, v8
	s_delay_alu instid0(VALU_DEP_1) | instskip(SKIP_3) | instid1(VALU_DEP_1)
	v_dual_add_f32 v1, v1, v11 :: v_dual_add_f32 v2, v2, v10
	ds_load_2addr_b64 v[8:11], v16 offset0:9 offset1:10
	s_waitcnt lgkmcnt(2)
	v_dual_add_f32 v1, v1, v13 :: v_dual_add_f32 v2, v2, v12
	v_dual_add_f32 v1, v1, v15 :: v_dual_add_f32 v2, v2, v14
	ds_load_2addr_b64 v[12:15], v16 offset0:11 offset1:12
	s_waitcnt lgkmcnt(2)
	v_dual_add_f32 v1, v1, v5 :: v_dual_add_f32 v2, v2, v4
	s_delay_alu instid0(VALU_DEP_1) | instskip(SKIP_3) | instid1(VALU_DEP_1)
	v_dual_add_f32 v1, v1, v7 :: v_dual_add_f32 v2, v2, v6
	ds_load_2addr_b64 v[4:7], v16 offset0:13 offset1:14
	s_waitcnt lgkmcnt(2)
	v_dual_add_f32 v1, v1, v9 :: v_dual_add_f32 v2, v2, v8
	;; [unrolled: 9-line block ×6, first 2 shown]
	v_dual_add_f32 v5, v1, v7 :: v_dual_add_f32 v4, v2, v6
	ds_load_b64 v[1:2], v16 offset:248
	s_waitcnt lgkmcnt(2)
	v_dual_add_f32 v5, v5, v9 :: v_dual_add_f32 v4, v4, v8
	s_delay_alu instid0(VALU_DEP_1) | instskip(SKIP_1) | instid1(VALU_DEP_1)
	v_dual_add_f32 v5, v5, v11 :: v_dual_add_f32 v4, v4, v10
	s_waitcnt lgkmcnt(1)
	v_dual_add_f32 v5, v5, v13 :: v_dual_add_f32 v4, v4, v12
	s_delay_alu instid0(VALU_DEP_1) | instskip(SKIP_1) | instid1(VALU_DEP_1)
	v_dual_add_f32 v5, v5, v15 :: v_dual_add_f32 v4, v4, v14
	s_waitcnt lgkmcnt(0)
	v_dual_add_f32 v2, v5, v2 :: v_dual_add_f32 v1, v4, v1
	ds_store_b64 v16, v[1:2]
.LBB77_10:
	s_or_b32 exec_lo, exec_lo, s1
	s_waitcnt lgkmcnt(0)
	s_barrier
	buffer_gl0_inv
	s_and_saveexec_b32 s0, vcc_lo
	s_cbranch_execz .LBB77_13
; %bb.11:
	s_mul_i32 s0, s15, s9
	s_mul_hi_u32 s1, s15, s8
	s_mul_i32 s2, s24, s8
	s_add_i32 s0, s1, s0
	v_mov_b32_e32 v1, 0
	s_add_i32 s1, s0, s2
	s_mul_i32 s0, s15, s8
	v_add3_u32 v4, v3, 0, 0x100
	s_lshl_b64 s[0:1], s[0:1], 3
	ds_load_b64 v[1:2], v1
	s_add_u32 s0, s6, s0
	s_addc_u32 s1, s7, s1
	s_add_i32 s2, s22, s21
	s_load_b64 s[0:1], s[0:1], 0x0
	s_add_i32 s17, s2, s23
	s_lshl_b64 s[2:3], s[18:19], 3
	s_lshl_b64 s[4:5], s[16:17], 3
	s_delay_alu instid0(SALU_CYCLE_1) | instskip(SKIP_2) | instid1(SALU_CYCLE_1)
	s_add_u32 s4, s4, s2
	s_addc_u32 s5, s5, s3
	s_lshl_b64 s[2:3], s[12:13], 3
	s_add_u32 s2, s4, s2
	s_addc_u32 s3, s5, s3
	s_add_u32 s2, s10, s2
	s_addc_u32 s3, s11, s3
	s_waitcnt lgkmcnt(0)
	v_dual_mul_f32 v5, s1, v2 :: v_dual_mul_f32 v6, s1, v1
	v_add_co_u32 v7, s1, s2, v3
	s_delay_alu instid0(VALU_DEP_1) | instskip(NEXT) | instid1(VALU_DEP_3)
	v_add_co_ci_u32_e64 v8, null, s3, 0, s1
	v_fma_f32 v3, v1, -s0, -v5
	s_delay_alu instid0(VALU_DEP_3) | instskip(SKIP_1) | instid1(VALU_DEP_4)
	v_add_co_u32 v1, vcc_lo, v7, 4
	v_fma_f32 v5, s0, v2, -v6
	v_add_co_ci_u32_e32 v2, vcc_lo, 0, v8, vcc_lo
	s_mov_b32 s1, 0
	.p2align	6
.LBB77_12:                              ; =>This Inner Loop Header: Depth=1
	global_load_b64 v[6:7], v[1:2], off offset:-4
	ds_load_b64 v[8:9], v4
	v_add_nc_u32_e32 v0, 0x400, v0
	v_add_nc_u32_e32 v4, 0x2000, v4
	s_delay_alu instid0(VALU_DEP_2) | instskip(SKIP_4) | instid1(VALU_DEP_2)
	v_cmp_le_i32_e32 vcc_lo, s20, v0
	s_or_b32 s1, vcc_lo, s1
	s_waitcnt lgkmcnt(0)
	v_mul_f32_e32 v10, v5, v9
	v_mul_f32_e32 v9, v3, v9
	v_fma_f32 v10, v3, v8, -v10
	s_waitcnt vmcnt(0)
	s_delay_alu instid0(VALU_DEP_1) | instskip(NEXT) | instid1(VALU_DEP_1)
	v_dual_fmac_f32 v9, v5, v8 :: v_dual_add_f32 v6, v6, v10
	v_add_f32_e32 v7, v7, v9
	global_store_b64 v[1:2], v[6:7], off offset:-4
	v_add_co_u32 v1, s0, 0x2000, v1
	s_delay_alu instid0(VALU_DEP_1)
	v_add_co_ci_u32_e64 v2, s0, 0, v2, s0
	s_and_not1_b32 exec_lo, exec_lo, s1
	s_cbranch_execnz .LBB77_12
.LBB77_13:
	s_nop 0
	s_sendmsg sendmsg(MSG_DEALLOC_VGPRS)
	s_endpgm
	.section	.rodata,"a",@progbits
	.p2align	6, 0x0
	.amdhsa_kernel _ZN9rocsolver6v33100L16larf_left_kernelILi1024E19rocblas_complex_numIfEiPS3_EEvT1_S5_T2_lS5_lPKT0_lS6_lS5_l
		.amdhsa_group_segment_fixed_size 0
		.amdhsa_private_segment_fixed_size 0
		.amdhsa_kernarg_size 88
		.amdhsa_user_sgpr_count 13
		.amdhsa_user_sgpr_dispatch_ptr 0
		.amdhsa_user_sgpr_queue_ptr 0
		.amdhsa_user_sgpr_kernarg_segment_ptr 1
		.amdhsa_user_sgpr_dispatch_id 0
		.amdhsa_user_sgpr_private_segment_size 0
		.amdhsa_wavefront_size32 1
		.amdhsa_uses_dynamic_stack 0
		.amdhsa_enable_private_segment 0
		.amdhsa_system_sgpr_workgroup_id_x 1
		.amdhsa_system_sgpr_workgroup_id_y 1
		.amdhsa_system_sgpr_workgroup_id_z 1
		.amdhsa_system_sgpr_workgroup_info 0
		.amdhsa_system_vgpr_workitem_id 0
		.amdhsa_next_free_vgpr 17
		.amdhsa_next_free_sgpr 31
		.amdhsa_reserve_vcc 1
		.amdhsa_float_round_mode_32 0
		.amdhsa_float_round_mode_16_64 0
		.amdhsa_float_denorm_mode_32 3
		.amdhsa_float_denorm_mode_16_64 3
		.amdhsa_dx10_clamp 1
		.amdhsa_ieee_mode 1
		.amdhsa_fp16_overflow 0
		.amdhsa_workgroup_processor_mode 1
		.amdhsa_memory_ordered 1
		.amdhsa_forward_progress 0
		.amdhsa_shared_vgpr_count 0
		.amdhsa_exception_fp_ieee_invalid_op 0
		.amdhsa_exception_fp_denorm_src 0
		.amdhsa_exception_fp_ieee_div_zero 0
		.amdhsa_exception_fp_ieee_overflow 0
		.amdhsa_exception_fp_ieee_underflow 0
		.amdhsa_exception_fp_ieee_inexact 0
		.amdhsa_exception_int_div_zero 0
	.end_amdhsa_kernel
	.section	.text._ZN9rocsolver6v33100L16larf_left_kernelILi1024E19rocblas_complex_numIfEiPS3_EEvT1_S5_T2_lS5_lPKT0_lS6_lS5_l,"axG",@progbits,_ZN9rocsolver6v33100L16larf_left_kernelILi1024E19rocblas_complex_numIfEiPS3_EEvT1_S5_T2_lS5_lPKT0_lS6_lS5_l,comdat
.Lfunc_end77:
	.size	_ZN9rocsolver6v33100L16larf_left_kernelILi1024E19rocblas_complex_numIfEiPS3_EEvT1_S5_T2_lS5_lPKT0_lS6_lS5_l, .Lfunc_end77-_ZN9rocsolver6v33100L16larf_left_kernelILi1024E19rocblas_complex_numIfEiPS3_EEvT1_S5_T2_lS5_lPKT0_lS6_lS5_l
                                        ; -- End function
	.section	.AMDGPU.csdata,"",@progbits
; Kernel info:
; codeLenInByte = 1824
; NumSgprs: 33
; NumVgprs: 17
; ScratchSize: 0
; MemoryBound: 0
; FloatMode: 240
; IeeeMode: 1
; LDSByteSize: 0 bytes/workgroup (compile time only)
; SGPRBlocks: 4
; VGPRBlocks: 2
; NumSGPRsForWavesPerEU: 33
; NumVGPRsForWavesPerEU: 17
; Occupancy: 16
; WaveLimiterHint : 0
; COMPUTE_PGM_RSRC2:SCRATCH_EN: 0
; COMPUTE_PGM_RSRC2:USER_SGPR: 13
; COMPUTE_PGM_RSRC2:TRAP_HANDLER: 0
; COMPUTE_PGM_RSRC2:TGID_X_EN: 1
; COMPUTE_PGM_RSRC2:TGID_Y_EN: 1
; COMPUTE_PGM_RSRC2:TGID_Z_EN: 1
; COMPUTE_PGM_RSRC2:TIDIG_COMP_CNT: 0
	.section	.text._ZN9rocsolver6v33100L17larf_right_kernelILi1024E19rocblas_complex_numIfEiPS3_EEvT1_S5_T2_lS5_lPKT0_lS6_lS5_l,"axG",@progbits,_ZN9rocsolver6v33100L17larf_right_kernelILi1024E19rocblas_complex_numIfEiPS3_EEvT1_S5_T2_lS5_lPKT0_lS6_lS5_l,comdat
	.globl	_ZN9rocsolver6v33100L17larf_right_kernelILi1024E19rocblas_complex_numIfEiPS3_EEvT1_S5_T2_lS5_lPKT0_lS6_lS5_l ; -- Begin function _ZN9rocsolver6v33100L17larf_right_kernelILi1024E19rocblas_complex_numIfEiPS3_EEvT1_S5_T2_lS5_lPKT0_lS6_lS5_l
	.p2align	8
	.type	_ZN9rocsolver6v33100L17larf_right_kernelILi1024E19rocblas_complex_numIfEiPS3_EEvT1_S5_T2_lS5_lPKT0_lS6_lS5_l,@function
_ZN9rocsolver6v33100L17larf_right_kernelILi1024E19rocblas_complex_numIfEiPS3_EEvT1_S5_T2_lS5_lPKT0_lS6_lS5_l: ; @_ZN9rocsolver6v33100L17larf_right_kernelILi1024E19rocblas_complex_numIfEiPS3_EEvT1_S5_T2_lS5_lPKT0_lS6_lS5_l
; %bb.0:
	s_clause 0x4
	s_load_b32 s24, s[0:1], 0x4
	s_load_b64 s[16:17], s[0:1], 0x50
	s_load_b64 s[20:21], s[0:1], 0x40
	s_load_b32 s12, s[0:1], 0x48
	s_load_b256 s[4:11], s[0:1], 0x20
	v_dual_mov_b32 v5, 0 :: v_dual_mov_b32 v6, 0
	v_lshlrev_b32_e32 v3, 3, v0
	s_mov_b32 s2, s15
	s_ashr_i32 s27, s15, 31
	s_mov_b32 s13, 0
	s_ashr_i32 s15, s14, 31
	s_waitcnt lgkmcnt(0)
	v_cmp_gt_i32_e32 vcc_lo, s24, v0
	s_mul_i32 s3, s16, s27
	s_mul_hi_u32 s26, s16, s2
	s_mul_i32 s25, s17, s2
	s_mul_i32 s22, s16, s2
	s_and_saveexec_b32 s28, vcc_lo
	s_cbranch_execz .LBB78_6
; %bb.1:
	s_clause 0x1
	s_load_b32 s30, s[0:1], 0x18
	s_load_b128 s[16:19], s[0:1], 0x8
	s_sub_i32 s1, 1, s24
	s_mul_i32 s23, s4, s27
	s_mul_hi_u32 s33, s4, s2
	s_mul_i32 s0, s4, s2
	s_mul_i32 s34, s5, s2
	v_add3_u32 v4, v3, 0, 0x100
	v_mov_b32_e32 v6, v0
	s_delay_alu instid0(VALU_DEP_2)
	v_mov_b32_e32 v5, v4
	s_waitcnt lgkmcnt(0)
	s_ashr_i32 s31, s30, 31
	v_mad_i64_i32 v[1:2], null, s30, v0, 0
	v_cmp_lt_i64_e64 s29, s[30:31], 1
	s_mul_i32 s1, s1, s30
	s_delay_alu instid0(VALU_DEP_1)
	s_and_b32 s4, s29, exec_lo
	s_cselect_b32 s4, s1, 0
	s_add_i32 s1, s33, s23
	s_ashr_i32 s5, s4, 31
	s_add_i32 s1, s1, s34
	s_lshl_b64 s[4:5], s[4:5], 3
	s_lshl_b64 s[18:19], s[18:19], 3
	;; [unrolled: 1-line block ×3, first 2 shown]
	v_lshlrev_b64 v[1:2], 3, v[1:2]
	s_add_u32 s4, s16, s4
	s_addc_u32 s5, s17, s5
	s_add_u32 s4, s4, s18
	s_addc_u32 s5, s5, s19
	s_add_u32 s0, s4, s0
	s_addc_u32 s1, s5, s1
	v_add_co_u32 v1, s0, s0, v1
	s_delay_alu instid0(VALU_DEP_1)
	v_add_co_ci_u32_e64 v2, s0, s1, v2, s0
	s_lshl_b64 s[4:5], s[30:31], 13
	.p2align	6
.LBB78_2:                               ; =>This Inner Loop Header: Depth=1
	global_load_b64 v[7:8], v[1:2], off
	v_add_nc_u32_e32 v6, 0x400, v6
	v_add_co_u32 v1, s0, v1, s4
	s_delay_alu instid0(VALU_DEP_1) | instskip(NEXT) | instid1(VALU_DEP_3)
	v_add_co_ci_u32_e64 v2, s0, s5, v2, s0
	v_cmp_le_i32_e64 s1, s24, v6
	s_delay_alu instid0(VALU_DEP_1)
	s_or_b32 s13, s1, s13
	s_waitcnt vmcnt(0)
	ds_store_b64 v5, v[7:8]
	v_add_nc_u32_e32 v5, 0x2000, v5
	s_and_not1_b32 exec_lo, exec_lo, s13
	s_cbranch_execnz .LBB78_2
; %bb.3:
	s_or_b32 exec_lo, exec_lo, s13
	v_mad_i64_i32 v[1:2], null, s12, v0, 0
	s_add_i32 s4, s26, s3
	s_ashr_i32 s13, s12, 31
	s_add_i32 s23, s4, s25
	s_lshl_b64 s[4:5], s[14:15], 3
	s_lshl_b64 s[0:1], s[20:21], 3
	;; [unrolled: 1-line block ×3, first 2 shown]
	s_delay_alu instid0(VALU_DEP_1)
	v_lshlrev_b64 v[1:2], 3, v[1:2]
	s_add_u32 s4, s10, s4
	s_addc_u32 s5, s11, s5
	s_add_u32 s0, s4, s0
	s_addc_u32 s1, s5, s1
	;; [unrolled: 2-line block ×3, first 2 shown]
	v_add_co_u32 v1, s0, s0, v1
	s_delay_alu instid0(VALU_DEP_1)
	v_add_co_ci_u32_e64 v2, s0, s1, v2, s0
	v_dual_mov_b32 v5, 0 :: v_dual_mov_b32 v6, 0
	v_mov_b32_e32 v7, v0
	s_lshl_b64 s[4:5], s[12:13], 13
	s_mov_b32 s13, 0
	.p2align	6
.LBB78_4:                               ; =>This Inner Loop Header: Depth=1
	global_load_b64 v[8:9], v[1:2], off
	ds_load_b64 v[10:11], v4
	v_add_nc_u32_e32 v7, 0x400, v7
	v_add_co_u32 v1, s0, v1, s4
	s_delay_alu instid0(VALU_DEP_1)
	v_add_co_ci_u32_e64 v2, s0, s5, v2, s0
	v_add_nc_u32_e32 v4, 0x2000, v4
	s_waitcnt vmcnt(0) lgkmcnt(0)
	v_mul_f32_e32 v12, v11, v9
	v_mul_f32_e32 v9, v10, v9
	v_cmp_le_i32_e64 s1, s24, v7
	s_delay_alu instid0(VALU_DEP_3) | instskip(NEXT) | instid1(VALU_DEP_3)
	v_fma_f32 v10, v10, v8, -v12
	v_fmac_f32_e32 v9, v11, v8
	s_delay_alu instid0(VALU_DEP_3) | instskip(NEXT) | instid1(VALU_DEP_1)
	s_or_b32 s13, s1, s13
	v_dual_add_f32 v6, v6, v10 :: v_dual_add_f32 v5, v5, v9
	s_and_not1_b32 exec_lo, exec_lo, s13
	s_cbranch_execnz .LBB78_4
; %bb.5:
	s_or_b32 exec_lo, exec_lo, s13
.LBB78_6:
	s_delay_alu instid0(SALU_CYCLE_1) | instskip(SKIP_2) | instid1(VALU_DEP_1)
	s_or_b32 exec_lo, exec_lo, s28
	v_mbcnt_lo_u32_b32 v1, -1, 0
	s_mov_b32 s1, exec_lo
	v_cmp_ne_u32_e64 s0, 31, v1
	s_delay_alu instid0(VALU_DEP_1) | instskip(SKIP_1) | instid1(VALU_DEP_2)
	v_add_co_ci_u32_e64 v2, s0, 0, v1, s0
	v_cmp_gt_u32_e64 s0, 30, v1
	v_lshlrev_b32_e32 v2, 2, v2
	s_delay_alu instid0(VALU_DEP_2)
	v_cndmask_b32_e64 v7, 0, 1, s0
	v_cmp_gt_u32_e64 s0, 28, v1
	ds_bpermute_b32 v4, v2, v6
	ds_bpermute_b32 v2, v2, v5
	s_waitcnt lgkmcnt(1)
	v_dual_add_f32 v4, v6, v4 :: v_dual_lshlrev_b32 v7, 1, v7
	s_delay_alu instid0(VALU_DEP_1)
	v_add_lshl_u32 v7, v7, v1, 2
	s_waitcnt lgkmcnt(0)
	v_add_f32_e32 v2, v5, v2
	ds_bpermute_b32 v5, v7, v4
	ds_bpermute_b32 v6, v7, v2
	v_cndmask_b32_e64 v7, 0, 1, s0
	v_cmp_gt_u32_e64 s0, 24, v1
	s_delay_alu instid0(VALU_DEP_2) | instskip(NEXT) | instid1(VALU_DEP_1)
	v_lshlrev_b32_e32 v7, 2, v7
	v_add_lshl_u32 v7, v7, v1, 2
	s_waitcnt lgkmcnt(1)
	v_add_f32_e32 v4, v4, v5
	s_waitcnt lgkmcnt(0)
	v_add_f32_e32 v2, v2, v6
	ds_bpermute_b32 v5, v7, v4
	ds_bpermute_b32 v6, v7, v2
	v_cndmask_b32_e64 v7, 0, 1, s0
	v_cmp_gt_u32_e64 s0, 16, v1
	s_delay_alu instid0(VALU_DEP_2) | instskip(NEXT) | instid1(VALU_DEP_1)
	v_lshlrev_b32_e32 v7, 3, v7
	v_add_lshl_u32 v7, v7, v1, 2
	s_waitcnt lgkmcnt(0)
	v_add_f32_e32 v2, v2, v6
	ds_bpermute_b32 v6, v7, v2
	v_add_f32_e32 v4, v4, v5
	ds_bpermute_b32 v5, v7, v4
	v_cndmask_b32_e64 v7, 0, 1, s0
	s_delay_alu instid0(VALU_DEP_1) | instskip(NEXT) | instid1(VALU_DEP_1)
	v_lshlrev_b32_e32 v7, 4, v7
	v_add_lshl_u32 v1, v7, v1, 2
	s_waitcnt lgkmcnt(0)
	v_dual_add_f32 v4, v4, v5 :: v_dual_add_f32 v5, v2, v6
	v_and_b32_e32 v6, 31, v0
	ds_bpermute_b32 v2, v1, v4
	ds_bpermute_b32 v1, v1, v5
	s_waitcnt lgkmcnt(0)
	v_dual_add_f32 v2, v4, v2 :: v_dual_add_f32 v1, v5, v1
	v_cmpx_eq_u32_e32 0, v6
	s_cbranch_execz .LBB78_8
; %bb.7:
	v_lshrrev_b32_e32 v4, 2, v0
	s_delay_alu instid0(VALU_DEP_1)
	v_add_nc_u32_e32 v4, 0, v4
	ds_store_2addr_b32 v4, v2, v1 offset1:1
.LBB78_8:
	s_or_b32 exec_lo, exec_lo, s1
	s_delay_alu instid0(SALU_CYCLE_1)
	s_mov_b32 s1, exec_lo
	s_waitcnt lgkmcnt(0)
	s_barrier
	buffer_gl0_inv
	v_cmpx_eq_u32_e32 0, v0
	s_cbranch_execz .LBB78_10
; %bb.9:
	v_mov_b32_e32 v16, 0
	ds_load_2addr_b64 v[4:7], v16 offset0:1 offset1:2
	ds_load_2addr_b64 v[8:11], v16 offset0:3 offset1:4
	s_waitcnt lgkmcnt(1)
	v_dual_add_f32 v1, v1, v5 :: v_dual_add_f32 v2, v2, v4
	ds_load_2addr_b64 v[12:15], v16 offset0:5 offset1:6
	v_dual_add_f32 v1, v1, v7 :: v_dual_add_f32 v2, v2, v6
	ds_load_2addr_b64 v[4:7], v16 offset0:7 offset1:8
	s_waitcnt lgkmcnt(2)
	v_dual_add_f32 v1, v1, v9 :: v_dual_add_f32 v2, v2, v8
	s_delay_alu instid0(VALU_DEP_1) | instskip(SKIP_3) | instid1(VALU_DEP_1)
	v_dual_add_f32 v1, v1, v11 :: v_dual_add_f32 v2, v2, v10
	ds_load_2addr_b64 v[8:11], v16 offset0:9 offset1:10
	s_waitcnt lgkmcnt(2)
	v_dual_add_f32 v1, v1, v13 :: v_dual_add_f32 v2, v2, v12
	v_dual_add_f32 v1, v1, v15 :: v_dual_add_f32 v2, v2, v14
	ds_load_2addr_b64 v[12:15], v16 offset0:11 offset1:12
	s_waitcnt lgkmcnt(2)
	v_dual_add_f32 v1, v1, v5 :: v_dual_add_f32 v2, v2, v4
	s_delay_alu instid0(VALU_DEP_1) | instskip(SKIP_3) | instid1(VALU_DEP_1)
	v_dual_add_f32 v1, v1, v7 :: v_dual_add_f32 v2, v2, v6
	ds_load_2addr_b64 v[4:7], v16 offset0:13 offset1:14
	s_waitcnt lgkmcnt(2)
	v_dual_add_f32 v1, v1, v9 :: v_dual_add_f32 v2, v2, v8
	;; [unrolled: 9-line block ×6, first 2 shown]
	v_dual_add_f32 v5, v1, v7 :: v_dual_add_f32 v4, v2, v6
	ds_load_b64 v[1:2], v16 offset:248
	s_waitcnt lgkmcnt(2)
	v_dual_add_f32 v5, v5, v9 :: v_dual_add_f32 v4, v4, v8
	s_delay_alu instid0(VALU_DEP_1) | instskip(SKIP_1) | instid1(VALU_DEP_1)
	v_dual_add_f32 v5, v5, v11 :: v_dual_add_f32 v4, v4, v10
	s_waitcnt lgkmcnt(1)
	v_dual_add_f32 v5, v5, v13 :: v_dual_add_f32 v4, v4, v12
	s_delay_alu instid0(VALU_DEP_1) | instskip(SKIP_1) | instid1(VALU_DEP_1)
	v_dual_add_f32 v5, v5, v15 :: v_dual_add_f32 v4, v4, v14
	s_waitcnt lgkmcnt(0)
	v_dual_add_f32 v2, v5, v2 :: v_dual_add_f32 v1, v4, v1
	ds_store_b64 v16, v[1:2]
.LBB78_10:
	s_or_b32 exec_lo, exec_lo, s1
	s_waitcnt lgkmcnt(0)
	s_barrier
	buffer_gl0_inv
	s_and_saveexec_b32 s0, vcc_lo
	s_cbranch_execz .LBB78_13
; %bb.11:
	s_mul_i32 s0, s2, s9
	s_mul_hi_u32 s1, s2, s8
	s_mul_i32 s4, s27, s8
	s_add_i32 s0, s1, s0
	v_mov_b32_e32 v1, 0
	s_add_i32 s1, s0, s4
	s_mul_i32 s0, s2, s8
	v_mad_i64_i32 v[4:5], null, s12, v0, 0
	s_lshl_b64 s[0:1], s[0:1], 3
	ds_load_b64 v[1:2], v1
	s_add_u32 s0, s6, s0
	s_addc_u32 s1, s7, s1
	s_add_i32 s4, s26, s3
	s_load_b64 s[0:1], s[0:1], 0x0
	s_add_i32 s23, s4, s25
	s_lshl_b64 s[4:5], s[14:15], 3
	s_ashr_i32 s13, s12, 31
	s_lshl_b64 s[2:3], s[20:21], 3
	s_lshl_b64 s[6:7], s[22:23], 3
	v_lshlrev_b64 v[4:5], 3, v[4:5]
	s_add_u32 s4, s10, s4
	s_addc_u32 s5, s11, s5
	s_add_u32 s2, s4, s2
	s_addc_u32 s3, s5, s3
	s_add_u32 s2, s2, s6
	s_addc_u32 s3, s3, s7
	v_add_co_u32 v8, vcc_lo, s2, v4
	v_add_co_ci_u32_e32 v9, vcc_lo, s3, v5, vcc_lo
	v_add3_u32 v3, v3, 0, 0x100
	s_lshl_b64 s[2:3], s[12:13], 13
	s_waitcnt lgkmcnt(0)
	v_dual_mul_f32 v6, s0, v1 :: v_dual_mul_f32 v7, s0, v2
	s_delay_alu instid0(VALU_DEP_1) | instskip(NEXT) | instid1(VALU_DEP_2)
	v_fma_f32 v4, s1, v2, -v6
	v_fma_f32 v5, v1, -s1, -v7
	v_add_co_u32 v1, vcc_lo, v8, 4
	v_add_co_ci_u32_e32 v2, vcc_lo, 0, v9, vcc_lo
	s_mov_b32 s1, 0
	.p2align	6
.LBB78_12:                              ; =>This Inner Loop Header: Depth=1
	global_load_b64 v[6:7], v[1:2], off offset:-4
	ds_load_b64 v[8:9], v3
	v_add_nc_u32_e32 v0, 0x400, v0
	v_add_nc_u32_e32 v3, 0x2000, v3
	s_delay_alu instid0(VALU_DEP_2) | instskip(SKIP_4) | instid1(VALU_DEP_2)
	v_cmp_le_i32_e32 vcc_lo, s24, v0
	s_or_b32 s1, vcc_lo, s1
	s_waitcnt lgkmcnt(0)
	v_mul_f32_e32 v10, v5, v9
	v_mul_f32_e32 v9, v4, v9
	v_fmac_f32_e32 v10, v4, v8
	s_delay_alu instid0(VALU_DEP_2) | instskip(SKIP_1) | instid1(VALU_DEP_1)
	v_fma_f32 v8, v5, v8, -v9
	s_waitcnt vmcnt(0)
	v_dual_add_f32 v6, v6, v10 :: v_dual_add_f32 v7, v7, v8
	global_store_b64 v[1:2], v[6:7], off offset:-4
	v_add_co_u32 v1, s0, v1, s2
	s_delay_alu instid0(VALU_DEP_1)
	v_add_co_ci_u32_e64 v2, s0, s3, v2, s0
	s_and_not1_b32 exec_lo, exec_lo, s1
	s_cbranch_execnz .LBB78_12
.LBB78_13:
	s_nop 0
	s_sendmsg sendmsg(MSG_DEALLOC_VGPRS)
	s_endpgm
	.section	.rodata,"a",@progbits
	.p2align	6, 0x0
	.amdhsa_kernel _ZN9rocsolver6v33100L17larf_right_kernelILi1024E19rocblas_complex_numIfEiPS3_EEvT1_S5_T2_lS5_lPKT0_lS6_lS5_l
		.amdhsa_group_segment_fixed_size 0
		.amdhsa_private_segment_fixed_size 0
		.amdhsa_kernarg_size 88
		.amdhsa_user_sgpr_count 13
		.amdhsa_user_sgpr_dispatch_ptr 0
		.amdhsa_user_sgpr_queue_ptr 0
		.amdhsa_user_sgpr_kernarg_segment_ptr 1
		.amdhsa_user_sgpr_dispatch_id 0
		.amdhsa_user_sgpr_private_segment_size 0
		.amdhsa_wavefront_size32 1
		.amdhsa_uses_dynamic_stack 0
		.amdhsa_enable_private_segment 0
		.amdhsa_system_sgpr_workgroup_id_x 1
		.amdhsa_system_sgpr_workgroup_id_y 1
		.amdhsa_system_sgpr_workgroup_id_z 1
		.amdhsa_system_sgpr_workgroup_info 0
		.amdhsa_system_vgpr_workitem_id 0
		.amdhsa_next_free_vgpr 17
		.amdhsa_next_free_sgpr 35
		.amdhsa_reserve_vcc 1
		.amdhsa_float_round_mode_32 0
		.amdhsa_float_round_mode_16_64 0
		.amdhsa_float_denorm_mode_32 3
		.amdhsa_float_denorm_mode_16_64 3
		.amdhsa_dx10_clamp 1
		.amdhsa_ieee_mode 1
		.amdhsa_fp16_overflow 0
		.amdhsa_workgroup_processor_mode 1
		.amdhsa_memory_ordered 1
		.amdhsa_forward_progress 0
		.amdhsa_shared_vgpr_count 0
		.amdhsa_exception_fp_ieee_invalid_op 0
		.amdhsa_exception_fp_denorm_src 0
		.amdhsa_exception_fp_ieee_div_zero 0
		.amdhsa_exception_fp_ieee_overflow 0
		.amdhsa_exception_fp_ieee_underflow 0
		.amdhsa_exception_fp_ieee_inexact 0
		.amdhsa_exception_int_div_zero 0
	.end_amdhsa_kernel
	.section	.text._ZN9rocsolver6v33100L17larf_right_kernelILi1024E19rocblas_complex_numIfEiPS3_EEvT1_S5_T2_lS5_lPKT0_lS6_lS5_l,"axG",@progbits,_ZN9rocsolver6v33100L17larf_right_kernelILi1024E19rocblas_complex_numIfEiPS3_EEvT1_S5_T2_lS5_lPKT0_lS6_lS5_l,comdat
.Lfunc_end78:
	.size	_ZN9rocsolver6v33100L17larf_right_kernelILi1024E19rocblas_complex_numIfEiPS3_EEvT1_S5_T2_lS5_lPKT0_lS6_lS5_l, .Lfunc_end78-_ZN9rocsolver6v33100L17larf_right_kernelILi1024E19rocblas_complex_numIfEiPS3_EEvT1_S5_T2_lS5_lPKT0_lS6_lS5_l
                                        ; -- End function
	.section	.AMDGPU.csdata,"",@progbits
; Kernel info:
; codeLenInByte = 1828
; NumSgprs: 37
; NumVgprs: 17
; ScratchSize: 0
; MemoryBound: 0
; FloatMode: 240
; IeeeMode: 1
; LDSByteSize: 0 bytes/workgroup (compile time only)
; SGPRBlocks: 4
; VGPRBlocks: 2
; NumSGPRsForWavesPerEU: 37
; NumVGPRsForWavesPerEU: 17
; Occupancy: 16
; WaveLimiterHint : 0
; COMPUTE_PGM_RSRC2:SCRATCH_EN: 0
; COMPUTE_PGM_RSRC2:USER_SGPR: 13
; COMPUTE_PGM_RSRC2:TRAP_HANDLER: 0
; COMPUTE_PGM_RSRC2:TGID_X_EN: 1
; COMPUTE_PGM_RSRC2:TGID_Y_EN: 1
; COMPUTE_PGM_RSRC2:TGID_Z_EN: 1
; COMPUTE_PGM_RSRC2:TIDIG_COMP_CNT: 0
	.section	.text._ZN9rocsolver6v33100L12restore_diagI19rocblas_complex_numIfEifPS3_EEvPT1_llT2_lT0_lS8_,"axG",@progbits,_ZN9rocsolver6v33100L12restore_diagI19rocblas_complex_numIfEifPS3_EEvPT1_llT2_lT0_lS8_,comdat
	.globl	_ZN9rocsolver6v33100L12restore_diagI19rocblas_complex_numIfEifPS3_EEvPT1_llT2_lT0_lS8_ ; -- Begin function _ZN9rocsolver6v33100L12restore_diagI19rocblas_complex_numIfEifPS3_EEvPT1_llT2_lT0_lS8_
	.p2align	8
	.type	_ZN9rocsolver6v33100L12restore_diagI19rocblas_complex_numIfEifPS3_EEvPT1_llT2_lT0_lS8_,@function
_ZN9rocsolver6v33100L12restore_diagI19rocblas_complex_numIfEifPS3_EEvPT1_llT2_lT0_lS8_: ; @_ZN9rocsolver6v33100L12restore_diagI19rocblas_complex_numIfEifPS3_EEvPT1_llT2_lT0_lS8_
; %bb.0:
	s_clause 0x1
	s_load_b32 s2, s[0:1], 0x4c
	s_load_b32 s3, s[0:1], 0x38
	v_bfe_u32 v2, v0, 10, 10
	s_waitcnt lgkmcnt(0)
	s_lshr_b32 s2, s2, 16
	s_delay_alu instid0(VALU_DEP_1) | instid1(SALU_CYCLE_1)
	v_mad_u64_u32 v[0:1], null, s15, s2, v[2:3]
	s_mov_b32 s2, exec_lo
	s_delay_alu instid0(VALU_DEP_1)
	v_cmpx_gt_i32_e64 s3, v0
	s_cbranch_execz .LBB79_2
; %bb.1:
	s_clause 0x3
	s_load_b64 s[2:3], s[0:1], 0x30
	s_load_b256 s[4:11], s[0:1], 0x0
	s_load_b32 s12, s[0:1], 0x28
	s_load_b64 s[0:1], s[0:1], 0x20
	s_ashr_i32 s13, s14, 31
	s_waitcnt lgkmcnt(0)
	s_mul_i32 s3, s14, s3
	s_mul_hi_u32 s15, s14, s2
	s_mul_i32 s16, s13, s2
	s_add_i32 s3, s15, s3
	s_mul_i32 s2, s14, s2
	s_add_i32 s3, s3, s16
	s_mul_i32 s9, s14, s9
	s_lshl_b64 s[2:3], s[2:3], 3
	s_mul_hi_u32 s15, s14, s8
	s_add_u32 s2, s10, s2
	s_addc_u32 s3, s11, s3
	s_lshl_b64 s[0:1], s[0:1], 3
	s_mul_i32 s13, s13, s8
	s_add_u32 s2, s2, s0
	v_mad_u64_u32 v[2:3], null, v0, s12, v[0:1]
	v_ashrrev_i32_e32 v1, 31, v0
	s_addc_u32 s3, s3, s1
	s_add_i32 s1, s15, s9
	s_mul_i32 s0, s14, s8
	s_add_i32 s1, s1, s13
	v_lshlrev_b64 v[0:1], 2, v[0:1]
	s_lshl_b64 s[0:1], s[0:1], 2
	v_ashrrev_i32_e32 v3, 31, v2
	s_add_u32 s4, s4, s0
	s_addc_u32 s5, s5, s1
	s_lshl_b64 s[0:1], s[6:7], 2
	s_delay_alu instid0(SALU_CYCLE_1)
	s_add_u32 s0, s4, s0
	s_addc_u32 s1, s5, s1
	v_add_co_u32 v0, vcc_lo, s0, v0
	v_add_co_ci_u32_e32 v1, vcc_lo, s1, v1, vcc_lo
	global_load_b32 v0, v[0:1], off
	v_lshlrev_b64 v[1:2], 3, v[2:3]
	s_delay_alu instid0(VALU_DEP_1) | instskip(NEXT) | instid1(VALU_DEP_2)
	v_add_co_u32 v3, vcc_lo, s2, v1
	v_add_co_ci_u32_e32 v4, vcc_lo, s3, v2, vcc_lo
	v_mov_b32_e32 v1, 0
	s_waitcnt vmcnt(0)
	global_store_b64 v[3:4], v[0:1], off
.LBB79_2:
	s_nop 0
	s_sendmsg sendmsg(MSG_DEALLOC_VGPRS)
	s_endpgm
	.section	.rodata,"a",@progbits
	.p2align	6, 0x0
	.amdhsa_kernel _ZN9rocsolver6v33100L12restore_diagI19rocblas_complex_numIfEifPS3_EEvPT1_llT2_lT0_lS8_
		.amdhsa_group_segment_fixed_size 0
		.amdhsa_private_segment_fixed_size 0
		.amdhsa_kernarg_size 320
		.amdhsa_user_sgpr_count 14
		.amdhsa_user_sgpr_dispatch_ptr 0
		.amdhsa_user_sgpr_queue_ptr 0
		.amdhsa_user_sgpr_kernarg_segment_ptr 1
		.amdhsa_user_sgpr_dispatch_id 0
		.amdhsa_user_sgpr_private_segment_size 0
		.amdhsa_wavefront_size32 1
		.amdhsa_uses_dynamic_stack 0
		.amdhsa_enable_private_segment 0
		.amdhsa_system_sgpr_workgroup_id_x 1
		.amdhsa_system_sgpr_workgroup_id_y 1
		.amdhsa_system_sgpr_workgroup_id_z 0
		.amdhsa_system_sgpr_workgroup_info 0
		.amdhsa_system_vgpr_workitem_id 1
		.amdhsa_next_free_vgpr 5
		.amdhsa_next_free_sgpr 17
		.amdhsa_reserve_vcc 1
		.amdhsa_float_round_mode_32 0
		.amdhsa_float_round_mode_16_64 0
		.amdhsa_float_denorm_mode_32 3
		.amdhsa_float_denorm_mode_16_64 3
		.amdhsa_dx10_clamp 1
		.amdhsa_ieee_mode 1
		.amdhsa_fp16_overflow 0
		.amdhsa_workgroup_processor_mode 1
		.amdhsa_memory_ordered 1
		.amdhsa_forward_progress 0
		.amdhsa_shared_vgpr_count 0
		.amdhsa_exception_fp_ieee_invalid_op 0
		.amdhsa_exception_fp_denorm_src 0
		.amdhsa_exception_fp_ieee_div_zero 0
		.amdhsa_exception_fp_ieee_overflow 0
		.amdhsa_exception_fp_ieee_underflow 0
		.amdhsa_exception_fp_ieee_inexact 0
		.amdhsa_exception_int_div_zero 0
	.end_amdhsa_kernel
	.section	.text._ZN9rocsolver6v33100L12restore_diagI19rocblas_complex_numIfEifPS3_EEvPT1_llT2_lT0_lS8_,"axG",@progbits,_ZN9rocsolver6v33100L12restore_diagI19rocblas_complex_numIfEifPS3_EEvPT1_llT2_lT0_lS8_,comdat
.Lfunc_end79:
	.size	_ZN9rocsolver6v33100L12restore_diagI19rocblas_complex_numIfEifPS3_EEvPT1_llT2_lT0_lS8_, .Lfunc_end79-_ZN9rocsolver6v33100L12restore_diagI19rocblas_complex_numIfEifPS3_EEvPT1_llT2_lT0_lS8_
                                        ; -- End function
	.section	.AMDGPU.csdata,"",@progbits
; Kernel info:
; codeLenInByte = 308
; NumSgprs: 19
; NumVgprs: 5
; ScratchSize: 0
; MemoryBound: 0
; FloatMode: 240
; IeeeMode: 1
; LDSByteSize: 0 bytes/workgroup (compile time only)
; SGPRBlocks: 2
; VGPRBlocks: 0
; NumSGPRsForWavesPerEU: 19
; NumVGPRsForWavesPerEU: 5
; Occupancy: 16
; WaveLimiterHint : 0
; COMPUTE_PGM_RSRC2:SCRATCH_EN: 0
; COMPUTE_PGM_RSRC2:USER_SGPR: 14
; COMPUTE_PGM_RSRC2:TRAP_HANDLER: 0
; COMPUTE_PGM_RSRC2:TGID_X_EN: 1
; COMPUTE_PGM_RSRC2:TGID_Y_EN: 1
; COMPUTE_PGM_RSRC2:TGID_Z_EN: 0
; COMPUTE_PGM_RSRC2:TIDIG_COMP_CNT: 1
	.section	.text._ZN9rocsolver6v33100L14set_triangularI19rocblas_complex_numIfEPS3_TnNSt9enable_ifIX18rocblas_is_complexIT_EEiE4typeELi0EEEviiT0_iilPS6_lSA_il15rocblas_direct_15rocblas_storev_b,"axG",@progbits,_ZN9rocsolver6v33100L14set_triangularI19rocblas_complex_numIfEPS3_TnNSt9enable_ifIX18rocblas_is_complexIT_EEiE4typeELi0EEEviiT0_iilPS6_lSA_il15rocblas_direct_15rocblas_storev_b,comdat
	.globl	_ZN9rocsolver6v33100L14set_triangularI19rocblas_complex_numIfEPS3_TnNSt9enable_ifIX18rocblas_is_complexIT_EEiE4typeELi0EEEviiT0_iilPS6_lSA_il15rocblas_direct_15rocblas_storev_b ; -- Begin function _ZN9rocsolver6v33100L14set_triangularI19rocblas_complex_numIfEPS3_TnNSt9enable_ifIX18rocblas_is_complexIT_EEiE4typeELi0EEEviiT0_iilPS6_lSA_il15rocblas_direct_15rocblas_storev_b
	.p2align	8
	.type	_ZN9rocsolver6v33100L14set_triangularI19rocblas_complex_numIfEPS3_TnNSt9enable_ifIX18rocblas_is_complexIT_EEiE4typeELi0EEEviiT0_iilPS6_lSA_il15rocblas_direct_15rocblas_storev_b,@function
_ZN9rocsolver6v33100L14set_triangularI19rocblas_complex_numIfEPS3_TnNSt9enable_ifIX18rocblas_is_complexIT_EEiE4typeELi0EEEviiT0_iilPS6_lSA_il15rocblas_direct_15rocblas_storev_b: ; @_ZN9rocsolver6v33100L14set_triangularI19rocblas_complex_numIfEPS3_TnNSt9enable_ifIX18rocblas_is_complexIT_EEiE4typeELi0EEEviiT0_iilPS6_lSA_il15rocblas_direct_15rocblas_storev_b
; %bb.0:
	s_clause 0x1
	s_load_b32 s2, s[0:1], 0x64
	s_load_b64 s[16:17], s[0:1], 0x0
	v_and_b32_e32 v2, 0x3ff, v0
	v_bfe_u32 v4, v0, 10, 10
	s_waitcnt lgkmcnt(0)
	s_lshr_b32 s3, s2, 16
	s_and_b32 s2, s2, 0xffff
	s_delay_alu instid0(SALU_CYCLE_1) | instskip(SKIP_2) | instid1(VALU_DEP_1)
	v_mad_u64_u32 v[0:1], null, s13, s2, v[2:3]
	v_mad_u64_u32 v[2:3], null, s14, s3, v[4:5]
	s_mov_b32 s2, exec_lo
	v_max_u32_e32 v1, v0, v2
	s_delay_alu instid0(VALU_DEP_1)
	v_cmpx_gt_u32_e64 s17, v1
	s_cbranch_execz .LBB80_36
; %bb.1:
	s_clause 0x2
	s_load_b256 s[4:11], s[0:1], 0x18
	s_load_b64 s[2:3], s[0:1], 0x40
	s_load_b32 s12, s[0:1], 0x38
	s_waitcnt lgkmcnt(0)
	s_mul_i32 s9, s15, s9
	s_mul_hi_u32 s13, s15, s8
	s_mul_i32 s8, s15, s8
	s_add_i32 s9, s13, s9
	s_mul_i32 s3, s15, s3
	s_lshl_b64 s[8:9], s[8:9], 3
	s_mul_hi_u32 s18, s15, s2
	s_add_u32 s13, s6, s8
	s_mul_i32 s2, s15, s2
	s_addc_u32 s14, s7, s9
	s_add_i32 s3, s18, s3
	s_delay_alu instid0(SALU_CYCLE_1) | instskip(NEXT) | instid1(SALU_CYCLE_1)
	s_lshl_b64 s[2:3], s[2:3], 3
	s_add_u32 s6, s10, s2
	s_addc_u32 s7, s11, s3
	s_mov_b32 s2, exec_lo
	v_cmpx_ne_u32_e64 v2, v0
	s_xor_b32 s18, exec_lo, s2
	s_cbranch_execz .LBB80_34
; %bb.2:
	s_clause 0x1
	s_load_b128 s[8:11], s[0:1], 0x8
	s_load_b128 s[0:3], s[0:1], 0x48
	s_waitcnt lgkmcnt(0)
	s_mul_i32 s3, s15, s5
	s_mul_hi_u32 s5, s15, s4
	s_mul_i32 s4, s15, s4
	s_add_i32 s5, s5, s3
	v_mov_b32_e32 v1, 0
	s_lshl_b64 s[4:5], s[4:5], 3
	s_ashr_i32 s21, s10, 31
	s_mov_b32 s20, s10
	s_add_u32 s3, s8, s4
	s_addc_u32 s8, s9, s5
	s_lshl_b64 s[4:5], s[20:21], 3
	s_delay_alu instid0(SALU_CYCLE_1) | instskip(SKIP_3) | instid1(SALU_CYCLE_1)
	s_add_u32 s3, s3, s4
	s_addc_u32 s4, s8, s5
	s_bitcmp1_b32 s2, 0
	s_cselect_b32 s2, -1, 0
	s_xor_b32 s2, s2, -1
	s_cmpk_lg_i32 s0, 0xab
	s_mov_b32 s0, -1
	s_cbranch_scc0 .LBB80_18
; %bb.3:
	s_mov_b32 s0, exec_lo
	v_cmpx_le_u32_e64 v2, v0
	s_xor_b32 s0, exec_lo, s0
	s_cbranch_execz .LBB80_5
; %bb.4:
	v_mad_u64_u32 v[4:5], null, v0, s12, 0
	s_ashr_i32 s5, s12, 31
	s_delay_alu instid0(VALU_DEP_1) | instskip(NEXT) | instid1(VALU_DEP_1)
	v_mov_b32_e32 v3, v5
	v_mad_u64_u32 v[5:6], null, v0, s5, v[3:4]
	v_mov_b32_e32 v3, 0
	s_delay_alu instid0(VALU_DEP_1) | instskip(NEXT) | instid1(VALU_DEP_3)
	v_lshlrev_b64 v[6:7], 3, v[2:3]
	v_lshlrev_b64 v[4:5], 3, v[4:5]
	s_delay_alu instid0(VALU_DEP_1) | instskip(NEXT) | instid1(VALU_DEP_2)
	v_add_co_u32 v8, vcc_lo, s6, v4
	v_add_co_ci_u32_e32 v5, vcc_lo, s7, v5, vcc_lo
	v_mov_b32_e32 v4, v3
	s_delay_alu instid0(VALU_DEP_3) | instskip(NEXT) | instid1(VALU_DEP_3)
	v_add_co_u32 v6, vcc_lo, v8, v6
	v_add_co_ci_u32_e32 v7, vcc_lo, v5, v7, vcc_lo
	v_mov_b32_e32 v5, v3
	global_store_b64 v[6:7], v[4:5], off
.LBB80_5:
	s_and_not1_saveexec_b32 s0, s0
	s_cbranch_execz .LBB80_17
; %bb.6:
	v_lshlrev_b64 v[3:4], 3, v[0:1]
	s_cmpk_lg_i32 s1, 0xb5
	s_mov_b32 s5, -1
	s_delay_alu instid0(VALU_DEP_1) | instskip(NEXT) | instid1(VALU_DEP_2)
	v_add_co_u32 v3, vcc_lo, s13, v3
	v_add_co_ci_u32_e32 v4, vcc_lo, s14, v4, vcc_lo
	global_load_b64 v[4:5], v[3:4], off
	s_cbranch_scc0 .LBB80_12
; %bb.7:
	v_mov_b32_e32 v3, 0
	s_and_not1_b32 vcc_lo, exec_lo, s2
	s_delay_alu instid0(VALU_DEP_1)
	v_lshlrev_b64 v[6:7], 3, v[2:3]
	s_cbranch_vccnz .LBB80_9
; %bb.8:
	s_sub_i32 s5, s16, s17
	s_delay_alu instid0(SALU_CYCLE_1) | instskip(SKIP_1) | instid1(VALU_DEP_1)
	v_add_nc_u32_e32 v11, s5, v0
	s_ashr_i32 s5, s11, 31
	v_mad_u64_u32 v[8:9], null, v11, s11, 0
	s_delay_alu instid0(VALU_DEP_1) | instskip(SKIP_1) | instid1(VALU_DEP_1)
	v_mov_b32_e32 v3, v9
	s_waitcnt vmcnt(0)
	v_mad_u64_u32 v[9:10], null, v11, s5, v[3:4]
	v_mad_u64_u32 v[10:11], null, v0, s12, 0
	s_ashr_i32 s5, s12, 31
	s_delay_alu instid0(VALU_DEP_2) | instskip(NEXT) | instid1(VALU_DEP_1)
	v_lshlrev_b64 v[8:9], 3, v[8:9]
	v_add_co_u32 v3, vcc_lo, s3, v8
	s_delay_alu instid0(VALU_DEP_2) | instskip(NEXT) | instid1(VALU_DEP_2)
	v_add_co_ci_u32_e32 v9, vcc_lo, s4, v9, vcc_lo
	v_add_co_u32 v8, vcc_lo, v3, v6
	s_delay_alu instid0(VALU_DEP_2) | instskip(SKIP_4) | instid1(VALU_DEP_1)
	v_add_co_ci_u32_e32 v9, vcc_lo, v9, v7, vcc_lo
	v_mov_b32_e32 v3, v11
	global_load_b64 v[8:9], v[8:9], off
	v_mad_u64_u32 v[11:12], null, v0, s5, v[3:4]
	s_mov_b32 s5, 0
	v_lshlrev_b64 v[10:11], 3, v[10:11]
	s_delay_alu instid0(VALU_DEP_1) | instskip(NEXT) | instid1(VALU_DEP_2)
	v_add_co_u32 v13, vcc_lo, s6, v10
	v_add_co_ci_u32_e32 v14, vcc_lo, s7, v11, vcc_lo
	s_delay_alu instid0(VALU_DEP_2) | instskip(SKIP_3) | instid1(VALU_DEP_2)
	v_add_co_u32 v11, vcc_lo, v13, v6
	s_waitcnt vmcnt(0)
	v_mul_f32_e32 v12, v4, v9
	v_mul_f32_e32 v3, v4, v8
	v_fma_f32 v10, v8, -v5, -v12
	s_delay_alu instid0(VALU_DEP_2)
	v_fma_f32 v9, v5, v9, -v3
	v_add_co_ci_u32_e32 v12, vcc_lo, v14, v7, vcc_lo
	global_store_b64 v[11:12], v[9:10], off
.LBB80_9:
	s_and_not1_b32 vcc_lo, exec_lo, s5
	s_cbranch_vccnz .LBB80_11
; %bb.10:
	v_mad_u64_u32 v[8:9], null, v0, s12, 0
	s_sub_i32 s5, s16, s17
	s_delay_alu instid0(SALU_CYCLE_1) | instskip(SKIP_1) | instid1(VALU_DEP_2)
	v_add_nc_u32_e32 v14, s5, v0
	s_ashr_i32 s5, s12, 31
	v_mov_b32_e32 v3, v9
	s_delay_alu instid0(VALU_DEP_2) | instskip(NEXT) | instid1(VALU_DEP_1)
	v_mad_u64_u32 v[10:11], null, v14, s11, 0
	v_mov_b32_e32 v9, v11
	s_waitcnt vmcnt(0)
	s_delay_alu instid0(VALU_DEP_3)
	v_mad_u64_u32 v[11:12], null, v0, s5, v[3:4]
	s_ashr_i32 s5, s11, 31
	s_delay_alu instid0(VALU_DEP_2) | instid1(SALU_CYCLE_1)
	v_mad_u64_u32 v[12:13], null, v14, s5, v[9:10]
	s_delay_alu instid0(VALU_DEP_2) | instskip(NEXT) | instid1(VALU_DEP_2)
	v_mov_b32_e32 v9, v11
	v_mov_b32_e32 v11, v12
	s_delay_alu instid0(VALU_DEP_2) | instskip(NEXT) | instid1(VALU_DEP_2)
	v_lshlrev_b64 v[8:9], 3, v[8:9]
	v_lshlrev_b64 v[10:11], 3, v[10:11]
	s_delay_alu instid0(VALU_DEP_2) | instskip(NEXT) | instid1(VALU_DEP_3)
	v_add_co_u32 v3, vcc_lo, s6, v8
	v_add_co_ci_u32_e32 v9, vcc_lo, s7, v9, vcc_lo
	s_delay_alu instid0(VALU_DEP_3) | instskip(NEXT) | instid1(VALU_DEP_4)
	v_add_co_u32 v10, vcc_lo, s3, v10
	v_add_co_ci_u32_e32 v11, vcc_lo, s4, v11, vcc_lo
	s_delay_alu instid0(VALU_DEP_4) | instskip(NEXT) | instid1(VALU_DEP_4)
	v_add_co_u32 v8, vcc_lo, v3, v6
	v_add_co_ci_u32_e32 v9, vcc_lo, v9, v7, vcc_lo
	s_delay_alu instid0(VALU_DEP_4) | instskip(NEXT) | instid1(VALU_DEP_4)
	v_add_co_u32 v6, vcc_lo, v10, v6
	v_add_co_ci_u32_e32 v7, vcc_lo, v11, v7, vcc_lo
	global_load_b64 v[10:11], v[8:9], off
	global_load_b64 v[6:7], v[6:7], off
	s_waitcnt vmcnt(0)
	v_dual_add_f32 v3, v6, v10 :: v_dual_add_f32 v6, v7, v11
	s_delay_alu instid0(VALU_DEP_1) | instskip(NEXT) | instid1(VALU_DEP_2)
	v_mul_f32_e32 v7, v4, v3
	v_mul_f32_e32 v10, v4, v6
	s_delay_alu instid0(VALU_DEP_2) | instskip(NEXT) | instid1(VALU_DEP_2)
	v_fma_f32 v6, v5, v6, -v7
	v_fma_f32 v7, v3, -v5, -v10
	global_store_b64 v[8:9], v[6:7], off
.LBB80_11:
	s_mov_b32 s5, 0
.LBB80_12:
	s_delay_alu instid0(SALU_CYCLE_1)
	s_and_not1_b32 vcc_lo, exec_lo, s5
	s_cbranch_vccnz .LBB80_17
; %bb.13:
	s_and_not1_b32 vcc_lo, exec_lo, s2
	s_mov_b32 s5, -1
	s_cbranch_vccnz .LBB80_15
; %bb.14:
	v_mad_u64_u32 v[6:7], null, v2, s11, 0
	s_ashr_i32 s5, s11, 31
	v_mov_b32_e32 v9, 0
	s_delay_alu instid0(VALU_DEP_2) | instskip(SKIP_1) | instid1(VALU_DEP_1)
	v_mov_b32_e32 v3, v7
	s_waitcnt vmcnt(0)
	v_mad_u64_u32 v[7:8], null, v2, s5, v[3:4]
	s_sub_i32 s5, s16, s17
	s_delay_alu instid0(SALU_CYCLE_1) | instskip(SKIP_1) | instid1(VALU_DEP_2)
	v_add_nc_u32_e32 v8, s5, v0
	s_ashr_i32 s5, s12, 31
	v_lshlrev_b64 v[6:7], 3, v[6:7]
	s_delay_alu instid0(VALU_DEP_2) | instskip(NEXT) | instid1(VALU_DEP_2)
	v_lshlrev_b64 v[10:11], 3, v[8:9]
	v_add_co_u32 v3, vcc_lo, s3, v6
	s_delay_alu instid0(VALU_DEP_3) | instskip(NEXT) | instid1(VALU_DEP_2)
	v_add_co_ci_u32_e32 v7, vcc_lo, s4, v7, vcc_lo
	v_add_co_u32 v6, vcc_lo, v3, v10
	s_delay_alu instid0(VALU_DEP_2) | instskip(SKIP_3) | instid1(VALU_DEP_1)
	v_add_co_ci_u32_e32 v7, vcc_lo, v7, v11, vcc_lo
	v_mad_u64_u32 v[10:11], null, v0, s12, 0
	global_load_b64 v[6:7], v[6:7], off
	v_mov_b32_e32 v3, v11
	v_mad_u64_u32 v[11:12], null, v0, s5, v[3:4]
	s_mov_b32 s5, 0
	s_waitcnt vmcnt(0)
	v_mul_f32_e32 v12, v5, v6
	v_mov_b32_e32 v3, v9
	s_delay_alu instid0(VALU_DEP_3) | instskip(NEXT) | instid1(VALU_DEP_2)
	v_lshlrev_b64 v[8:9], 3, v[10:11]
	v_lshlrev_b64 v[10:11], 3, v[2:3]
	v_mul_f32_e32 v3, v5, v7
	s_delay_alu instid0(VALU_DEP_3) | instskip(NEXT) | instid1(VALU_DEP_4)
	v_add_co_u32 v8, vcc_lo, s6, v8
	v_add_co_ci_u32_e32 v9, vcc_lo, s7, v9, vcc_lo
	s_delay_alu instid0(VALU_DEP_3) | instskip(NEXT) | instid1(VALU_DEP_3)
	v_fma_f32 v6, v6, -v4, -v3
	v_add_co_u32 v8, vcc_lo, v8, v10
	v_fma_f32 v7, v4, v7, -v12
	s_delay_alu instid0(VALU_DEP_4)
	v_add_co_ci_u32_e32 v9, vcc_lo, v9, v11, vcc_lo
	global_store_b64 v[8:9], v[6:7], off
.LBB80_15:
	s_and_not1_b32 vcc_lo, exec_lo, s5
	s_cbranch_vccnz .LBB80_17
; %bb.16:
	v_mad_u64_u32 v[6:7], null, v2, s11, 0
	v_mad_u64_u32 v[8:9], null, v0, s12, 0
	s_ashr_i32 s5, s11, 31
	s_delay_alu instid0(VALU_DEP_2) | instskip(NEXT) | instid1(VALU_DEP_2)
	v_mov_b32_e32 v3, v7
	v_mov_b32_e32 v7, v9
	s_waitcnt vmcnt(0)
	s_delay_alu instid0(VALU_DEP_2) | instskip(SKIP_2) | instid1(VALU_DEP_1)
	v_mad_u64_u32 v[9:10], null, v2, s5, v[3:4]
	v_mov_b32_e32 v3, 0
	s_ashr_i32 s5, s12, 31
	v_mov_b32_e32 v12, v3
	v_mad_u64_u32 v[10:11], null, v0, s5, v[7:8]
	s_delay_alu instid0(VALU_DEP_4) | instskip(SKIP_3) | instid1(VALU_DEP_3)
	v_mov_b32_e32 v7, v9
	s_sub_i32 s5, s16, s17
	v_lshlrev_b64 v[13:14], 3, v[2:3]
	v_add_nc_u32_e32 v11, s5, v0
	v_lshlrev_b64 v[6:7], 3, v[6:7]
	v_mov_b32_e32 v9, v10
	s_delay_alu instid0(VALU_DEP_3) | instskip(NEXT) | instid1(VALU_DEP_2)
	v_lshlrev_b64 v[10:11], 3, v[11:12]
	v_lshlrev_b64 v[8:9], 3, v[8:9]
	s_delay_alu instid0(VALU_DEP_4) | instskip(SKIP_1) | instid1(VALU_DEP_3)
	v_add_co_u32 v3, vcc_lo, s3, v6
	v_add_co_ci_u32_e32 v7, vcc_lo, s4, v7, vcc_lo
	v_add_co_u32 v8, vcc_lo, s6, v8
	s_delay_alu instid0(VALU_DEP_4) | instskip(NEXT) | instid1(VALU_DEP_4)
	v_add_co_ci_u32_e32 v9, vcc_lo, s7, v9, vcc_lo
	v_add_co_u32 v6, vcc_lo, v3, v10
	s_delay_alu instid0(VALU_DEP_4) | instskip(NEXT) | instid1(VALU_DEP_4)
	v_add_co_ci_u32_e32 v7, vcc_lo, v7, v11, vcc_lo
	v_add_co_u32 v8, vcc_lo, v8, v13
	s_delay_alu instid0(VALU_DEP_4) | instskip(SKIP_4) | instid1(VALU_DEP_1)
	v_add_co_ci_u32_e32 v9, vcc_lo, v9, v14, vcc_lo
	global_load_b64 v[6:7], v[6:7], off
	global_load_b64 v[10:11], v[8:9], off
	s_waitcnt vmcnt(0)
	v_dual_add_f32 v6, v6, v10 :: v_dual_sub_f32 v3, v11, v7
	v_mul_f32_e32 v7, v4, v6
	s_delay_alu instid0(VALU_DEP_2) | instskip(NEXT) | instid1(VALU_DEP_2)
	v_mul_f32_e32 v4, v4, v3
	v_fma_f32 v3, v5, v3, -v7
	s_delay_alu instid0(VALU_DEP_2)
	v_fma_f32 v4, v6, -v5, -v4
	global_store_b64 v[8:9], v[3:4], off
.LBB80_17:
	s_or_b32 exec_lo, exec_lo, s0
	s_mov_b32 s0, 0
.LBB80_18:
	s_delay_alu instid0(SALU_CYCLE_1)
	s_and_not1_b32 vcc_lo, exec_lo, s0
	s_cbranch_vccnz .LBB80_34
; %bb.19:
	s_mov_b32 s0, exec_lo
	v_cmpx_ge_u32_e64 v2, v0
	s_xor_b32 s0, exec_lo, s0
	s_cbranch_execz .LBB80_21
; %bb.20:
	s_waitcnt vmcnt(0)
	v_mad_u64_u32 v[4:5], null, v0, s12, 0
	v_mov_b32_e32 v3, 0
	s_ashr_i32 s5, s12, 31
	s_delay_alu instid0(VALU_DEP_2) | instskip(NEXT) | instid1(VALU_DEP_1)
	v_mov_b32_e32 v1, v5
	v_mad_u64_u32 v[5:6], null, v0, s5, v[1:2]
	s_delay_alu instid0(VALU_DEP_1) | instskip(SKIP_2) | instid1(VALU_DEP_3)
	v_lshlrev_b64 v[0:1], 3, v[4:5]
	v_lshlrev_b64 v[4:5], 3, v[2:3]
	v_mov_b32_e32 v2, v3
	v_add_co_u32 v0, vcc_lo, s6, v0
	s_delay_alu instid0(VALU_DEP_4) | instskip(NEXT) | instid1(VALU_DEP_2)
	v_add_co_ci_u32_e32 v1, vcc_lo, s7, v1, vcc_lo
	v_add_co_u32 v0, vcc_lo, v0, v4
	s_delay_alu instid0(VALU_DEP_2)
	v_add_co_ci_u32_e32 v1, vcc_lo, v1, v5, vcc_lo
	global_store_b64 v[0:1], v[2:3], off
                                        ; implicit-def: $vgpr0_vgpr1
                                        ; implicit-def: $vgpr2_vgpr3
.LBB80_21:
	s_and_not1_saveexec_b32 s0, s0
	s_cbranch_execz .LBB80_33
; %bb.22:
	v_lshlrev_b64 v[6:7], 3, v[0:1]
	v_cndmask_b32_e64 v1, 0, 1, s2
	s_cmpk_lg_i32 s1, 0xb5
	s_mov_b32 s1, -1
	s_delay_alu instid0(VALU_DEP_2)
	v_add_co_u32 v3, vcc_lo, s13, v6
	s_waitcnt vmcnt(0)
	v_add_co_ci_u32_e32 v4, vcc_lo, s14, v7, vcc_lo
	v_cmp_ne_u32_e32 vcc_lo, 1, v1
	global_load_b64 v[4:5], v[3:4], off
	s_cbranch_scc0 .LBB80_28
; %bb.23:
	v_mov_b32_e32 v3, 0
	s_and_b32 vcc_lo, exec_lo, vcc_lo
	s_delay_alu instid0(VALU_DEP_1)
	v_lshlrev_b64 v[8:9], 3, v[2:3]
	s_cbranch_vccnz .LBB80_25
; %bb.24:
	v_mad_u64_u32 v[10:11], null, v0, s11, 0
	s_ashr_i32 s1, s11, 31
	s_delay_alu instid0(VALU_DEP_1) | instskip(NEXT) | instid1(VALU_DEP_1)
	v_mov_b32_e32 v1, v11
	v_mad_u64_u32 v[11:12], null, v0, s1, v[1:2]
	v_mad_u64_u32 v[12:13], null, v0, s12, 0
	s_ashr_i32 s1, s12, 31
	s_delay_alu instid0(VALU_DEP_2) | instskip(NEXT) | instid1(VALU_DEP_1)
	v_lshlrev_b64 v[10:11], 3, v[10:11]
	v_add_co_u32 v1, vcc_lo, s3, v10
	s_delay_alu instid0(VALU_DEP_2) | instskip(NEXT) | instid1(VALU_DEP_2)
	v_add_co_ci_u32_e32 v3, vcc_lo, s4, v11, vcc_lo
	v_add_co_u32 v10, vcc_lo, v1, v8
	s_delay_alu instid0(VALU_DEP_2) | instskip(SKIP_4) | instid1(VALU_DEP_1)
	v_add_co_ci_u32_e32 v11, vcc_lo, v3, v9, vcc_lo
	v_mov_b32_e32 v1, v13
	global_load_b64 v[10:11], v[10:11], off
	v_mad_u64_u32 v[13:14], null, v0, s1, v[1:2]
	s_mov_b32 s1, 0
	v_lshlrev_b64 v[12:13], 3, v[12:13]
	s_delay_alu instid0(VALU_DEP_1) | instskip(NEXT) | instid1(VALU_DEP_2)
	v_add_co_u32 v14, vcc_lo, s6, v12
	v_add_co_ci_u32_e32 v15, vcc_lo, s7, v13, vcc_lo
	s_delay_alu instid0(VALU_DEP_2) | instskip(NEXT) | instid1(VALU_DEP_2)
	v_add_co_u32 v13, vcc_lo, v14, v8
	v_add_co_ci_u32_e32 v14, vcc_lo, v15, v9, vcc_lo
	s_waitcnt vmcnt(0)
	v_mul_f32_e32 v1, v4, v10
	v_mul_f32_e32 v3, v4, v11
	s_delay_alu instid0(VALU_DEP_2) | instskip(NEXT) | instid1(VALU_DEP_2)
	v_fma_f32 v11, v5, v11, -v1
	v_fma_f32 v12, v10, -v5, -v3
	global_store_b64 v[13:14], v[11:12], off
.LBB80_25:
	s_and_not1_b32 vcc_lo, exec_lo, s1
	s_cbranch_vccnz .LBB80_27
; %bb.26:
	v_mad_u64_u32 v[10:11], null, v0, s12, 0
	v_mad_u64_u32 v[12:13], null, v0, s11, 0
	s_ashr_i32 s1, s12, 31
	s_delay_alu instid0(VALU_DEP_2) | instskip(NEXT) | instid1(VALU_DEP_2)
	v_mov_b32_e32 v1, v11
	v_mov_b32_e32 v3, v13
	s_delay_alu instid0(VALU_DEP_2) | instskip(SKIP_2) | instid1(VALU_DEP_2)
	v_mad_u64_u32 v[13:14], null, v0, s1, v[1:2]
	s_ashr_i32 s1, s11, 31
	s_waitcnt vmcnt(0)
	v_mad_u64_u32 v[14:15], null, v0, s1, v[3:4]
	s_delay_alu instid0(VALU_DEP_2) | instskip(NEXT) | instid1(VALU_DEP_2)
	v_mov_b32_e32 v11, v13
	v_mov_b32_e32 v13, v14
	s_delay_alu instid0(VALU_DEP_2) | instskip(NEXT) | instid1(VALU_DEP_2)
	v_lshlrev_b64 v[10:11], 3, v[10:11]
	v_lshlrev_b64 v[12:13], 3, v[12:13]
	s_delay_alu instid0(VALU_DEP_2) | instskip(NEXT) | instid1(VALU_DEP_3)
	v_add_co_u32 v1, vcc_lo, s6, v10
	v_add_co_ci_u32_e32 v3, vcc_lo, s7, v11, vcc_lo
	s_delay_alu instid0(VALU_DEP_3) | instskip(NEXT) | instid1(VALU_DEP_4)
	v_add_co_u32 v12, vcc_lo, s3, v12
	v_add_co_ci_u32_e32 v13, vcc_lo, s4, v13, vcc_lo
	s_delay_alu instid0(VALU_DEP_4) | instskip(NEXT) | instid1(VALU_DEP_4)
	v_add_co_u32 v10, vcc_lo, v1, v8
	v_add_co_ci_u32_e32 v11, vcc_lo, v3, v9, vcc_lo
	s_delay_alu instid0(VALU_DEP_4) | instskip(NEXT) | instid1(VALU_DEP_4)
	v_add_co_u32 v8, vcc_lo, v12, v8
	v_add_co_ci_u32_e32 v9, vcc_lo, v13, v9, vcc_lo
	global_load_b64 v[12:13], v[10:11], off
	global_load_b64 v[8:9], v[8:9], off
	s_waitcnt vmcnt(0)
	v_add_f32_e32 v1, v8, v12
	v_add_f32_e32 v3, v9, v13
	s_delay_alu instid0(VALU_DEP_2) | instskip(NEXT) | instid1(VALU_DEP_2)
	v_mul_f32_e32 v8, v4, v1
	v_mul_f32_e32 v9, v4, v3
	s_delay_alu instid0(VALU_DEP_2) | instskip(NEXT) | instid1(VALU_DEP_2)
	v_fma_f32 v8, v5, v3, -v8
	v_fma_f32 v9, v1, -v5, -v9
	global_store_b64 v[10:11], v[8:9], off
.LBB80_27:
	s_mov_b32 s1, 0
.LBB80_28:
	s_delay_alu instid0(SALU_CYCLE_1)
	s_and_not1_b32 vcc_lo, exec_lo, s1
	s_cbranch_vccnz .LBB80_33
; %bb.29:
	v_mov_b32_e32 v3, 0
	s_and_not1_b32 vcc_lo, exec_lo, s2
	s_mov_b32 s1, -1
	s_delay_alu instid0(VALU_DEP_1)
	v_lshlrev_b64 v[8:9], 3, v[2:3]
	s_cbranch_vccnz .LBB80_31
; %bb.30:
	v_mad_u64_u32 v[10:11], null, v2, s11, 0
	s_ashr_i32 s1, s11, 31
	s_delay_alu instid0(VALU_DEP_1) | instskip(NEXT) | instid1(VALU_DEP_1)
	v_mov_b32_e32 v1, v11
	v_mad_u64_u32 v[11:12], null, v2, s1, v[1:2]
	v_mad_u64_u32 v[12:13], null, v0, s12, 0
	s_ashr_i32 s1, s12, 31
	s_delay_alu instid0(VALU_DEP_2) | instskip(NEXT) | instid1(VALU_DEP_1)
	v_lshlrev_b64 v[10:11], 3, v[10:11]
	v_add_co_u32 v1, vcc_lo, s3, v10
	s_delay_alu instid0(VALU_DEP_2) | instskip(NEXT) | instid1(VALU_DEP_2)
	v_add_co_ci_u32_e32 v3, vcc_lo, s4, v11, vcc_lo
	v_add_co_u32 v10, vcc_lo, v1, v6
	s_delay_alu instid0(VALU_DEP_2) | instskip(SKIP_4) | instid1(VALU_DEP_1)
	v_add_co_ci_u32_e32 v11, vcc_lo, v3, v7, vcc_lo
	v_mov_b32_e32 v1, v13
	global_load_b64 v[10:11], v[10:11], off
	v_mad_u64_u32 v[13:14], null, v0, s1, v[1:2]
	s_mov_b32 s1, 0
	v_lshlrev_b64 v[12:13], 3, v[12:13]
	s_delay_alu instid0(VALU_DEP_1) | instskip(NEXT) | instid1(VALU_DEP_2)
	v_add_co_u32 v12, vcc_lo, s6, v12
	v_add_co_ci_u32_e32 v13, vcc_lo, s7, v13, vcc_lo
	s_delay_alu instid0(VALU_DEP_2) | instskip(NEXT) | instid1(VALU_DEP_2)
	v_add_co_u32 v12, vcc_lo, v12, v8
	v_add_co_ci_u32_e32 v13, vcc_lo, v13, v9, vcc_lo
	s_waitcnt vmcnt(0)
	v_mul_f32_e32 v1, v5, v11
	v_mul_f32_e32 v3, v5, v10
	s_delay_alu instid0(VALU_DEP_2) | instskip(NEXT) | instid1(VALU_DEP_2)
	v_fma_f32 v10, v10, -v4, -v1
	v_fma_f32 v11, v4, v11, -v3
	global_store_b64 v[12:13], v[10:11], off
.LBB80_31:
	s_and_not1_b32 vcc_lo, exec_lo, s1
	s_cbranch_vccnz .LBB80_33
; %bb.32:
	v_mad_u64_u32 v[10:11], null, v2, s11, 0
	v_mad_u64_u32 v[12:13], null, v0, s12, 0
	s_ashr_i32 s1, s11, 31
	s_delay_alu instid0(VALU_DEP_2) | instskip(NEXT) | instid1(VALU_DEP_2)
	v_mov_b32_e32 v1, v11
	v_mov_b32_e32 v3, v13
	s_delay_alu instid0(VALU_DEP_2) | instskip(SKIP_2) | instid1(VALU_DEP_2)
	v_mad_u64_u32 v[13:14], null, v2, s1, v[1:2]
	s_ashr_i32 s1, s12, 31
	s_waitcnt vmcnt(0)
	v_mad_u64_u32 v[1:2], null, v0, s1, v[3:4]
	s_delay_alu instid0(VALU_DEP_2) | instskip(NEXT) | instid1(VALU_DEP_2)
	v_mov_b32_e32 v11, v13
	v_mov_b32_e32 v13, v1
	s_delay_alu instid0(VALU_DEP_2) | instskip(NEXT) | instid1(VALU_DEP_2)
	v_lshlrev_b64 v[0:1], 3, v[10:11]
	v_lshlrev_b64 v[2:3], 3, v[12:13]
	s_delay_alu instid0(VALU_DEP_2) | instskip(NEXT) | instid1(VALU_DEP_3)
	v_add_co_u32 v0, vcc_lo, s3, v0
	v_add_co_ci_u32_e32 v1, vcc_lo, s4, v1, vcc_lo
	s_delay_alu instid0(VALU_DEP_3) | instskip(NEXT) | instid1(VALU_DEP_4)
	v_add_co_u32 v2, vcc_lo, s6, v2
	v_add_co_ci_u32_e32 v3, vcc_lo, s7, v3, vcc_lo
	s_delay_alu instid0(VALU_DEP_4) | instskip(NEXT) | instid1(VALU_DEP_4)
	v_add_co_u32 v0, vcc_lo, v0, v6
	v_add_co_ci_u32_e32 v1, vcc_lo, v1, v7, vcc_lo
	s_delay_alu instid0(VALU_DEP_4) | instskip(NEXT) | instid1(VALU_DEP_4)
	v_add_co_u32 v2, vcc_lo, v2, v8
	v_add_co_ci_u32_e32 v3, vcc_lo, v3, v9, vcc_lo
	global_load_b64 v[0:1], v[0:1], off
	global_load_b64 v[6:7], v[2:3], off
	s_waitcnt vmcnt(0)
	v_add_f32_e32 v6, v0, v6
	s_delay_alu instid0(VALU_DEP_1) | instskip(NEXT) | instid1(VALU_DEP_1)
	v_dual_sub_f32 v0, v7, v1 :: v_dual_mul_f32 v1, v4, v6
	v_mul_f32_e32 v4, v4, v0
	s_delay_alu instid0(VALU_DEP_2) | instskip(NEXT) | instid1(VALU_DEP_2)
	v_fma_f32 v0, v5, v0, -v1
	v_fma_f32 v1, v6, -v5, -v4
	global_store_b64 v[2:3], v[0:1], off
.LBB80_33:
	s_or_b32 exec_lo, exec_lo, s0
                                        ; implicit-def: $vgpr0_vgpr1
.LBB80_34:
	s_and_not1_saveexec_b32 s0, s18
	s_cbranch_execz .LBB80_36
; %bb.35:
	s_waitcnt vmcnt(0)
	v_mad_u64_u32 v[5:6], null, v0, s12, 0
	s_ashr_i32 s0, s12, 31
	s_delay_alu instid0(VALU_DEP_1) | instid1(SALU_CYCLE_1)
	v_mad_u64_u32 v[7:8], null, v0, s0, v[6:7]
	s_delay_alu instid0(VALU_DEP_1) | instskip(NEXT) | instid1(VALU_DEP_1)
	v_dual_mov_b32 v1, 0 :: v_dual_mov_b32 v6, v7
	v_lshlrev_b64 v[1:2], 3, v[0:1]
	s_delay_alu instid0(VALU_DEP_2) | instskip(NEXT) | instid1(VALU_DEP_2)
	v_lshlrev_b64 v[5:6], 3, v[5:6]
	v_add_co_u32 v3, vcc_lo, s13, v1
	s_delay_alu instid0(VALU_DEP_3) | instskip(NEXT) | instid1(VALU_DEP_3)
	v_add_co_ci_u32_e32 v4, vcc_lo, s14, v2, vcc_lo
	v_add_co_u32 v0, vcc_lo, s6, v5
	s_delay_alu instid0(VALU_DEP_4)
	v_add_co_ci_u32_e32 v5, vcc_lo, s7, v6, vcc_lo
	global_load_b64 v[3:4], v[3:4], off
	v_add_co_u32 v0, vcc_lo, v0, v1
	v_add_co_ci_u32_e32 v1, vcc_lo, v5, v2, vcc_lo
	s_waitcnt vmcnt(0)
	global_store_b64 v[0:1], v[3:4], off
.LBB80_36:
	s_nop 0
	s_sendmsg sendmsg(MSG_DEALLOC_VGPRS)
	s_endpgm
	.section	.rodata,"a",@progbits
	.p2align	6, 0x0
	.amdhsa_kernel _ZN9rocsolver6v33100L14set_triangularI19rocblas_complex_numIfEPS3_TnNSt9enable_ifIX18rocblas_is_complexIT_EEiE4typeELi0EEEviiT0_iilPS6_lSA_il15rocblas_direct_15rocblas_storev_b
		.amdhsa_group_segment_fixed_size 0
		.amdhsa_private_segment_fixed_size 0
		.amdhsa_kernarg_size 344
		.amdhsa_user_sgpr_count 13
		.amdhsa_user_sgpr_dispatch_ptr 0
		.amdhsa_user_sgpr_queue_ptr 0
		.amdhsa_user_sgpr_kernarg_segment_ptr 1
		.amdhsa_user_sgpr_dispatch_id 0
		.amdhsa_user_sgpr_private_segment_size 0
		.amdhsa_wavefront_size32 1
		.amdhsa_uses_dynamic_stack 0
		.amdhsa_enable_private_segment 0
		.amdhsa_system_sgpr_workgroup_id_x 1
		.amdhsa_system_sgpr_workgroup_id_y 1
		.amdhsa_system_sgpr_workgroup_id_z 1
		.amdhsa_system_sgpr_workgroup_info 0
		.amdhsa_system_vgpr_workitem_id 1
		.amdhsa_next_free_vgpr 16
		.amdhsa_next_free_sgpr 22
		.amdhsa_reserve_vcc 1
		.amdhsa_float_round_mode_32 0
		.amdhsa_float_round_mode_16_64 0
		.amdhsa_float_denorm_mode_32 3
		.amdhsa_float_denorm_mode_16_64 3
		.amdhsa_dx10_clamp 1
		.amdhsa_ieee_mode 1
		.amdhsa_fp16_overflow 0
		.amdhsa_workgroup_processor_mode 1
		.amdhsa_memory_ordered 1
		.amdhsa_forward_progress 0
		.amdhsa_shared_vgpr_count 0
		.amdhsa_exception_fp_ieee_invalid_op 0
		.amdhsa_exception_fp_denorm_src 0
		.amdhsa_exception_fp_ieee_div_zero 0
		.amdhsa_exception_fp_ieee_overflow 0
		.amdhsa_exception_fp_ieee_underflow 0
		.amdhsa_exception_fp_ieee_inexact 0
		.amdhsa_exception_int_div_zero 0
	.end_amdhsa_kernel
	.section	.text._ZN9rocsolver6v33100L14set_triangularI19rocblas_complex_numIfEPS3_TnNSt9enable_ifIX18rocblas_is_complexIT_EEiE4typeELi0EEEviiT0_iilPS6_lSA_il15rocblas_direct_15rocblas_storev_b,"axG",@progbits,_ZN9rocsolver6v33100L14set_triangularI19rocblas_complex_numIfEPS3_TnNSt9enable_ifIX18rocblas_is_complexIT_EEiE4typeELi0EEEviiT0_iilPS6_lSA_il15rocblas_direct_15rocblas_storev_b,comdat
.Lfunc_end80:
	.size	_ZN9rocsolver6v33100L14set_triangularI19rocblas_complex_numIfEPS3_TnNSt9enable_ifIX18rocblas_is_complexIT_EEiE4typeELi0EEEviiT0_iilPS6_lSA_il15rocblas_direct_15rocblas_storev_b, .Lfunc_end80-_ZN9rocsolver6v33100L14set_triangularI19rocblas_complex_numIfEPS3_TnNSt9enable_ifIX18rocblas_is_complexIT_EEiE4typeELi0EEEviiT0_iilPS6_lSA_il15rocblas_direct_15rocblas_storev_b
                                        ; -- End function
	.section	.AMDGPU.csdata,"",@progbits
; Kernel info:
; codeLenInByte = 2748
; NumSgprs: 24
; NumVgprs: 16
; ScratchSize: 0
; MemoryBound: 0
; FloatMode: 240
; IeeeMode: 1
; LDSByteSize: 0 bytes/workgroup (compile time only)
; SGPRBlocks: 2
; VGPRBlocks: 1
; NumSGPRsForWavesPerEU: 24
; NumVGPRsForWavesPerEU: 16
; Occupancy: 16
; WaveLimiterHint : 0
; COMPUTE_PGM_RSRC2:SCRATCH_EN: 0
; COMPUTE_PGM_RSRC2:USER_SGPR: 13
; COMPUTE_PGM_RSRC2:TRAP_HANDLER: 0
; COMPUTE_PGM_RSRC2:TGID_X_EN: 1
; COMPUTE_PGM_RSRC2:TGID_Y_EN: 1
; COMPUTE_PGM_RSRC2:TGID_Z_EN: 1
; COMPUTE_PGM_RSRC2:TIDIG_COMP_CNT: 1
	.section	.text._ZN9rocsolver6v33100L7set_tauI19rocblas_complex_numIfEEEviPT_l,"axG",@progbits,_ZN9rocsolver6v33100L7set_tauI19rocblas_complex_numIfEEEviPT_l,comdat
	.globl	_ZN9rocsolver6v33100L7set_tauI19rocblas_complex_numIfEEEviPT_l ; -- Begin function _ZN9rocsolver6v33100L7set_tauI19rocblas_complex_numIfEEEviPT_l
	.p2align	8
	.type	_ZN9rocsolver6v33100L7set_tauI19rocblas_complex_numIfEEEviPT_l,@function
_ZN9rocsolver6v33100L7set_tauI19rocblas_complex_numIfEEEviPT_l: ; @_ZN9rocsolver6v33100L7set_tauI19rocblas_complex_numIfEEEviPT_l
; %bb.0:
	s_clause 0x1
	s_load_b32 s2, s[0:1], 0x24
	s_load_b32 s3, s[0:1], 0x0
	s_waitcnt lgkmcnt(0)
	s_and_b32 s2, s2, 0xffff
	s_delay_alu instid0(SALU_CYCLE_1) | instskip(SKIP_1) | instid1(VALU_DEP_1)
	v_mad_u64_u32 v[1:2], null, s14, s2, v[0:1]
	s_mov_b32 s2, exec_lo
	v_cmpx_gt_u32_e64 s3, v1
	s_cbranch_execz .LBB81_2
; %bb.1:
	s_load_b128 s[0:3], s[0:1], 0x8
	v_mov_b32_e32 v2, 0
	s_delay_alu instid0(VALU_DEP_1)
	v_lshlrev_b64 v[0:1], 3, v[1:2]
	s_waitcnt lgkmcnt(0)
	s_mul_i32 s3, s15, s3
	s_mul_hi_u32 s4, s15, s2
	s_mul_i32 s2, s15, s2
	s_add_i32 s3, s4, s3
	s_delay_alu instid0(SALU_CYCLE_1) | instskip(NEXT) | instid1(SALU_CYCLE_1)
	s_lshl_b64 s[2:3], s[2:3], 3
	s_add_u32 s0, s0, s2
	s_addc_u32 s1, s1, s3
	v_add_co_u32 v0, vcc_lo, s0, v0
	v_add_co_ci_u32_e32 v1, vcc_lo, s1, v1, vcc_lo
	global_load_b64 v[2:3], v[0:1], off
	s_waitcnt vmcnt(0)
	v_xor_b32_e32 v2, 0x80000000, v2
	v_xor_b32_e32 v3, 0x80000000, v3
	global_store_b64 v[0:1], v[2:3], off
.LBB81_2:
	s_nop 0
	s_sendmsg sendmsg(MSG_DEALLOC_VGPRS)
	s_endpgm
	.section	.rodata,"a",@progbits
	.p2align	6, 0x0
	.amdhsa_kernel _ZN9rocsolver6v33100L7set_tauI19rocblas_complex_numIfEEEviPT_l
		.amdhsa_group_segment_fixed_size 0
		.amdhsa_private_segment_fixed_size 0
		.amdhsa_kernarg_size 280
		.amdhsa_user_sgpr_count 14
		.amdhsa_user_sgpr_dispatch_ptr 0
		.amdhsa_user_sgpr_queue_ptr 0
		.amdhsa_user_sgpr_kernarg_segment_ptr 1
		.amdhsa_user_sgpr_dispatch_id 0
		.amdhsa_user_sgpr_private_segment_size 0
		.amdhsa_wavefront_size32 1
		.amdhsa_uses_dynamic_stack 0
		.amdhsa_enable_private_segment 0
		.amdhsa_system_sgpr_workgroup_id_x 1
		.amdhsa_system_sgpr_workgroup_id_y 1
		.amdhsa_system_sgpr_workgroup_id_z 0
		.amdhsa_system_sgpr_workgroup_info 0
		.amdhsa_system_vgpr_workitem_id 0
		.amdhsa_next_free_vgpr 4
		.amdhsa_next_free_sgpr 16
		.amdhsa_reserve_vcc 1
		.amdhsa_float_round_mode_32 0
		.amdhsa_float_round_mode_16_64 0
		.amdhsa_float_denorm_mode_32 3
		.amdhsa_float_denorm_mode_16_64 3
		.amdhsa_dx10_clamp 1
		.amdhsa_ieee_mode 1
		.amdhsa_fp16_overflow 0
		.amdhsa_workgroup_processor_mode 1
		.amdhsa_memory_ordered 1
		.amdhsa_forward_progress 0
		.amdhsa_shared_vgpr_count 0
		.amdhsa_exception_fp_ieee_invalid_op 0
		.amdhsa_exception_fp_denorm_src 0
		.amdhsa_exception_fp_ieee_div_zero 0
		.amdhsa_exception_fp_ieee_overflow 0
		.amdhsa_exception_fp_ieee_underflow 0
		.amdhsa_exception_fp_ieee_inexact 0
		.amdhsa_exception_int_div_zero 0
	.end_amdhsa_kernel
	.section	.text._ZN9rocsolver6v33100L7set_tauI19rocblas_complex_numIfEEEviPT_l,"axG",@progbits,_ZN9rocsolver6v33100L7set_tauI19rocblas_complex_numIfEEEviPT_l,comdat
.Lfunc_end81:
	.size	_ZN9rocsolver6v33100L7set_tauI19rocblas_complex_numIfEEEviPT_l, .Lfunc_end81-_ZN9rocsolver6v33100L7set_tauI19rocblas_complex_numIfEEEviPT_l
                                        ; -- End function
	.section	.AMDGPU.csdata,"",@progbits
; Kernel info:
; codeLenInByte = 180
; NumSgprs: 18
; NumVgprs: 4
; ScratchSize: 0
; MemoryBound: 0
; FloatMode: 240
; IeeeMode: 1
; LDSByteSize: 0 bytes/workgroup (compile time only)
; SGPRBlocks: 2
; VGPRBlocks: 0
; NumSGPRsForWavesPerEU: 18
; NumVGPRsForWavesPerEU: 4
; Occupancy: 16
; WaveLimiterHint : 0
; COMPUTE_PGM_RSRC2:SCRATCH_EN: 0
; COMPUTE_PGM_RSRC2:USER_SGPR: 14
; COMPUTE_PGM_RSRC2:TRAP_HANDLER: 0
; COMPUTE_PGM_RSRC2:TGID_X_EN: 1
; COMPUTE_PGM_RSRC2:TGID_Y_EN: 1
; COMPUTE_PGM_RSRC2:TGID_Z_EN: 0
; COMPUTE_PGM_RSRC2:TIDIG_COMP_CNT: 0
	.section	.text._ZN9rocsolver6v33100L20larft_kernel_forwardI19rocblas_complex_numIfEPS3_EEv15rocblas_storev_iiT0_iilPT_lS8_il,"axG",@progbits,_ZN9rocsolver6v33100L20larft_kernel_forwardI19rocblas_complex_numIfEPS3_EEv15rocblas_storev_iiT0_iilPT_lS8_il,comdat
	.globl	_ZN9rocsolver6v33100L20larft_kernel_forwardI19rocblas_complex_numIfEPS3_EEv15rocblas_storev_iiT0_iilPT_lS8_il ; -- Begin function _ZN9rocsolver6v33100L20larft_kernel_forwardI19rocblas_complex_numIfEPS3_EEv15rocblas_storev_iiT0_iilPT_lS8_il
	.p2align	8
	.type	_ZN9rocsolver6v33100L20larft_kernel_forwardI19rocblas_complex_numIfEPS3_EEv15rocblas_storev_iiT0_iilPT_lS8_il,@function
_ZN9rocsolver6v33100L20larft_kernel_forwardI19rocblas_complex_numIfEPS3_EEv15rocblas_storev_iiT0_iilPT_lS8_il: ; @_ZN9rocsolver6v33100L20larft_kernel_forwardI19rocblas_complex_numIfEPS3_EEv15rocblas_storev_iiT0_iilPT_lS8_il
; %bb.0:
	s_clause 0x4
	s_load_b64 s[20:21], s[0:1], 0x48
	s_load_b128 s[16:19], s[0:1], 0x0
	s_load_b32 s13, s[0:1], 0x5c
	s_load_b256 s[4:11], s[0:1], 0x20
	s_load_b32 s3, s[0:1], 0x40
	s_ashr_i32 s12, s15, 31
	v_lshlrev_b32_e32 v6, 3, v0
	s_waitcnt lgkmcnt(0)
	s_mul_i32 s2, s15, s21
	s_mul_hi_u32 s14, s15, s20
	s_mul_i32 s19, s12, s20
	s_add_i32 s2, s14, s2
	s_mul_i32 s20, s15, s20
	s_add_i32 s21, s2, s19
	v_cmp_gt_i32_e64 s2, s18, v0
	s_lshl_b64 s[20:21], s[20:21], 3
	s_and_b32 s19, s13, 0xffff
	s_add_u32 s26, s10, s20
	s_addc_u32 s27, s11, s21
	s_and_saveexec_b32 s10, s2
	s_cbranch_execz .LBB82_5
; %bb.1:
	v_add_nc_u32_e32 v1, 8, v6
	s_lshl_b32 s13, s18, 3
	v_mov_b32_e32 v5, v0
	s_add_i32 s14, s13, 8
	s_add_i32 s20, s3, 1
	v_mul_lo_u32 v3, s18, v1
	v_mad_u64_u32 v[1:2], null, v0, s3, v[0:1]
	s_mov_b32 s11, 0
	s_mul_i32 s14, s14, s19
	s_mul_i32 s20, s20, s19
	s_delay_alu instid0(VALU_DEP_2)
	v_add3_u32 v4, v3, v6, 0
	.p2align	6
.LBB82_2:                               ; =>This Loop Header: Depth=1
                                        ;     Child Loop BB82_3 Depth 2
	s_delay_alu instid0(VALU_DEP_1)
	v_dual_mov_b32 v2, v1 :: v_dual_mov_b32 v7, v4
	v_mov_b32_e32 v8, v5
	s_mov_b32 s21, 0
	.p2align	6
.LBB82_3:                               ;   Parent Loop BB82_2 Depth=1
                                        ; =>  This Inner Loop Header: Depth=2
	s_delay_alu instid0(VALU_DEP_2) | instskip(NEXT) | instid1(VALU_DEP_2)
	v_ashrrev_i32_e32 v3, 31, v2
	v_add_nc_u32_e32 v8, 1, v8
	s_delay_alu instid0(VALU_DEP_2) | instskip(SKIP_1) | instid1(VALU_DEP_2)
	v_lshlrev_b64 v[9:10], 3, v[2:3]
	v_add_nc_u32_e32 v2, s3, v2
	v_add_co_u32 v9, vcc_lo, s26, v9
	s_delay_alu instid0(VALU_DEP_3)
	v_add_co_ci_u32_e32 v10, vcc_lo, s27, v10, vcc_lo
	v_cmp_le_i32_e32 vcc_lo, s18, v8
	global_load_b64 v[9:10], v[9:10], off
	s_or_b32 s21, vcc_lo, s21
	s_waitcnt vmcnt(0)
	ds_store_b64 v7, v[9:10]
	v_add_nc_u32_e32 v7, s13, v7
	s_and_not1_b32 exec_lo, exec_lo, s21
	s_cbranch_execnz .LBB82_3
; %bb.4:                                ;   in Loop: Header=BB82_2 Depth=1
	s_or_b32 exec_lo, exec_lo, s21
	v_add_nc_u32_e32 v5, s19, v5
	v_add_nc_u32_e32 v4, s14, v4
	;; [unrolled: 1-line block ×3, first 2 shown]
	s_delay_alu instid0(VALU_DEP_3) | instskip(SKIP_1) | instid1(SALU_CYCLE_1)
	v_cmp_le_i32_e32 vcc_lo, s18, v5
	s_or_b32 s11, vcc_lo, s11
	s_and_not1_b32 exec_lo, exec_lo, s11
	s_cbranch_execnz .LBB82_2
.LBB82_5:
	s_or_b32 exec_lo, exec_lo, s10
	s_cmp_lt_i32 s18, 2
	s_waitcnt lgkmcnt(0)
	s_barrier
	buffer_gl0_inv
	s_cbranch_scc1 .LBB82_29
; %bb.6:
	s_load_b128 s[20:23], s[0:1], 0x10
	s_mul_i32 s1, s15, s9
	s_mul_hi_u32 s10, s15, s8
	s_mul_i32 s11, s12, s8
	s_add_i32 s1, s10, s1
	s_mul_i32 s0, s15, s8
	s_add_i32 s1, s1, s11
	s_mul_i32 s12, s4, s12
	s_lshl_b64 s[0:1], s[0:1], 3
	s_mul_hi_u32 s13, s4, s15
	s_mul_i32 s5, s5, s15
	v_add_nc_u32_e32 v3, 8, v6
	s_mul_i32 s4, s4, s15
	v_add_nc_u32_e32 v9, 0, v6
	s_mov_b32 s9, 0
	s_mov_b32 s8, 1
	v_mul_lo_u32 v3, s18, v3
	s_waitcnt lgkmcnt(0)
	s_ashr_i32 s11, s22, 31
	s_add_u32 s28, s6, s0
	s_addc_u32 s29, s7, s1
	s_lshl_b32 s30, s18, 3
	s_mov_b32 s10, s22
	s_add_i32 s31, s30, 0
	s_cmpk_lg_i32 s16, 0xb5
	s_mov_b32 s0, s23
	s_cselect_b32 s16, -1, 0
	s_add_i32 s1, s13, s12
	s_lshl_b64 s[12:13], s[10:11], 3
	s_add_i32 s5, s1, s5
	v_mul_lo_u32 v7, v0, s23
	s_lshl_b64 s[4:5], s[4:5], 3
	s_add_u32 s22, s20, s12
	s_addc_u32 s33, s21, s13
	s_ashr_i32 s1, s23, 31
	s_lshl_b32 s6, s23, 1
	s_lshl_b64 s[10:11], s[0:1], 3
	v_add_co_u32 v1, s0, s4, v6
	s_lshl_b32 s34, s19, 3
	v_add_co_ci_u32_e64 v2, null, s5, 0, s0
	s_add_u32 s0, s4, s12
	s_addc_u32 s1, s5, s13
	s_add_u32 s0, s0, s20
	s_addc_u32 s1, s1, s21
	s_add_u32 s12, s0, 16
	v_add3_u32 v8, v3, v6, 0
	s_addc_u32 s13, s1, 0
	s_add_i32 s36, s30, 8
	s_mul_i32 s35, s23, s19
	s_mul_i32 s36, s36, s19
	s_mov_b32 s14, s23
	s_branch .LBB82_8
.LBB82_7:                               ;   in Loop: Header=BB82_8 Depth=1
	s_set_inst_prefetch_distance 0x2
	s_or_b32 exec_lo, exec_lo, s0
	s_add_i32 s8, s8, 1
	s_add_u32 s4, s4, 8
	s_addc_u32 s5, s5, 0
	s_add_i32 s6, s6, s23
	s_add_u32 s12, s12, 8
	s_addc_u32 s13, s13, 0
	s_add_i32 s14, s14, s23
	s_cmp_eq_u32 s8, s18
	s_waitcnt lgkmcnt(0)
	s_barrier
	buffer_gl0_inv
	s_cbranch_scc1 .LBB82_29
.LBB82_8:                               ; =>This Loop Header: Depth=1
                                        ;     Child Loop BB82_12 Depth 2
                                        ;       Child Loop BB82_14 Depth 3
                                        ;     Child Loop BB82_20 Depth 2
                                        ;       Child Loop BB82_22 Depth 3
	;; [unrolled: 2-line block ×3, first 2 shown]
	s_mul_i32 s0, s8, s18
	s_not_b32 s38, s8
	s_lshl_b32 s0, s0, 3
	s_add_i32 s38, s38, s17
	s_add_i32 s37, s31, s0
	v_cmp_gt_u32_e64 s0, s8, v0
	s_and_b32 vcc_lo, exec_lo, s16
	s_mov_b32 s1, -1
	s_cbranch_vccz .LBB82_16
; %bb.9:                                ;   in Loop: Header=BB82_8 Depth=1
	s_delay_alu instid0(VALU_DEP_1)
	s_and_saveexec_b32 s15, s0
	s_cbranch_execz .LBB82_15
; %bb.10:                               ;   in Loop: Header=BB82_8 Depth=1
	s_ashr_i32 s7, s6, 31
	v_dual_mov_b32 v4, v2 :: v_dual_mov_b32 v3, v1
	s_lshl_b64 s[0:1], s[6:7], 3
	v_mov_b32_e32 v5, v0
	s_add_u32 s20, s22, s0
	s_addc_u32 s21, s33, s1
	s_cmp_gt_i32 s38, 0
	s_mov_b32 s39, 0
	s_cselect_b32 s7, -1, 0
	s_lshl_b64 s[0:1], s[8:9], 3
	s_delay_alu instid0(SALU_CYCLE_1)
	s_add_u32 s0, s28, s0
	s_addc_u32 s1, s29, s1
	s_load_b64 s[24:25], s[0:1], 0x0
	s_branch .LBB82_12
.LBB82_11:                              ;   in Loop: Header=BB82_12 Depth=2
	s_waitcnt lgkmcnt(0)
	s_delay_alu instid0(VALU_DEP_1) | instskip(SKIP_2) | instid1(VALU_DEP_3)
	v_dual_mul_f32 v15, s25, v10 :: v_dual_lshlrev_b32 v14, 3, v5
	v_dual_mul_f32 v16, s25, v11 :: v_dual_add_nc_u32 v5, s19, v5
	v_add_co_u32 v3, s0, v3, s34
	v_fma_f32 v11, v11, s24, -v15
	s_delay_alu instid0(VALU_DEP_3)
	v_fmac_f32_e32 v16, s24, v10
	v_add_nc_u32_e32 v12, s37, v14
	v_cmp_le_u32_e32 vcc_lo, s8, v5
	v_add_nc_u32_e32 v14, 0, v14
	v_add_co_ci_u32_e64 v4, s0, 0, v4, s0
	ds_load_b64 v[12:13], v12
	s_or_b32 s39, vcc_lo, s39
	s_waitcnt lgkmcnt(0)
	v_dual_add_f32 v10, v12, v11 :: v_dual_add_f32 v11, v13, v16
	ds_store_b64 v14, v[10:11]
	s_and_not1_b32 exec_lo, exec_lo, s39
	s_cbranch_execz .LBB82_15
.LBB82_12:                              ;   Parent Loop BB82_8 Depth=1
                                        ; =>  This Loop Header: Depth=2
                                        ;       Child Loop BB82_14 Depth 3
	v_dual_mov_b32 v10, 0 :: v_dual_mov_b32 v11, 0
	s_and_not1_b32 vcc_lo, exec_lo, s7
	s_cbranch_vccnz .LBB82_11
; %bb.13:                               ;   in Loop: Header=BB82_12 Depth=2
	v_dual_mov_b32 v10, 0 :: v_dual_mov_b32 v11, 0
	s_mov_b32 s40, 0
	s_mov_b64 s[0:1], s[20:21]
	.p2align	6
.LBB82_14:                              ;   Parent Loop BB82_8 Depth=1
                                        ;     Parent Loop BB82_12 Depth=2
                                        ; =>    This Inner Loop Header: Depth=3
	s_delay_alu instid0(SALU_CYCLE_1)
	v_add_co_u32 v12, vcc_lo, s0, v3
	v_add_co_ci_u32_e32 v13, vcc_lo, s1, v4, vcc_lo
	s_add_u32 s42, s0, s4
	s_addc_u32 s43, s1, s5
	s_add_i32 s40, s40, 1
	s_load_b64 s[42:43], s[42:43], 0x8
	global_load_b64 v[12:13], v[12:13], off
	s_add_u32 s0, s0, s10
	s_addc_u32 s1, s1, s11
	s_cmp_ge_i32 s40, s38
	s_waitcnt vmcnt(0) lgkmcnt(0)
	v_dual_mul_f32 v14, s43, v13 :: v_dual_mul_f32 v15, s43, v12
	s_delay_alu instid0(VALU_DEP_1) | instskip(NEXT) | instid1(VALU_DEP_2)
	v_fmac_f32_e32 v14, s42, v12
	v_fma_f32 v12, s42, v13, -v15
	s_delay_alu instid0(VALU_DEP_1)
	v_dual_add_f32 v11, v11, v14 :: v_dual_add_f32 v10, v10, v12
	s_cbranch_scc0 .LBB82_14
	s_branch .LBB82_11
.LBB82_15:                              ;   in Loop: Header=BB82_8 Depth=1
	s_or_b32 exec_lo, exec_lo, s15
	s_mov_b32 s1, 0
.LBB82_16:                              ;   in Loop: Header=BB82_8 Depth=1
	s_delay_alu instid0(SALU_CYCLE_1)
	s_and_not1_b32 vcc_lo, exec_lo, s1
	s_cbranch_vccnz .LBB82_24
; %bb.17:                               ;   in Loop: Header=BB82_8 Depth=1
	s_mov_b32 s7, exec_lo
	v_cmpx_gt_u32_e64 s8, v0
	s_cbranch_execz .LBB82_23
; %bb.18:                               ;   in Loop: Header=BB82_8 Depth=1
	s_ashr_i32 s15, s14, 31
	v_dual_mov_b32 v3, v7 :: v_dual_mov_b32 v10, v0
	s_lshl_b64 s[0:1], s[14:15], 3
	s_cmp_gt_i32 s38, 0
	s_mov_b32 s39, 0
	s_cselect_b32 s15, -1, 0
	s_lshl_b64 s[20:21], s[8:9], 3
	s_delay_alu instid0(SALU_CYCLE_1)
	s_add_u32 s20, s28, s20
	s_addc_u32 s21, s29, s21
	s_load_b64 s[20:21], s[20:21], 0x0
	s_branch .LBB82_20
.LBB82_19:                              ;   in Loop: Header=BB82_20 Depth=2
	s_waitcnt lgkmcnt(0)
	s_delay_alu instid0(VALU_DEP_1) | instskip(SKIP_2) | instid1(VALU_DEP_3)
	v_dual_mul_f32 v14, s21, v11 :: v_dual_lshlrev_b32 v13, 3, v10
	v_add_nc_u32_e32 v3, s35, v3
	v_dual_mul_f32 v15, s21, v12 :: v_dual_add_nc_u32 v10, s19, v10
	v_add_nc_u32_e32 v4, s37, v13
	s_delay_alu instid0(VALU_DEP_4) | instskip(NEXT) | instid1(VALU_DEP_3)
	v_fma_f32 v12, v12, s20, -v14
	v_fmac_f32_e32 v15, s20, v11
	s_delay_alu instid0(VALU_DEP_4)
	v_cmp_le_u32_e32 vcc_lo, s8, v10
	ds_load_b64 v[4:5], v4
	v_add_nc_u32_e32 v11, 0, v13
	s_or_b32 s39, vcc_lo, s39
	s_waitcnt lgkmcnt(0)
	v_dual_add_f32 v4, v4, v12 :: v_dual_add_f32 v5, v5, v15
	ds_store_b64 v11, v[4:5]
	s_and_not1_b32 exec_lo, exec_lo, s39
	s_cbranch_execz .LBB82_23
.LBB82_20:                              ;   Parent Loop BB82_8 Depth=1
                                        ; =>  This Loop Header: Depth=2
                                        ;       Child Loop BB82_22 Depth 3
	v_dual_mov_b32 v11, 0 :: v_dual_mov_b32 v12, 0
	s_and_not1_b32 vcc_lo, exec_lo, s15
	s_cbranch_vccnz .LBB82_19
; %bb.21:                               ;   in Loop: Header=BB82_20 Depth=2
	v_ashrrev_i32_e32 v4, 31, v3
	v_dual_mov_b32 v11, 0 :: v_dual_mov_b32 v12, 0
	s_mov_b32 s40, 0
	s_mov_b64 s[24:25], s[12:13]
	s_delay_alu instid0(VALU_DEP_2)
	v_lshlrev_b64 v[4:5], 3, v[3:4]
	.p2align	6
.LBB82_22:                              ;   Parent Loop BB82_8 Depth=1
                                        ;     Parent Loop BB82_20 Depth=2
                                        ; =>    This Inner Loop Header: Depth=3
	s_delay_alu instid0(VALU_DEP_1) | instskip(NEXT) | instid1(VALU_DEP_2)
	v_add_co_u32 v13, vcc_lo, s24, v4
	v_add_co_ci_u32_e32 v14, vcc_lo, s25, v5, vcc_lo
	s_add_u32 s42, s24, s0
	s_addc_u32 s43, s25, s1
	s_add_i32 s40, s40, 1
	global_load_b64 v[13:14], v[13:14], off
	s_load_b64 s[42:43], s[42:43], 0x0
	s_add_u32 s24, s24, 8
	s_addc_u32 s25, s25, 0
	s_cmp_ge_i32 s40, s38
	s_waitcnt vmcnt(0) lgkmcnt(0)
	v_mul_f32_e32 v15, s43, v14
	s_delay_alu instid0(VALU_DEP_1) | instskip(NEXT) | instid1(VALU_DEP_1)
	v_dual_mul_f32 v14, s42, v14 :: v_dual_fmac_f32 v15, s42, v13
	v_fma_f32 v13, v13, s43, -v14
	s_delay_alu instid0(VALU_DEP_1)
	v_dual_add_f32 v12, v12, v15 :: v_dual_add_f32 v11, v11, v13
	s_cbranch_scc0 .LBB82_22
	s_branch .LBB82_19
.LBB82_23:                              ;   in Loop: Header=BB82_8 Depth=1
	s_or_b32 exec_lo, exec_lo, s7
.LBB82_24:                              ;   in Loop: Header=BB82_8 Depth=1
	s_delay_alu instid0(SALU_CYCLE_1)
	s_mov_b32 s0, exec_lo
	s_waitcnt lgkmcnt(0)
	s_barrier
	buffer_gl0_inv
	v_cmpx_gt_u32_e64 s8, v0
	s_cbranch_execz .LBB82_7
; %bb.25:                               ;   in Loop: Header=BB82_8 Depth=1
	v_dual_mov_b32 v5, v9 :: v_dual_mov_b32 v10, v8
	v_mov_b32_e32 v11, v0
	s_mov_b32 s1, 0
	s_set_inst_prefetch_distance 0x1
	.p2align	6
.LBB82_26:                              ;   Parent Loop BB82_8 Depth=1
                                        ; =>  This Loop Header: Depth=2
                                        ;       Child Loop BB82_27 Depth 3
	s_delay_alu instid0(VALU_DEP_2) | instskip(NEXT) | instid1(VALU_DEP_2)
	v_dual_mov_b32 v3, 0 :: v_dual_mov_b32 v12, v5
	v_dual_mov_b32 v13, v10 :: v_dual_mov_b32 v14, v11
	v_mov_b32_e32 v4, 0
	s_mov_b32 s7, 0
	.p2align	6
.LBB82_27:                              ;   Parent Loop BB82_8 Depth=1
                                        ;     Parent Loop BB82_26 Depth=2
                                        ; =>    This Inner Loop Header: Depth=3
	ds_load_b64 v[15:16], v13
	ds_load_b64 v[17:18], v12
	v_add_nc_u32_e32 v12, 8, v12
	v_add_nc_u32_e32 v14, 1, v14
	;; [unrolled: 1-line block ×3, first 2 shown]
	s_delay_alu instid0(VALU_DEP_2) | instskip(SKIP_4) | instid1(VALU_DEP_2)
	v_cmp_le_u32_e32 vcc_lo, s8, v14
	s_or_b32 s7, vcc_lo, s7
	s_waitcnt lgkmcnt(0)
	v_mul_f32_e32 v19, v18, v16
	v_mul_f32_e32 v16, v17, v16
	v_fma_f32 v17, v17, v15, -v19
	s_delay_alu instid0(VALU_DEP_1) | instskip(NEXT) | instid1(VALU_DEP_1)
	v_dual_fmac_f32 v16, v18, v15 :: v_dual_add_f32 v3, v3, v17
	v_add_f32_e32 v4, v4, v16
	s_and_not1_b32 exec_lo, exec_lo, s7
	s_cbranch_execnz .LBB82_27
; %bb.28:                               ;   in Loop: Header=BB82_26 Depth=2
	s_or_b32 exec_lo, exec_lo, s7
	v_lshl_add_u32 v12, v11, 3, s37
	v_add_nc_u32_e32 v11, s19, v11
	v_add_nc_u32_e32 v10, s36, v10
	v_add_nc_u32_e32 v5, s34, v5
	ds_store_b64 v12, v[3:4]
	v_cmp_le_u32_e32 vcc_lo, s8, v11
	s_or_b32 s1, vcc_lo, s1
	s_delay_alu instid0(SALU_CYCLE_1)
	s_and_not1_b32 exec_lo, exec_lo, s1
	s_cbranch_execnz .LBB82_26
	s_branch .LBB82_7
.LBB82_29:
	s_and_saveexec_b32 s0, s2
	s_cbranch_execz .LBB82_34
; %bb.30:
	v_add_nc_u32_e32 v1, 8, v6
	s_lshl_b32 s2, s18, 3
	s_add_i32 s1, s3, 1
	s_add_i32 s5, s2, 8
	s_mul_i32 s1, s1, s19
	v_mul_lo_u32 v3, s18, v1
	v_mad_u64_u32 v[1:2], null, v0, s3, v[0:1]
	s_mov_b32 s4, 0
	s_mul_i32 s5, s5, s19
	s_delay_alu instid0(VALU_DEP_2)
	v_add3_u32 v4, v3, v6, 0
	.p2align	6
.LBB82_31:                              ; =>This Loop Header: Depth=1
                                        ;     Child Loop BB82_32 Depth 2
	s_delay_alu instid0(VALU_DEP_1)
	v_dual_mov_b32 v5, v4 :: v_dual_mov_b32 v2, v1
	v_mov_b32_e32 v6, v0
	s_mov_b32 s6, 0
	.p2align	6
.LBB82_32:                              ;   Parent Loop BB82_31 Depth=1
                                        ; =>  This Inner Loop Header: Depth=2
	ds_load_b64 v[7:8], v5
	v_ashrrev_i32_e32 v3, 31, v2
	v_add_nc_u32_e32 v6, 1, v6
	v_add_nc_u32_e32 v5, s2, v5
	s_delay_alu instid0(VALU_DEP_3) | instskip(NEXT) | instid1(VALU_DEP_3)
	v_lshlrev_b64 v[9:10], 3, v[2:3]
	v_cmp_le_i32_e32 vcc_lo, s18, v6
	v_add_nc_u32_e32 v2, s3, v2
	s_or_b32 s6, vcc_lo, s6
	s_delay_alu instid0(VALU_DEP_3) | instskip(NEXT) | instid1(VALU_DEP_1)
	v_add_co_u32 v9, s0, s26, v9
	v_add_co_ci_u32_e64 v10, s0, s27, v10, s0
	s_waitcnt lgkmcnt(0)
	global_store_b64 v[9:10], v[7:8], off
	s_and_not1_b32 exec_lo, exec_lo, s6
	s_cbranch_execnz .LBB82_32
; %bb.33:                               ;   in Loop: Header=BB82_31 Depth=1
	s_or_b32 exec_lo, exec_lo, s6
	v_add_nc_u32_e32 v0, s19, v0
	v_add_nc_u32_e32 v1, s1, v1
	;; [unrolled: 1-line block ×3, first 2 shown]
	s_delay_alu instid0(VALU_DEP_3) | instskip(SKIP_1) | instid1(SALU_CYCLE_1)
	v_cmp_le_i32_e32 vcc_lo, s18, v0
	s_or_b32 s4, vcc_lo, s4
	s_and_not1_b32 exec_lo, exec_lo, s4
	s_cbranch_execnz .LBB82_31
.LBB82_34:
	s_nop 0
	s_sendmsg sendmsg(MSG_DEALLOC_VGPRS)
	s_endpgm
	.section	.rodata,"a",@progbits
	.p2align	6, 0x0
	.amdhsa_kernel _ZN9rocsolver6v33100L20larft_kernel_forwardI19rocblas_complex_numIfEPS3_EEv15rocblas_storev_iiT0_iilPT_lS8_il
		.amdhsa_group_segment_fixed_size 0
		.amdhsa_private_segment_fixed_size 0
		.amdhsa_kernarg_size 336
		.amdhsa_user_sgpr_count 14
		.amdhsa_user_sgpr_dispatch_ptr 0
		.amdhsa_user_sgpr_queue_ptr 0
		.amdhsa_user_sgpr_kernarg_segment_ptr 1
		.amdhsa_user_sgpr_dispatch_id 0
		.amdhsa_user_sgpr_private_segment_size 0
		.amdhsa_wavefront_size32 1
		.amdhsa_uses_dynamic_stack 0
		.amdhsa_enable_private_segment 0
		.amdhsa_system_sgpr_workgroup_id_x 1
		.amdhsa_system_sgpr_workgroup_id_y 1
		.amdhsa_system_sgpr_workgroup_id_z 0
		.amdhsa_system_sgpr_workgroup_info 0
		.amdhsa_system_vgpr_workitem_id 0
		.amdhsa_next_free_vgpr 20
		.amdhsa_next_free_sgpr 44
		.amdhsa_reserve_vcc 1
		.amdhsa_float_round_mode_32 0
		.amdhsa_float_round_mode_16_64 0
		.amdhsa_float_denorm_mode_32 3
		.amdhsa_float_denorm_mode_16_64 3
		.amdhsa_dx10_clamp 1
		.amdhsa_ieee_mode 1
		.amdhsa_fp16_overflow 0
		.amdhsa_workgroup_processor_mode 1
		.amdhsa_memory_ordered 1
		.amdhsa_forward_progress 0
		.amdhsa_shared_vgpr_count 0
		.amdhsa_exception_fp_ieee_invalid_op 0
		.amdhsa_exception_fp_denorm_src 0
		.amdhsa_exception_fp_ieee_div_zero 0
		.amdhsa_exception_fp_ieee_overflow 0
		.amdhsa_exception_fp_ieee_underflow 0
		.amdhsa_exception_fp_ieee_inexact 0
		.amdhsa_exception_int_div_zero 0
	.end_amdhsa_kernel
	.section	.text._ZN9rocsolver6v33100L20larft_kernel_forwardI19rocblas_complex_numIfEPS3_EEv15rocblas_storev_iiT0_iilPT_lS8_il,"axG",@progbits,_ZN9rocsolver6v33100L20larft_kernel_forwardI19rocblas_complex_numIfEPS3_EEv15rocblas_storev_iiT0_iilPT_lS8_il,comdat
.Lfunc_end82:
	.size	_ZN9rocsolver6v33100L20larft_kernel_forwardI19rocblas_complex_numIfEPS3_EEv15rocblas_storev_iiT0_iilPT_lS8_il, .Lfunc_end82-_ZN9rocsolver6v33100L20larft_kernel_forwardI19rocblas_complex_numIfEPS3_EEv15rocblas_storev_iiT0_iilPT_lS8_il
                                        ; -- End function
	.section	.AMDGPU.csdata,"",@progbits
; Kernel info:
; codeLenInByte = 1788
; NumSgprs: 46
; NumVgprs: 20
; ScratchSize: 0
; MemoryBound: 0
; FloatMode: 240
; IeeeMode: 1
; LDSByteSize: 0 bytes/workgroup (compile time only)
; SGPRBlocks: 5
; VGPRBlocks: 2
; NumSGPRsForWavesPerEU: 46
; NumVGPRsForWavesPerEU: 20
; Occupancy: 16
; WaveLimiterHint : 0
; COMPUTE_PGM_RSRC2:SCRATCH_EN: 0
; COMPUTE_PGM_RSRC2:USER_SGPR: 14
; COMPUTE_PGM_RSRC2:TRAP_HANDLER: 0
; COMPUTE_PGM_RSRC2:TGID_X_EN: 1
; COMPUTE_PGM_RSRC2:TGID_Y_EN: 1
; COMPUTE_PGM_RSRC2:TGID_Z_EN: 0
; COMPUTE_PGM_RSRC2:TIDIG_COMP_CNT: 0
	.section	.text._ZN9rocsolver6v33100L21larft_kernel_backwardI19rocblas_complex_numIfEPS3_EEv15rocblas_storev_iiT0_iilPT_lS8_il,"axG",@progbits,_ZN9rocsolver6v33100L21larft_kernel_backwardI19rocblas_complex_numIfEPS3_EEv15rocblas_storev_iiT0_iilPT_lS8_il,comdat
	.globl	_ZN9rocsolver6v33100L21larft_kernel_backwardI19rocblas_complex_numIfEPS3_EEv15rocblas_storev_iiT0_iilPT_lS8_il ; -- Begin function _ZN9rocsolver6v33100L21larft_kernel_backwardI19rocblas_complex_numIfEPS3_EEv15rocblas_storev_iiT0_iilPT_lS8_il
	.p2align	8
	.type	_ZN9rocsolver6v33100L21larft_kernel_backwardI19rocblas_complex_numIfEPS3_EEv15rocblas_storev_iiT0_iilPT_lS8_il,@function
_ZN9rocsolver6v33100L21larft_kernel_backwardI19rocblas_complex_numIfEPS3_EEv15rocblas_storev_iiT0_iilPT_lS8_il: ; @_ZN9rocsolver6v33100L21larft_kernel_backwardI19rocblas_complex_numIfEPS3_EEv15rocblas_storev_iiT0_iilPT_lS8_il
; %bb.0:
	s_clause 0x4
	s_load_b64 s[20:21], s[0:1], 0x48
	s_load_b128 s[16:19], s[0:1], 0x0
	s_load_b32 s13, s[0:1], 0x5c
	s_load_b256 s[4:11], s[0:1], 0x20
	s_load_b32 s3, s[0:1], 0x40
	s_ashr_i32 s12, s15, 31
	v_add_nc_u32_e32 v6, 1, v0
	v_lshlrev_b32_e32 v7, 3, v0
	s_waitcnt lgkmcnt(0)
	s_mul_i32 s2, s15, s21
	s_mul_hi_u32 s14, s15, s20
	s_mul_i32 s19, s12, s20
	s_add_i32 s2, s14, s2
	s_mul_i32 s20, s15, s20
	s_add_i32 s21, s2, s19
	v_cmp_gt_i32_e64 s2, s18, v0
	s_lshl_b64 s[20:21], s[20:21], 3
	s_and_b32 s19, s13, 0xffff
	s_add_u32 s24, s10, s20
	s_addc_u32 s25, s11, s21
	s_and_saveexec_b32 s10, s2
	s_cbranch_execz .LBB83_5
; %bb.1:
	s_lshl_b32 s11, s18, 3
	v_add_nc_u32_e32 v3, 1, v0
	v_add3_u32 v4, 0, s11, v7
	v_mov_b32_e32 v5, v0
	s_mov_b32 s13, 0
	s_lshl_b32 s14, s19, 3
	.p2align	6
.LBB83_2:                               ; =>This Loop Header: Depth=1
                                        ;     Child Loop BB83_3 Depth 2
	s_delay_alu instid0(VALU_DEP_1)
	v_dual_mov_b32 v1, v5 :: v_dual_mov_b32 v8, v4
	s_mov_b32 s20, 0
	s_mov_b32 s21, 0
	.p2align	6
.LBB83_3:                               ;   Parent Loop BB83_2 Depth=1
                                        ; =>  This Inner Loop Header: Depth=2
	s_delay_alu instid0(VALU_DEP_1) | instskip(SKIP_1) | instid1(VALU_DEP_1)
	v_ashrrev_i32_e32 v2, 31, v1
	s_add_i32 s21, s21, 1
	v_lshlrev_b64 v[9:10], 3, v[1:2]
	v_add_nc_u32_e32 v1, s3, v1
	s_delay_alu instid0(VALU_DEP_2) | instskip(NEXT) | instid1(VALU_DEP_3)
	v_add_co_u32 v9, vcc_lo, s24, v9
	v_add_co_ci_u32_e32 v10, vcc_lo, s25, v10, vcc_lo
	v_cmp_eq_u32_e32 vcc_lo, s21, v3
	global_load_b64 v[9:10], v[9:10], off
	s_or_b32 s20, vcc_lo, s20
	s_waitcnt vmcnt(0)
	ds_store_b64 v8, v[9:10]
	v_add_nc_u32_e32 v8, s11, v8
	s_and_not1_b32 exec_lo, exec_lo, s20
	s_cbranch_execnz .LBB83_3
; %bb.4:                                ;   in Loop: Header=BB83_2 Depth=1
	s_or_b32 exec_lo, exec_lo, s20
	v_add_nc_u32_e32 v5, s19, v5
	v_add_nc_u32_e32 v3, s19, v3
	;; [unrolled: 1-line block ×3, first 2 shown]
	s_delay_alu instid0(VALU_DEP_3) | instskip(SKIP_1) | instid1(SALU_CYCLE_1)
	v_cmp_le_i32_e32 vcc_lo, s18, v5
	s_or_b32 s13, vcc_lo, s13
	s_and_not1_b32 exec_lo, exec_lo, s13
	s_cbranch_execnz .LBB83_2
.LBB83_5:
	s_or_b32 exec_lo, exec_lo, s10
	s_cmp_lt_i32 s18, 2
	s_waitcnt lgkmcnt(0)
	s_barrier
	buffer_gl0_inv
	s_cbranch_scc1 .LBB83_29
; %bb.6:
	s_load_b128 s[20:23], s[0:1], 0x10
	s_mul_i32 s1, s15, s9
	s_mul_hi_u32 s9, s15, s8
	s_mul_i32 s10, s12, s8
	s_add_i32 s1, s9, s1
	s_mul_i32 s0, s15, s8
	s_add_i32 s1, s1, s10
	s_mul_i32 s10, s5, s15
	s_lshl_b64 s[0:1], s[0:1], 3
	s_mul_i32 s8, s4, s12
	s_mul_hi_u32 s9, s4, s15
	s_waitcnt lgkmcnt(0)
	s_ashr_i32 s5, s22, 31
	s_add_u32 s26, s6, s0
	s_addc_u32 s27, s7, s1
	s_lshl_b32 s28, s18, 3
	s_add_i32 s6, s18, -2
	s_sub_i32 s17, s17, s18
	s_add_i32 s29, s28, 0
	s_cmpk_lg_i32 s16, 0xb5
	s_mul_i32 s0, s4, s15
	s_cselect_b32 s16, -1, 0
	s_add_i32 s1, s9, s8
	s_mov_b32 s4, s22
	s_add_i32 s1, s1, s10
	s_lshl_b64 s[4:5], s[4:5], 3
	s_lshl_b64 s[0:1], s[0:1], 3
	s_mov_b32 s7, 0
	s_add_u32 s8, s0, s4
	s_addc_u32 s9, s1, s5
	s_lshl_b64 s[0:1], s[6:7], 3
	s_mov_b32 s4, s23
	s_add_u32 s5, s20, s0
	s_addc_u32 s10, s21, s1
	s_add_u32 s11, s5, s8
	s_addc_u32 s10, s10, s9
	s_ashr_i32 s5, s23, 31
	s_lshl_b32 s22, s19, 3
	s_lshl_b64 s[4:5], s[4:5], 3
	s_add_u32 s8, s8, s20
	s_addc_u32 s9, s9, s21
	s_add_u32 s20, s8, 4
	s_addc_u32 s21, s9, 0
	v_add_co_u32 v1, s11, s11, v7
	s_add_u32 s30, s20, s0
	s_addc_u32 s31, s21, s1
	s_add_i32 s0, s28, 8
	v_add_co_ci_u32_e64 v2, null, s10, 0, s11
	s_mul_i32 s0, s18, s0
	v_mul_lo_u32 v8, v0, s23
	v_add_co_u32 v1, vcc_lo, v1, 8
	s_add_i32 s0, s0, 0
	v_add_co_ci_u32_e32 v2, vcc_lo, 0, v2, vcc_lo
	v_add3_u32 v9, s0, v7, -8
	s_add_i32 s1, s18, -1
	s_mul_i32 s8, s23, s6
	s_mul_i32 s10, s23, s1
	;; [unrolled: 1-line block ×3, first 2 shown]
	s_xor_b32 s34, s28, -8
	s_branch .LBB83_8
.LBB83_7:                               ;   in Loop: Header=BB83_8 Depth=1
	s_set_inst_prefetch_distance 0x2
	s_or_b32 exec_lo, exec_lo, s0
	v_add_co_u32 v1, vcc_lo, v1, -8
	s_add_i32 s0, s6, -1
	v_add_co_ci_u32_e32 v2, vcc_lo, -1, v2, vcc_lo
	v_add_nc_u32_e32 v9, s34, v9
	s_add_u32 s30, s30, -8
	s_addc_u32 s31, s31, -1
	s_sub_i32 s8, s8, s23
	s_sub_i32 s10, s10, s23
	s_cmp_lt_i32 s6, 1
	s_mov_b32 s6, s0
	s_waitcnt lgkmcnt(0)
	s_barrier
	buffer_gl0_inv
	s_cbranch_scc1 .LBB83_29
.LBB83_8:                               ; =>This Loop Header: Depth=1
                                        ;     Child Loop BB83_12 Depth 2
                                        ;       Child Loop BB83_14 Depth 3
                                        ;     Child Loop BB83_20 Depth 2
                                        ;       Child Loop BB83_22 Depth 3
	;; [unrolled: 2-line block ×3, first 2 shown]
	s_not_b32 s35, s6
	s_lshl_b32 s0, s6, 3
	s_mul_i32 s1, s6, s18
	s_add_i32 s35, s35, s18
	s_add_i32 s36, s29, s0
	s_lshl_b32 s0, s1, 3
	s_add_i32 s37, s6, s17
	s_add_i32 s36, s36, s0
	v_cmp_gt_i32_e64 s0, s35, v0
	s_and_b32 vcc_lo, exec_lo, s16
	s_mov_b32 s1, -1
	s_cbranch_vccz .LBB83_16
; %bb.9:                                ;   in Loop: Header=BB83_8 Depth=1
	s_delay_alu instid0(VALU_DEP_1)
	s_and_saveexec_b32 s9, s0
	s_cbranch_execz .LBB83_15
; %bb.10:                               ;   in Loop: Header=BB83_8 Depth=1
	s_cmp_gt_i32 s37, 0
	v_dual_mov_b32 v4, v2 :: v_dual_mov_b32 v3, v1
	s_cselect_b32 s11, -1, 0
	s_lshl_b64 s[0:1], s[6:7], 3
	v_mov_b32_e32 v5, v0
	s_add_u32 s0, s26, s0
	s_addc_u32 s1, s27, s1
	s_mov_b32 s14, 0
	s_load_b64 s[12:13], s[0:1], 0x0
	s_add_i32 s15, s36, 8
	s_branch .LBB83_12
.LBB83_11:                              ;   in Loop: Header=BB83_12 Depth=2
	s_waitcnt lgkmcnt(0)
	s_delay_alu instid0(VALU_DEP_1) | instskip(SKIP_2) | instid1(VALU_DEP_3)
	v_dual_mul_f32 v15, s13, v10 :: v_dual_lshlrev_b32 v14, 3, v5
	v_dual_mul_f32 v16, s13, v11 :: v_dual_add_nc_u32 v5, s19, v5
	v_add_co_u32 v3, s0, v3, s22
	v_fma_f32 v11, v11, s12, -v15
	s_delay_alu instid0(VALU_DEP_3)
	v_fmac_f32_e32 v16, s12, v10
	v_add_nc_u32_e32 v12, s15, v14
	v_cmp_le_i32_e32 vcc_lo, s35, v5
	v_add_nc_u32_e32 v14, 0, v14
	v_add_co_ci_u32_e64 v4, s0, 0, v4, s0
	ds_load_b64 v[12:13], v12
	s_or_b32 s14, vcc_lo, s14
	s_waitcnt lgkmcnt(0)
	v_dual_add_f32 v10, v12, v11 :: v_dual_add_f32 v11, v13, v16
	ds_store_b64 v14, v[10:11]
	s_and_not1_b32 exec_lo, exec_lo, s14
	s_cbranch_execz .LBB83_15
.LBB83_12:                              ;   Parent Loop BB83_8 Depth=1
                                        ; =>  This Loop Header: Depth=2
                                        ;       Child Loop BB83_14 Depth 3
	v_dual_mov_b32 v10, 0 :: v_dual_mov_b32 v11, 0
	s_and_not1_b32 vcc_lo, exec_lo, s11
	s_cbranch_vccnz .LBB83_11
; %bb.13:                               ;   in Loop: Header=BB83_12 Depth=2
	v_dual_mov_b32 v10, 0 :: v_dual_mov_b32 v11, 0
	s_mov_b32 s38, 0
	s_mov_b64 s[0:1], 0
	.p2align	6
.LBB83_14:                              ;   Parent Loop BB83_8 Depth=1
                                        ;     Parent Loop BB83_12 Depth=2
                                        ; =>    This Inner Loop Header: Depth=3
	s_delay_alu instid0(SALU_CYCLE_1)
	v_add_co_u32 v12, vcc_lo, v3, s0
	v_add_co_ci_u32_e32 v13, vcc_lo, s1, v4, vcc_lo
	s_add_u32 s39, s30, s0
	s_addc_u32 s41, s31, s1
	s_add_u32 s40, s39, -4
	global_load_b64 v[12:13], v[12:13], off
	s_addc_u32 s41, s41, -1
	s_add_i32 s38, s38, 1
	s_load_b64 s[40:41], s[40:41], 0x0
	s_add_u32 s0, s0, s4
	s_addc_u32 s1, s1, s5
	s_cmp_ge_i32 s38, s37
	s_waitcnt vmcnt(0) lgkmcnt(0)
	v_dual_mul_f32 v14, s41, v13 :: v_dual_mul_f32 v15, s41, v12
	s_delay_alu instid0(VALU_DEP_1) | instskip(NEXT) | instid1(VALU_DEP_2)
	v_fmac_f32_e32 v14, s40, v12
	v_fma_f32 v12, s40, v13, -v15
	s_delay_alu instid0(VALU_DEP_1)
	v_dual_add_f32 v11, v11, v14 :: v_dual_add_f32 v10, v10, v12
	s_cbranch_scc0 .LBB83_14
	s_branch .LBB83_11
.LBB83_15:                              ;   in Loop: Header=BB83_8 Depth=1
	s_or_b32 exec_lo, exec_lo, s9
	s_mov_b32 s1, 0
.LBB83_16:                              ;   in Loop: Header=BB83_8 Depth=1
	s_delay_alu instid0(SALU_CYCLE_1)
	s_and_not1_b32 vcc_lo, exec_lo, s1
	s_cbranch_vccnz .LBB83_24
; %bb.17:                               ;   in Loop: Header=BB83_8 Depth=1
	s_mov_b32 s38, exec_lo
	v_cmpx_gt_i32_e64 s35, v0
	s_cbranch_execz .LBB83_23
; %bb.18:                               ;   in Loop: Header=BB83_8 Depth=1
	s_ashr_i32 s9, s8, 31
	v_mov_b32_e32 v3, v8
	s_lshl_b64 s[0:1], s[8:9], 3
	v_mov_b32_e32 v10, v0
	s_add_u32 s0, s20, s0
	s_addc_u32 s1, s21, s1
	s_ashr_i32 s11, s10, 31
	s_delay_alu instid0(SALU_CYCLE_1) | instskip(SKIP_4) | instid1(SALU_CYCLE_1)
	s_lshl_b64 s[14:15], s[10:11], 3
	s_cmp_gt_i32 s37, 0
	s_mov_b32 s11, 0
	s_cselect_b32 s9, -1, 0
	s_lshl_b64 s[12:13], s[6:7], 3
	s_add_u32 s12, s26, s12
	s_addc_u32 s13, s27, s13
	s_add_i32 s39, s36, 8
	s_load_b64 s[12:13], s[12:13], 0x0
	s_add_u32 s40, s20, s14
	s_addc_u32 s41, s21, s15
	s_branch .LBB83_20
.LBB83_19:                              ;   in Loop: Header=BB83_20 Depth=2
	s_waitcnt lgkmcnt(0)
	s_delay_alu instid0(VALU_DEP_1) | instskip(SKIP_2) | instid1(VALU_DEP_3)
	v_dual_mul_f32 v14, s13, v11 :: v_dual_lshlrev_b32 v13, 3, v10
	v_add_nc_u32_e32 v3, s33, v3
	v_dual_mul_f32 v15, s13, v12 :: v_dual_add_nc_u32 v10, s19, v10
	v_add_nc_u32_e32 v4, s39, v13
	s_delay_alu instid0(VALU_DEP_4) | instskip(NEXT) | instid1(VALU_DEP_3)
	v_fma_f32 v12, v12, s12, -v14
	v_fmac_f32_e32 v15, s12, v11
	s_delay_alu instid0(VALU_DEP_4)
	v_cmp_le_i32_e32 vcc_lo, s35, v10
	ds_load_b64 v[4:5], v4
	v_add_nc_u32_e32 v11, 0, v13
	s_or_b32 s11, vcc_lo, s11
	s_waitcnt lgkmcnt(0)
	v_dual_add_f32 v4, v4, v12 :: v_dual_add_f32 v5, v5, v15
	ds_store_b64 v11, v[4:5]
	s_and_not1_b32 exec_lo, exec_lo, s11
	s_cbranch_execz .LBB83_23
.LBB83_20:                              ;   Parent Loop BB83_8 Depth=1
                                        ; =>  This Loop Header: Depth=2
                                        ;       Child Loop BB83_22 Depth 3
	v_dual_mov_b32 v11, 0 :: v_dual_mov_b32 v12, 0
	s_and_not1_b32 vcc_lo, exec_lo, s9
	s_cbranch_vccnz .LBB83_19
; %bb.21:                               ;   in Loop: Header=BB83_20 Depth=2
	v_ashrrev_i32_e32 v4, 31, v3
	v_dual_mov_b32 v11, 0 :: v_dual_mov_b32 v12, 0
	s_mov_b32 s42, 0
	s_mov_b64 s[14:15], s[0:1]
	s_delay_alu instid0(VALU_DEP_2) | instskip(NEXT) | instid1(VALU_DEP_1)
	v_lshlrev_b64 v[4:5], 3, v[3:4]
	v_add_co_u32 v4, vcc_lo, s40, v4
	s_delay_alu instid0(VALU_DEP_2)
	v_add_co_ci_u32_e32 v5, vcc_lo, s41, v5, vcc_lo
	.p2align	6
.LBB83_22:                              ;   Parent Loop BB83_8 Depth=1
                                        ;     Parent Loop BB83_20 Depth=2
                                        ; =>    This Inner Loop Header: Depth=3
	global_load_b64 v[13:14], v[4:5], off offset:-4
	s_add_u32 s44, s14, -4
	s_addc_u32 s45, s15, -1
	v_add_co_u32 v4, vcc_lo, v4, 8
	s_load_b64 s[44:45], s[44:45], 0x0
	v_add_co_ci_u32_e32 v5, vcc_lo, 0, v5, vcc_lo
	s_add_i32 s42, s42, 1
	s_add_u32 s14, s14, 8
	s_addc_u32 s15, s15, 0
	s_cmp_ge_i32 s42, s37
	s_waitcnt vmcnt(0) lgkmcnt(0)
	v_mul_f32_e32 v15, s45, v14
	s_delay_alu instid0(VALU_DEP_1) | instskip(NEXT) | instid1(VALU_DEP_1)
	v_dual_mul_f32 v14, s44, v14 :: v_dual_fmac_f32 v15, s44, v13
	v_fma_f32 v13, v13, s45, -v14
	s_delay_alu instid0(VALU_DEP_1)
	v_dual_add_f32 v12, v12, v15 :: v_dual_add_f32 v11, v11, v13
	s_cbranch_scc0 .LBB83_22
	s_branch .LBB83_19
.LBB83_23:                              ;   in Loop: Header=BB83_8 Depth=1
	s_or_b32 exec_lo, exec_lo, s38
.LBB83_24:                              ;   in Loop: Header=BB83_8 Depth=1
	s_delay_alu instid0(SALU_CYCLE_1)
	s_mov_b32 s0, exec_lo
	s_waitcnt lgkmcnt(0)
	s_barrier
	buffer_gl0_inv
	v_cmpx_gt_i32_e64 s35, v0
	s_cbranch_execz .LBB83_7
; %bb.25:                               ;   in Loop: Header=BB83_8 Depth=1
	v_dual_mov_b32 v5, v9 :: v_dual_mov_b32 v10, v0
	s_add_i32 s36, s36, 8
	s_mov_b32 s1, 0
	s_set_inst_prefetch_distance 0x1
	.p2align	6
.LBB83_26:                              ;   Parent Loop BB83_8 Depth=1
                                        ; =>  This Loop Header: Depth=2
                                        ;       Child Loop BB83_27 Depth 3
	v_dual_mov_b32 v3, 0 :: v_dual_mov_b32 v4, 0
	v_mov_b32_e32 v11, v5
	s_mov_b32 s11, -1
	s_mov_b32 s9, 0
	s_mov_b32 s12, 0
	.p2align	6
.LBB83_27:                              ;   Parent Loop BB83_8 Depth=1
                                        ;     Parent Loop BB83_26 Depth=2
                                        ; =>    This Inner Loop Header: Depth=3
	s_delay_alu instid0(SALU_CYCLE_1)
	v_mov_b32_e32 v14, s12
	s_add_i32 s11, s11, 1
	s_add_i32 s12, s12, 8
	v_cmp_eq_u32_e32 vcc_lo, s11, v10
	ds_load_b64 v[12:13], v11
	ds_load_b64 v[14:15], v14
	v_add_nc_u32_e32 v11, s28, v11
	s_or_b32 s9, vcc_lo, s9
	s_waitcnt lgkmcnt(0)
	v_mul_f32_e32 v16, v15, v13
	v_mul_f32_e32 v13, v14, v13
	s_delay_alu instid0(VALU_DEP_2) | instskip(NEXT) | instid1(VALU_DEP_2)
	v_fma_f32 v14, v14, v12, -v16
	v_fmac_f32_e32 v13, v15, v12
	s_delay_alu instid0(VALU_DEP_1)
	v_dual_add_f32 v3, v3, v14 :: v_dual_add_f32 v4, v4, v13
	s_and_not1_b32 exec_lo, exec_lo, s9
	s_cbranch_execnz .LBB83_27
; %bb.28:                               ;   in Loop: Header=BB83_26 Depth=2
	s_or_b32 exec_lo, exec_lo, s9
	v_lshl_add_u32 v11, v10, 3, s36
	v_add_nc_u32_e32 v10, s19, v10
	v_add_nc_u32_e32 v5, s22, v5
	ds_store_b64 v11, v[3:4]
	v_cmp_le_i32_e32 vcc_lo, s35, v10
	s_or_b32 s1, vcc_lo, s1
	s_delay_alu instid0(SALU_CYCLE_1)
	s_and_not1_b32 exec_lo, exec_lo, s1
	s_cbranch_execnz .LBB83_26
	s_branch .LBB83_7
.LBB83_29:
	s_and_saveexec_b32 s0, s2
	s_cbranch_execz .LBB83_34
; %bb.30:
	s_lshl_b32 s1, s18, 3
	s_mov_b32 s2, 0
	v_add3_u32 v3, 0, s1, v7
	s_lshl_b32 s4, s19, 3
	.p2align	6
.LBB83_31:                              ; =>This Loop Header: Depth=1
                                        ;     Child Loop BB83_32 Depth 2
	s_delay_alu instid0(VALU_DEP_1)
	v_dual_mov_b32 v4, v3 :: v_dual_mov_b32 v1, v0
	s_mov_b32 s5, 0
	s_mov_b32 s6, 0
	.p2align	6
.LBB83_32:                              ;   Parent Loop BB83_31 Depth=1
                                        ; =>  This Inner Loop Header: Depth=2
	ds_load_b64 v[7:8], v4
	v_ashrrev_i32_e32 v2, 31, v1
	s_add_i32 s6, s6, 1
	v_add_nc_u32_e32 v4, s1, v4
	v_cmp_eq_u32_e32 vcc_lo, s6, v6
	s_delay_alu instid0(VALU_DEP_3) | instskip(SKIP_2) | instid1(VALU_DEP_2)
	v_lshlrev_b64 v[9:10], 3, v[1:2]
	v_add_nc_u32_e32 v1, s3, v1
	s_or_b32 s5, vcc_lo, s5
	v_add_co_u32 v9, s0, s24, v9
	s_delay_alu instid0(VALU_DEP_1)
	v_add_co_ci_u32_e64 v10, s0, s25, v10, s0
	s_waitcnt lgkmcnt(0)
	global_store_b64 v[9:10], v[7:8], off
	s_and_not1_b32 exec_lo, exec_lo, s5
	s_cbranch_execnz .LBB83_32
; %bb.33:                               ;   in Loop: Header=BB83_31 Depth=1
	s_or_b32 exec_lo, exec_lo, s5
	v_add_nc_u32_e32 v0, s19, v0
	v_add_nc_u32_e32 v6, s19, v6
	;; [unrolled: 1-line block ×3, first 2 shown]
	s_delay_alu instid0(VALU_DEP_3) | instskip(SKIP_1) | instid1(SALU_CYCLE_1)
	v_cmp_le_i32_e32 vcc_lo, s18, v0
	s_or_b32 s2, vcc_lo, s2
	s_and_not1_b32 exec_lo, exec_lo, s2
	s_cbranch_execnz .LBB83_31
.LBB83_34:
	s_nop 0
	s_sendmsg sendmsg(MSG_DEALLOC_VGPRS)
	s_endpgm
	.section	.rodata,"a",@progbits
	.p2align	6, 0x0
	.amdhsa_kernel _ZN9rocsolver6v33100L21larft_kernel_backwardI19rocblas_complex_numIfEPS3_EEv15rocblas_storev_iiT0_iilPT_lS8_il
		.amdhsa_group_segment_fixed_size 0
		.amdhsa_private_segment_fixed_size 0
		.amdhsa_kernarg_size 336
		.amdhsa_user_sgpr_count 14
		.amdhsa_user_sgpr_dispatch_ptr 0
		.amdhsa_user_sgpr_queue_ptr 0
		.amdhsa_user_sgpr_kernarg_segment_ptr 1
		.amdhsa_user_sgpr_dispatch_id 0
		.amdhsa_user_sgpr_private_segment_size 0
		.amdhsa_wavefront_size32 1
		.amdhsa_uses_dynamic_stack 0
		.amdhsa_enable_private_segment 0
		.amdhsa_system_sgpr_workgroup_id_x 1
		.amdhsa_system_sgpr_workgroup_id_y 1
		.amdhsa_system_sgpr_workgroup_id_z 0
		.amdhsa_system_sgpr_workgroup_info 0
		.amdhsa_system_vgpr_workitem_id 0
		.amdhsa_next_free_vgpr 17
		.amdhsa_next_free_sgpr 46
		.amdhsa_reserve_vcc 1
		.amdhsa_float_round_mode_32 0
		.amdhsa_float_round_mode_16_64 0
		.amdhsa_float_denorm_mode_32 3
		.amdhsa_float_denorm_mode_16_64 3
		.amdhsa_dx10_clamp 1
		.amdhsa_ieee_mode 1
		.amdhsa_fp16_overflow 0
		.amdhsa_workgroup_processor_mode 1
		.amdhsa_memory_ordered 1
		.amdhsa_forward_progress 0
		.amdhsa_shared_vgpr_count 0
		.amdhsa_exception_fp_ieee_invalid_op 0
		.amdhsa_exception_fp_denorm_src 0
		.amdhsa_exception_fp_ieee_div_zero 0
		.amdhsa_exception_fp_ieee_overflow 0
		.amdhsa_exception_fp_ieee_underflow 0
		.amdhsa_exception_fp_ieee_inexact 0
		.amdhsa_exception_int_div_zero 0
	.end_amdhsa_kernel
	.section	.text._ZN9rocsolver6v33100L21larft_kernel_backwardI19rocblas_complex_numIfEPS3_EEv15rocblas_storev_iiT0_iilPT_lS8_il,"axG",@progbits,_ZN9rocsolver6v33100L21larft_kernel_backwardI19rocblas_complex_numIfEPS3_EEv15rocblas_storev_iiT0_iilPT_lS8_il,comdat
.Lfunc_end83:
	.size	_ZN9rocsolver6v33100L21larft_kernel_backwardI19rocblas_complex_numIfEPS3_EEv15rocblas_storev_iiT0_iilPT_lS8_il, .Lfunc_end83-_ZN9rocsolver6v33100L21larft_kernel_backwardI19rocblas_complex_numIfEPS3_EEv15rocblas_storev_iiT0_iilPT_lS8_il
                                        ; -- End function
	.section	.AMDGPU.csdata,"",@progbits
; Kernel info:
; codeLenInByte = 1808
; NumSgprs: 48
; NumVgprs: 17
; ScratchSize: 0
; MemoryBound: 0
; FloatMode: 240
; IeeeMode: 1
; LDSByteSize: 0 bytes/workgroup (compile time only)
; SGPRBlocks: 5
; VGPRBlocks: 2
; NumSGPRsForWavesPerEU: 48
; NumVGPRsForWavesPerEU: 17
; Occupancy: 16
; WaveLimiterHint : 0
; COMPUTE_PGM_RSRC2:SCRATCH_EN: 0
; COMPUTE_PGM_RSRC2:USER_SGPR: 14
; COMPUTE_PGM_RSRC2:TRAP_HANDLER: 0
; COMPUTE_PGM_RSRC2:TGID_X_EN: 1
; COMPUTE_PGM_RSRC2:TGID_Y_EN: 1
; COMPUTE_PGM_RSRC2:TGID_Z_EN: 0
; COMPUTE_PGM_RSRC2:TIDIG_COMP_CNT: 0
	.section	.text._ZN9rocsolver6v33100L9copymatA1I19rocblas_complex_numIfEPS3_EEviiT0_iilPT_,"axG",@progbits,_ZN9rocsolver6v33100L9copymatA1I19rocblas_complex_numIfEPS3_EEviiT0_iilPT_,comdat
	.globl	_ZN9rocsolver6v33100L9copymatA1I19rocblas_complex_numIfEPS3_EEviiT0_iilPT_ ; -- Begin function _ZN9rocsolver6v33100L9copymatA1I19rocblas_complex_numIfEPS3_EEviiT0_iilPT_
	.p2align	8
	.type	_ZN9rocsolver6v33100L9copymatA1I19rocblas_complex_numIfEPS3_EEviiT0_iilPT_,@function
_ZN9rocsolver6v33100L9copymatA1I19rocblas_complex_numIfEPS3_EEviiT0_iilPT_: ; @_ZN9rocsolver6v33100L9copymatA1I19rocblas_complex_numIfEPS3_EEviiT0_iilPT_
; %bb.0:
	s_clause 0x1
	s_load_b32 s2, s[0:1], 0x34
	s_load_b64 s[8:9], s[0:1], 0x0
	v_bfe_u32 v2, v0, 10, 10
	v_and_b32_e32 v3, 0x3ff, v0
	s_waitcnt lgkmcnt(0)
	s_lshr_b32 s3, s2, 16
	s_and_b32 s2, s2, 0xffff
	s_delay_alu instid0(VALU_DEP_1) | instskip(SKIP_1) | instid1(VALU_DEP_2)
	v_mad_u64_u32 v[0:1], null, s14, s3, v[2:3]
	v_mad_u64_u32 v[1:2], null, s13, s2, v[3:4]
	v_cmp_gt_u32_e32 vcc_lo, s8, v0
	s_delay_alu instid0(VALU_DEP_2) | instskip(NEXT) | instid1(VALU_DEP_1)
	v_cmp_gt_u32_e64 s2, s9, v1
	s_and_b32 s2, s2, vcc_lo
	s_delay_alu instid0(SALU_CYCLE_1)
	s_and_saveexec_b32 s3, s2
	s_cbranch_execz .LBB84_2
; %bb.1:
	s_load_b256 s[0:7], s[0:1], 0x8
	s_ashr_i32 s10, s8, 31
	s_ashr_i32 s11, s9, 31
	s_mul_hi_u32 s12, s8, s15
	s_mul_i32 s13, s8, s15
	s_mul_i32 s10, s10, s15
	;; [unrolled: 1-line block ×3, first 2 shown]
	s_mul_hi_u32 s14, s13, s9
	s_add_i32 s10, s12, s10
	s_add_i32 s11, s14, s11
	s_mul_i32 s12, s10, s9
	s_mul_i32 s10, s13, s9
	s_add_i32 s11, s11, s12
	v_mad_u64_u32 v[6:7], null, v1, s8, v[0:1]
	s_lshl_b64 s[10:11], s[10:11], 3
	s_waitcnt lgkmcnt(0)
	v_mad_u64_u32 v[2:3], null, v1, s3, v[0:1]
	s_add_u32 s9, s6, s10
	s_mul_i32 s5, s15, s5
	s_mul_hi_u32 s10, s15, s4
	v_mov_b32_e32 v3, 0
	s_mul_i32 s4, s15, s4
	s_addc_u32 s3, s7, s11
	s_add_i32 s5, s10, s5
	s_mov_b32 s6, s2
	s_lshl_b64 s[4:5], s[4:5], 3
	s_ashr_i32 s7, s2, 31
	v_lshlrev_b64 v[4:5], 3, v[2:3]
	s_add_u32 s2, s0, s4
	s_addc_u32 s4, s1, s5
	s_lshl_b64 s[0:1], s[6:7], 3
	v_mov_b32_e32 v7, v3
	s_add_u32 s0, s2, s0
	s_addc_u32 s1, s4, s1
	v_add_co_u32 v4, vcc_lo, s0, v4
	v_add_co_ci_u32_e32 v5, vcc_lo, s1, v5, vcc_lo
	v_lshlrev_b64 v[0:1], 3, v[6:7]
	global_load_b64 v[4:5], v[4:5], off
	v_add_co_u32 v0, vcc_lo, s9, v0
	v_add_co_ci_u32_e32 v1, vcc_lo, s3, v1, vcc_lo
	s_waitcnt vmcnt(0)
	global_store_b64 v[0:1], v[4:5], off
.LBB84_2:
	s_nop 0
	s_sendmsg sendmsg(MSG_DEALLOC_VGPRS)
	s_endpgm
	.section	.rodata,"a",@progbits
	.p2align	6, 0x0
	.amdhsa_kernel _ZN9rocsolver6v33100L9copymatA1I19rocblas_complex_numIfEPS3_EEviiT0_iilPT_
		.amdhsa_group_segment_fixed_size 0
		.amdhsa_private_segment_fixed_size 0
		.amdhsa_kernarg_size 296
		.amdhsa_user_sgpr_count 13
		.amdhsa_user_sgpr_dispatch_ptr 0
		.amdhsa_user_sgpr_queue_ptr 0
		.amdhsa_user_sgpr_kernarg_segment_ptr 1
		.amdhsa_user_sgpr_dispatch_id 0
		.amdhsa_user_sgpr_private_segment_size 0
		.amdhsa_wavefront_size32 1
		.amdhsa_uses_dynamic_stack 0
		.amdhsa_enable_private_segment 0
		.amdhsa_system_sgpr_workgroup_id_x 1
		.amdhsa_system_sgpr_workgroup_id_y 1
		.amdhsa_system_sgpr_workgroup_id_z 1
		.amdhsa_system_sgpr_workgroup_info 0
		.amdhsa_system_vgpr_workitem_id 1
		.amdhsa_next_free_vgpr 8
		.amdhsa_next_free_sgpr 16
		.amdhsa_reserve_vcc 1
		.amdhsa_float_round_mode_32 0
		.amdhsa_float_round_mode_16_64 0
		.amdhsa_float_denorm_mode_32 3
		.amdhsa_float_denorm_mode_16_64 3
		.amdhsa_dx10_clamp 1
		.amdhsa_ieee_mode 1
		.amdhsa_fp16_overflow 0
		.amdhsa_workgroup_processor_mode 1
		.amdhsa_memory_ordered 1
		.amdhsa_forward_progress 0
		.amdhsa_shared_vgpr_count 0
		.amdhsa_exception_fp_ieee_invalid_op 0
		.amdhsa_exception_fp_denorm_src 0
		.amdhsa_exception_fp_ieee_div_zero 0
		.amdhsa_exception_fp_ieee_overflow 0
		.amdhsa_exception_fp_ieee_underflow 0
		.amdhsa_exception_fp_ieee_inexact 0
		.amdhsa_exception_int_div_zero 0
	.end_amdhsa_kernel
	.section	.text._ZN9rocsolver6v33100L9copymatA1I19rocblas_complex_numIfEPS3_EEviiT0_iilPT_,"axG",@progbits,_ZN9rocsolver6v33100L9copymatA1I19rocblas_complex_numIfEPS3_EEviiT0_iilPT_,comdat
.Lfunc_end84:
	.size	_ZN9rocsolver6v33100L9copymatA1I19rocblas_complex_numIfEPS3_EEviiT0_iilPT_, .Lfunc_end84-_ZN9rocsolver6v33100L9copymatA1I19rocblas_complex_numIfEPS3_EEviiT0_iilPT_
                                        ; -- End function
	.section	.AMDGPU.csdata,"",@progbits
; Kernel info:
; codeLenInByte = 320
; NumSgprs: 18
; NumVgprs: 8
; ScratchSize: 0
; MemoryBound: 0
; FloatMode: 240
; IeeeMode: 1
; LDSByteSize: 0 bytes/workgroup (compile time only)
; SGPRBlocks: 2
; VGPRBlocks: 0
; NumSGPRsForWavesPerEU: 18
; NumVGPRsForWavesPerEU: 8
; Occupancy: 16
; WaveLimiterHint : 0
; COMPUTE_PGM_RSRC2:SCRATCH_EN: 0
; COMPUTE_PGM_RSRC2:USER_SGPR: 13
; COMPUTE_PGM_RSRC2:TRAP_HANDLER: 0
; COMPUTE_PGM_RSRC2:TGID_X_EN: 1
; COMPUTE_PGM_RSRC2:TGID_Y_EN: 1
; COMPUTE_PGM_RSRC2:TGID_Z_EN: 1
; COMPUTE_PGM_RSRC2:TIDIG_COMP_CNT: 1
	.section	.text._ZN9rocsolver6v33100L8addmatA1I19rocblas_complex_numIfEPS3_EEviiT0_iilPT_,"axG",@progbits,_ZN9rocsolver6v33100L8addmatA1I19rocblas_complex_numIfEPS3_EEviiT0_iilPT_,comdat
	.globl	_ZN9rocsolver6v33100L8addmatA1I19rocblas_complex_numIfEPS3_EEviiT0_iilPT_ ; -- Begin function _ZN9rocsolver6v33100L8addmatA1I19rocblas_complex_numIfEPS3_EEviiT0_iilPT_
	.p2align	8
	.type	_ZN9rocsolver6v33100L8addmatA1I19rocblas_complex_numIfEPS3_EEviiT0_iilPT_,@function
_ZN9rocsolver6v33100L8addmatA1I19rocblas_complex_numIfEPS3_EEviiT0_iilPT_: ; @_ZN9rocsolver6v33100L8addmatA1I19rocblas_complex_numIfEPS3_EEviiT0_iilPT_
; %bb.0:
	s_clause 0x1
	s_load_b32 s2, s[0:1], 0x34
	s_load_b64 s[8:9], s[0:1], 0x0
	v_bfe_u32 v2, v0, 10, 10
	v_and_b32_e32 v3, 0x3ff, v0
	s_waitcnt lgkmcnt(0)
	s_lshr_b32 s3, s2, 16
	s_and_b32 s2, s2, 0xffff
	s_delay_alu instid0(VALU_DEP_1) | instskip(SKIP_1) | instid1(VALU_DEP_2)
	v_mad_u64_u32 v[0:1], null, s14, s3, v[2:3]
	v_mad_u64_u32 v[1:2], null, s13, s2, v[3:4]
	v_cmp_gt_u32_e32 vcc_lo, s8, v0
	s_delay_alu instid0(VALU_DEP_2) | instskip(NEXT) | instid1(VALU_DEP_1)
	v_cmp_gt_u32_e64 s2, s9, v1
	s_and_b32 s2, s2, vcc_lo
	s_delay_alu instid0(SALU_CYCLE_1)
	s_and_saveexec_b32 s3, s2
	s_cbranch_execz .LBB85_2
; %bb.1:
	s_load_b256 s[0:7], s[0:1], 0x8
	s_ashr_i32 s10, s8, 31
	s_ashr_i32 s11, s9, 31
	s_mul_hi_u32 s12, s8, s15
	s_mul_i32 s13, s8, s15
	s_mul_i32 s10, s10, s15
	;; [unrolled: 1-line block ×3, first 2 shown]
	s_mul_hi_u32 s14, s13, s9
	s_add_i32 s10, s12, s10
	s_add_i32 s11, s14, s11
	s_mul_i32 s12, s10, s9
	v_mad_u64_u32 v[2:3], null, v1, s8, v[0:1]
	v_mov_b32_e32 v3, 0
	s_mul_i32 s10, s13, s9
	s_add_i32 s11, s11, s12
	s_delay_alu instid0(SALU_CYCLE_1)
	s_lshl_b64 s[8:9], s[10:11], 3
	s_waitcnt lgkmcnt(0)
	v_mad_u64_u32 v[4:5], null, v1, s3, v[0:1]
	s_add_u32 s8, s6, s8
	s_mul_i32 s5, s15, s5
	s_mul_hi_u32 s6, s15, s4
	v_mov_b32_e32 v5, v3
	s_mul_i32 s4, s15, s4
	s_addc_u32 s9, s7, s9
	s_add_i32 s5, s6, s5
	v_lshlrev_b64 v[0:1], 3, v[2:3]
	s_lshl_b64 s[4:5], s[4:5], 3
	s_mov_b32 s6, s2
	s_ashr_i32 s7, s2, 31
	v_lshlrev_b64 v[2:3], 3, v[4:5]
	s_add_u32 s2, s0, s4
	s_addc_u32 s3, s1, s5
	s_lshl_b64 s[0:1], s[6:7], 3
	v_add_co_u32 v0, vcc_lo, s8, v0
	s_add_u32 s0, s2, s0
	v_add_co_ci_u32_e32 v1, vcc_lo, s9, v1, vcc_lo
	s_addc_u32 s1, s3, s1
	v_add_co_u32 v2, vcc_lo, s0, v2
	v_add_co_ci_u32_e32 v3, vcc_lo, s1, v3, vcc_lo
	global_load_b64 v[0:1], v[0:1], off
	global_load_b64 v[4:5], v[2:3], off
	s_waitcnt vmcnt(0)
	v_dual_sub_f32 v0, v4, v0 :: v_dual_sub_f32 v1, v5, v1
	global_store_b64 v[2:3], v[0:1], off
.LBB85_2:
	s_nop 0
	s_sendmsg sendmsg(MSG_DEALLOC_VGPRS)
	s_endpgm
	.section	.rodata,"a",@progbits
	.p2align	6, 0x0
	.amdhsa_kernel _ZN9rocsolver6v33100L8addmatA1I19rocblas_complex_numIfEPS3_EEviiT0_iilPT_
		.amdhsa_group_segment_fixed_size 0
		.amdhsa_private_segment_fixed_size 0
		.amdhsa_kernarg_size 296
		.amdhsa_user_sgpr_count 13
		.amdhsa_user_sgpr_dispatch_ptr 0
		.amdhsa_user_sgpr_queue_ptr 0
		.amdhsa_user_sgpr_kernarg_segment_ptr 1
		.amdhsa_user_sgpr_dispatch_id 0
		.amdhsa_user_sgpr_private_segment_size 0
		.amdhsa_wavefront_size32 1
		.amdhsa_uses_dynamic_stack 0
		.amdhsa_enable_private_segment 0
		.amdhsa_system_sgpr_workgroup_id_x 1
		.amdhsa_system_sgpr_workgroup_id_y 1
		.amdhsa_system_sgpr_workgroup_id_z 1
		.amdhsa_system_sgpr_workgroup_info 0
		.amdhsa_system_vgpr_workitem_id 1
		.amdhsa_next_free_vgpr 6
		.amdhsa_next_free_sgpr 16
		.amdhsa_reserve_vcc 1
		.amdhsa_float_round_mode_32 0
		.amdhsa_float_round_mode_16_64 0
		.amdhsa_float_denorm_mode_32 3
		.amdhsa_float_denorm_mode_16_64 3
		.amdhsa_dx10_clamp 1
		.amdhsa_ieee_mode 1
		.amdhsa_fp16_overflow 0
		.amdhsa_workgroup_processor_mode 1
		.amdhsa_memory_ordered 1
		.amdhsa_forward_progress 0
		.amdhsa_shared_vgpr_count 0
		.amdhsa_exception_fp_ieee_invalid_op 0
		.amdhsa_exception_fp_denorm_src 0
		.amdhsa_exception_fp_ieee_div_zero 0
		.amdhsa_exception_fp_ieee_overflow 0
		.amdhsa_exception_fp_ieee_underflow 0
		.amdhsa_exception_fp_ieee_inexact 0
		.amdhsa_exception_int_div_zero 0
	.end_amdhsa_kernel
	.section	.text._ZN9rocsolver6v33100L8addmatA1I19rocblas_complex_numIfEPS3_EEviiT0_iilPT_,"axG",@progbits,_ZN9rocsolver6v33100L8addmatA1I19rocblas_complex_numIfEPS3_EEviiT0_iilPT_,comdat
.Lfunc_end85:
	.size	_ZN9rocsolver6v33100L8addmatA1I19rocblas_complex_numIfEPS3_EEviiT0_iilPT_, .Lfunc_end85-_ZN9rocsolver6v33100L8addmatA1I19rocblas_complex_numIfEPS3_EEviiT0_iilPT_
                                        ; -- End function
	.section	.AMDGPU.csdata,"",@progbits
; Kernel info:
; codeLenInByte = 340
; NumSgprs: 18
; NumVgprs: 6
; ScratchSize: 0
; MemoryBound: 0
; FloatMode: 240
; IeeeMode: 1
; LDSByteSize: 0 bytes/workgroup (compile time only)
; SGPRBlocks: 2
; VGPRBlocks: 0
; NumSGPRsForWavesPerEU: 18
; NumVGPRsForWavesPerEU: 6
; Occupancy: 16
; WaveLimiterHint : 0
; COMPUTE_PGM_RSRC2:SCRATCH_EN: 0
; COMPUTE_PGM_RSRC2:USER_SGPR: 13
; COMPUTE_PGM_RSRC2:TRAP_HANDLER: 0
; COMPUTE_PGM_RSRC2:TGID_X_EN: 1
; COMPUTE_PGM_RSRC2:TGID_Y_EN: 1
; COMPUTE_PGM_RSRC2:TGID_Z_EN: 1
; COMPUTE_PGM_RSRC2:TIDIG_COMP_CNT: 1
	.section	.text._ZN9rocsolver6v33100L8set_diagI19rocblas_complex_numIfEiS3_PS3_TnNSt9enable_ifIXoont18rocblas_is_complexIT_E18rocblas_is_complexIT1_EEiE4typeELi0EEEvPS7_llT2_lT0_lSC_b,"axG",@progbits,_ZN9rocsolver6v33100L8set_diagI19rocblas_complex_numIfEiS3_PS3_TnNSt9enable_ifIXoont18rocblas_is_complexIT_E18rocblas_is_complexIT1_EEiE4typeELi0EEEvPS7_llT2_lT0_lSC_b,comdat
	.globl	_ZN9rocsolver6v33100L8set_diagI19rocblas_complex_numIfEiS3_PS3_TnNSt9enable_ifIXoont18rocblas_is_complexIT_E18rocblas_is_complexIT1_EEiE4typeELi0EEEvPS7_llT2_lT0_lSC_b ; -- Begin function _ZN9rocsolver6v33100L8set_diagI19rocblas_complex_numIfEiS3_PS3_TnNSt9enable_ifIXoont18rocblas_is_complexIT_E18rocblas_is_complexIT1_EEiE4typeELi0EEEvPS7_llT2_lT0_lSC_b
	.p2align	8
	.type	_ZN9rocsolver6v33100L8set_diagI19rocblas_complex_numIfEiS3_PS3_TnNSt9enable_ifIXoont18rocblas_is_complexIT_E18rocblas_is_complexIT1_EEiE4typeELi0EEEvPS7_llT2_lT0_lSC_b,@function
_ZN9rocsolver6v33100L8set_diagI19rocblas_complex_numIfEiS3_PS3_TnNSt9enable_ifIXoont18rocblas_is_complexIT_E18rocblas_is_complexIT1_EEiE4typeELi0EEEvPS7_llT2_lT0_lSC_b: ; @_ZN9rocsolver6v33100L8set_diagI19rocblas_complex_numIfEiS3_PS3_TnNSt9enable_ifIXoont18rocblas_is_complexIT_E18rocblas_is_complexIT1_EEiE4typeELi0EEEvPS7_llT2_lT0_lSC_b
; %bb.0:
	s_clause 0x1
	s_load_b32 s4, s[0:1], 0x4c
	s_load_b64 s[2:3], s[0:1], 0x38
	v_bfe_u32 v2, v0, 10, 10
	s_waitcnt lgkmcnt(0)
	s_lshr_b32 s4, s4, 16
	s_delay_alu instid0(VALU_DEP_1) | instid1(SALU_CYCLE_1)
	v_mad_u64_u32 v[0:1], null, s15, s4, v[2:3]
	s_delay_alu instid0(VALU_DEP_1)
	v_cmp_gt_i32_e32 vcc_lo, s2, v0
	s_and_saveexec_b32 s2, vcc_lo
	s_cbranch_execz .LBB86_5
; %bb.1:
	s_clause 0x3
	s_load_b32 s2, s[0:1], 0x28
	s_load_b64 s[12:13], s[0:1], 0x30
	s_load_b256 s[4:11], s[0:1], 0x0
	s_load_b64 s[0:1], s[0:1], 0x20
	s_bitcmp1_b32 s3, 0
	s_cselect_b32 s15, -1, 0
	s_ashr_i32 s16, s14, 31
	s_waitcnt lgkmcnt(0)
	v_mad_u64_u32 v[1:2], null, v0, s2, v[0:1]
	s_mul_i32 s2, s14, s13
	s_mul_hi_u32 s3, s14, s12
	s_mul_i32 s13, s16, s12
	s_add_i32 s3, s3, s2
	s_mul_i32 s2, s14, s12
	s_add_i32 s3, s3, s13
	s_delay_alu instid0(VALU_DEP_1)
	v_ashrrev_i32_e32 v2, 31, v1
	s_lshl_b64 s[2:3], s[2:3], 3
	s_mul_i32 s16, s16, s8
	s_add_u32 s2, s10, s2
	s_addc_u32 s3, s11, s3
	v_lshlrev_b64 v[2:3], 3, v[1:2]
	s_lshl_b64 s[0:1], s[0:1], 3
	v_ashrrev_i32_e32 v1, 31, v0
	s_add_u32 s0, s2, s0
	s_addc_u32 s1, s3, s1
	s_delay_alu instid0(VALU_DEP_2)
	v_add_co_u32 v2, vcc_lo, s0, v2
	v_add_co_ci_u32_e32 v3, vcc_lo, s1, v3, vcc_lo
	s_mul_i32 s0, s14, s9
	s_mul_hi_u32 s1, s14, s8
	v_lshlrev_b64 v[0:1], 3, v[0:1]
	global_load_b64 v[4:5], v[2:3], off
	s_add_i32 s1, s1, s0
	s_mul_i32 s0, s14, s8
	s_add_i32 s1, s1, s16
	s_delay_alu instid0(SALU_CYCLE_1) | instskip(NEXT) | instid1(SALU_CYCLE_1)
	s_lshl_b64 s[0:1], s[0:1], 3
	s_add_u32 s2, s4, s0
	s_addc_u32 s3, s5, s1
	s_lshl_b64 s[0:1], s[6:7], 3
	s_delay_alu instid0(SALU_CYCLE_1)
	s_add_u32 s0, s2, s0
	s_addc_u32 s1, s3, s1
	v_add_co_u32 v0, vcc_lo, s0, v0
	v_add_co_ci_u32_e32 v1, vcc_lo, s1, v1, vcc_lo
	s_and_b32 vcc_lo, exec_lo, s15
	s_waitcnt vmcnt(0)
	global_store_b64 v[0:1], v[4:5], off
	s_cbranch_vccnz .LBB86_3
; %bb.2:
	global_load_b64 v[0:1], v[2:3], off
	s_branch .LBB86_4
.LBB86_3:
	v_dual_mov_b32 v1, 0 :: v_dual_mov_b32 v0, 1.0
.LBB86_4:
	s_waitcnt vmcnt(0)
	global_store_b64 v[2:3], v[0:1], off
.LBB86_5:
	s_nop 0
	s_sendmsg sendmsg(MSG_DEALLOC_VGPRS)
	s_endpgm
	.section	.rodata,"a",@progbits
	.p2align	6, 0x0
	.amdhsa_kernel _ZN9rocsolver6v33100L8set_diagI19rocblas_complex_numIfEiS3_PS3_TnNSt9enable_ifIXoont18rocblas_is_complexIT_E18rocblas_is_complexIT1_EEiE4typeELi0EEEvPS7_llT2_lT0_lSC_b
		.amdhsa_group_segment_fixed_size 0
		.amdhsa_private_segment_fixed_size 0
		.amdhsa_kernarg_size 320
		.amdhsa_user_sgpr_count 14
		.amdhsa_user_sgpr_dispatch_ptr 0
		.amdhsa_user_sgpr_queue_ptr 0
		.amdhsa_user_sgpr_kernarg_segment_ptr 1
		.amdhsa_user_sgpr_dispatch_id 0
		.amdhsa_user_sgpr_private_segment_size 0
		.amdhsa_wavefront_size32 1
		.amdhsa_uses_dynamic_stack 0
		.amdhsa_enable_private_segment 0
		.amdhsa_system_sgpr_workgroup_id_x 1
		.amdhsa_system_sgpr_workgroup_id_y 1
		.amdhsa_system_sgpr_workgroup_id_z 0
		.amdhsa_system_sgpr_workgroup_info 0
		.amdhsa_system_vgpr_workitem_id 1
		.amdhsa_next_free_vgpr 6
		.amdhsa_next_free_sgpr 17
		.amdhsa_reserve_vcc 1
		.amdhsa_float_round_mode_32 0
		.amdhsa_float_round_mode_16_64 0
		.amdhsa_float_denorm_mode_32 3
		.amdhsa_float_denorm_mode_16_64 3
		.amdhsa_dx10_clamp 1
		.amdhsa_ieee_mode 1
		.amdhsa_fp16_overflow 0
		.amdhsa_workgroup_processor_mode 1
		.amdhsa_memory_ordered 1
		.amdhsa_forward_progress 0
		.amdhsa_shared_vgpr_count 0
		.amdhsa_exception_fp_ieee_invalid_op 0
		.amdhsa_exception_fp_denorm_src 0
		.amdhsa_exception_fp_ieee_div_zero 0
		.amdhsa_exception_fp_ieee_overflow 0
		.amdhsa_exception_fp_ieee_underflow 0
		.amdhsa_exception_fp_ieee_inexact 0
		.amdhsa_exception_int_div_zero 0
	.end_amdhsa_kernel
	.section	.text._ZN9rocsolver6v33100L8set_diagI19rocblas_complex_numIfEiS3_PS3_TnNSt9enable_ifIXoont18rocblas_is_complexIT_E18rocblas_is_complexIT1_EEiE4typeELi0EEEvPS7_llT2_lT0_lSC_b,"axG",@progbits,_ZN9rocsolver6v33100L8set_diagI19rocblas_complex_numIfEiS3_PS3_TnNSt9enable_ifIXoont18rocblas_is_complexIT_E18rocblas_is_complexIT1_EEiE4typeELi0EEEvPS7_llT2_lT0_lSC_b,comdat
.Lfunc_end86:
	.size	_ZN9rocsolver6v33100L8set_diagI19rocblas_complex_numIfEiS3_PS3_TnNSt9enable_ifIXoont18rocblas_is_complexIT_E18rocblas_is_complexIT1_EEiE4typeELi0EEEvPS7_llT2_lT0_lSC_b, .Lfunc_end86-_ZN9rocsolver6v33100L8set_diagI19rocblas_complex_numIfEiS3_PS3_TnNSt9enable_ifIXoont18rocblas_is_complexIT_E18rocblas_is_complexIT1_EEiE4typeELi0EEEvPS7_llT2_lT0_lSC_b
                                        ; -- End function
	.section	.AMDGPU.csdata,"",@progbits
; Kernel info:
; codeLenInByte = 356
; NumSgprs: 19
; NumVgprs: 6
; ScratchSize: 0
; MemoryBound: 0
; FloatMode: 240
; IeeeMode: 1
; LDSByteSize: 0 bytes/workgroup (compile time only)
; SGPRBlocks: 2
; VGPRBlocks: 0
; NumSGPRsForWavesPerEU: 19
; NumVGPRsForWavesPerEU: 6
; Occupancy: 16
; WaveLimiterHint : 0
; COMPUTE_PGM_RSRC2:SCRATCH_EN: 0
; COMPUTE_PGM_RSRC2:USER_SGPR: 14
; COMPUTE_PGM_RSRC2:TRAP_HANDLER: 0
; COMPUTE_PGM_RSRC2:TGID_X_EN: 1
; COMPUTE_PGM_RSRC2:TGID_Y_EN: 1
; COMPUTE_PGM_RSRC2:TGID_Z_EN: 0
; COMPUTE_PGM_RSRC2:TIDIG_COMP_CNT: 1
	.section	.text._ZN9rocsolver6v33100L12restore_diagI19rocblas_complex_numIfEiS3_PS3_EEvPT1_llT2_lT0_lS8_,"axG",@progbits,_ZN9rocsolver6v33100L12restore_diagI19rocblas_complex_numIfEiS3_PS3_EEvPT1_llT2_lT0_lS8_,comdat
	.globl	_ZN9rocsolver6v33100L12restore_diagI19rocblas_complex_numIfEiS3_PS3_EEvPT1_llT2_lT0_lS8_ ; -- Begin function _ZN9rocsolver6v33100L12restore_diagI19rocblas_complex_numIfEiS3_PS3_EEvPT1_llT2_lT0_lS8_
	.p2align	8
	.type	_ZN9rocsolver6v33100L12restore_diagI19rocblas_complex_numIfEiS3_PS3_EEvPT1_llT2_lT0_lS8_,@function
_ZN9rocsolver6v33100L12restore_diagI19rocblas_complex_numIfEiS3_PS3_EEvPT1_llT2_lT0_lS8_: ; @_ZN9rocsolver6v33100L12restore_diagI19rocblas_complex_numIfEiS3_PS3_EEvPT1_llT2_lT0_lS8_
; %bb.0:
	s_clause 0x1
	s_load_b32 s2, s[0:1], 0x4c
	s_load_b32 s3, s[0:1], 0x38
	v_bfe_u32 v2, v0, 10, 10
	s_waitcnt lgkmcnt(0)
	s_lshr_b32 s2, s2, 16
	s_delay_alu instid0(VALU_DEP_1) | instid1(SALU_CYCLE_1)
	v_mad_u64_u32 v[0:1], null, s15, s2, v[2:3]
	s_mov_b32 s2, exec_lo
	s_delay_alu instid0(VALU_DEP_1)
	v_cmpx_gt_i32_e64 s3, v0
	s_cbranch_execz .LBB87_2
; %bb.1:
	s_clause 0x3
	s_load_b64 s[2:3], s[0:1], 0x30
	s_load_b256 s[4:11], s[0:1], 0x0
	s_load_b32 s12, s[0:1], 0x28
	s_load_b64 s[0:1], s[0:1], 0x20
	s_ashr_i32 s13, s14, 31
	s_waitcnt lgkmcnt(0)
	s_mul_i32 s3, s14, s3
	s_mul_hi_u32 s15, s14, s2
	s_mul_i32 s16, s13, s2
	s_add_i32 s3, s15, s3
	s_mul_i32 s2, s14, s2
	s_add_i32 s3, s3, s16
	s_mul_i32 s9, s14, s9
	s_lshl_b64 s[2:3], s[2:3], 3
	s_mul_hi_u32 s15, s14, s8
	s_add_u32 s2, s10, s2
	s_addc_u32 s3, s11, s3
	s_lshl_b64 s[0:1], s[0:1], 3
	s_mul_i32 s13, s13, s8
	s_add_u32 s2, s2, s0
	v_mad_u64_u32 v[2:3], null, v0, s12, v[0:1]
	v_ashrrev_i32_e32 v1, 31, v0
	s_addc_u32 s3, s3, s1
	s_add_i32 s1, s15, s9
	s_mul_i32 s0, s14, s8
	s_add_i32 s1, s1, s13
	v_lshlrev_b64 v[0:1], 3, v[0:1]
	s_lshl_b64 s[0:1], s[0:1], 3
	v_ashrrev_i32_e32 v3, 31, v2
	s_add_u32 s4, s4, s0
	s_addc_u32 s5, s5, s1
	s_lshl_b64 s[0:1], s[6:7], 3
	s_delay_alu instid0(SALU_CYCLE_1)
	s_add_u32 s0, s4, s0
	s_addc_u32 s1, s5, s1
	v_add_co_u32 v0, vcc_lo, s0, v0
	v_add_co_ci_u32_e32 v1, vcc_lo, s1, v1, vcc_lo
	v_lshlrev_b64 v[2:3], 3, v[2:3]
	global_load_b64 v[0:1], v[0:1], off
	v_add_co_u32 v2, vcc_lo, s2, v2
	v_add_co_ci_u32_e32 v3, vcc_lo, s3, v3, vcc_lo
	s_waitcnt vmcnt(0)
	global_store_b64 v[2:3], v[0:1], off
.LBB87_2:
	s_nop 0
	s_sendmsg sendmsg(MSG_DEALLOC_VGPRS)
	s_endpgm
	.section	.rodata,"a",@progbits
	.p2align	6, 0x0
	.amdhsa_kernel _ZN9rocsolver6v33100L12restore_diagI19rocblas_complex_numIfEiS3_PS3_EEvPT1_llT2_lT0_lS8_
		.amdhsa_group_segment_fixed_size 0
		.amdhsa_private_segment_fixed_size 0
		.amdhsa_kernarg_size 320
		.amdhsa_user_sgpr_count 14
		.amdhsa_user_sgpr_dispatch_ptr 0
		.amdhsa_user_sgpr_queue_ptr 0
		.amdhsa_user_sgpr_kernarg_segment_ptr 1
		.amdhsa_user_sgpr_dispatch_id 0
		.amdhsa_user_sgpr_private_segment_size 0
		.amdhsa_wavefront_size32 1
		.amdhsa_uses_dynamic_stack 0
		.amdhsa_enable_private_segment 0
		.amdhsa_system_sgpr_workgroup_id_x 1
		.amdhsa_system_sgpr_workgroup_id_y 1
		.amdhsa_system_sgpr_workgroup_id_z 0
		.amdhsa_system_sgpr_workgroup_info 0
		.amdhsa_system_vgpr_workitem_id 1
		.amdhsa_next_free_vgpr 4
		.amdhsa_next_free_sgpr 17
		.amdhsa_reserve_vcc 1
		.amdhsa_float_round_mode_32 0
		.amdhsa_float_round_mode_16_64 0
		.amdhsa_float_denorm_mode_32 3
		.amdhsa_float_denorm_mode_16_64 3
		.amdhsa_dx10_clamp 1
		.amdhsa_ieee_mode 1
		.amdhsa_fp16_overflow 0
		.amdhsa_workgroup_processor_mode 1
		.amdhsa_memory_ordered 1
		.amdhsa_forward_progress 0
		.amdhsa_shared_vgpr_count 0
		.amdhsa_exception_fp_ieee_invalid_op 0
		.amdhsa_exception_fp_denorm_src 0
		.amdhsa_exception_fp_ieee_div_zero 0
		.amdhsa_exception_fp_ieee_overflow 0
		.amdhsa_exception_fp_ieee_underflow 0
		.amdhsa_exception_fp_ieee_inexact 0
		.amdhsa_exception_int_div_zero 0
	.end_amdhsa_kernel
	.section	.text._ZN9rocsolver6v33100L12restore_diagI19rocblas_complex_numIfEiS3_PS3_EEvPT1_llT2_lT0_lS8_,"axG",@progbits,_ZN9rocsolver6v33100L12restore_diagI19rocblas_complex_numIfEiS3_PS3_EEvPT1_llT2_lT0_lS8_,comdat
.Lfunc_end87:
	.size	_ZN9rocsolver6v33100L12restore_diagI19rocblas_complex_numIfEiS3_PS3_EEvPT1_llT2_lT0_lS8_, .Lfunc_end87-_ZN9rocsolver6v33100L12restore_diagI19rocblas_complex_numIfEiS3_PS3_EEvPT1_llT2_lT0_lS8_
                                        ; -- End function
	.section	.AMDGPU.csdata,"",@progbits
; Kernel info:
; codeLenInByte = 300
; NumSgprs: 19
; NumVgprs: 4
; ScratchSize: 0
; MemoryBound: 0
; FloatMode: 240
; IeeeMode: 1
; LDSByteSize: 0 bytes/workgroup (compile time only)
; SGPRBlocks: 2
; VGPRBlocks: 0
; NumSGPRsForWavesPerEU: 19
; NumVGPRsForWavesPerEU: 4
; Occupancy: 16
; WaveLimiterHint : 0
; COMPUTE_PGM_RSRC2:SCRATCH_EN: 0
; COMPUTE_PGM_RSRC2:USER_SGPR: 14
; COMPUTE_PGM_RSRC2:TRAP_HANDLER: 0
; COMPUTE_PGM_RSRC2:TGID_X_EN: 1
; COMPUTE_PGM_RSRC2:TGID_Y_EN: 1
; COMPUTE_PGM_RSRC2:TGID_Z_EN: 0
; COMPUTE_PGM_RSRC2:TIDIG_COMP_CNT: 1
	.section	.text._ZN9rocsolver6v33100L8set_zeroI19rocblas_complex_numIfEPS3_EEviiT0_iil13rocblas_fill_,"axG",@progbits,_ZN9rocsolver6v33100L8set_zeroI19rocblas_complex_numIfEPS3_EEviiT0_iil13rocblas_fill_,comdat
	.globl	_ZN9rocsolver6v33100L8set_zeroI19rocblas_complex_numIfEPS3_EEviiT0_iil13rocblas_fill_ ; -- Begin function _ZN9rocsolver6v33100L8set_zeroI19rocblas_complex_numIfEPS3_EEviiT0_iil13rocblas_fill_
	.p2align	8
	.type	_ZN9rocsolver6v33100L8set_zeroI19rocblas_complex_numIfEPS3_EEviiT0_iil13rocblas_fill_,@function
_ZN9rocsolver6v33100L8set_zeroI19rocblas_complex_numIfEPS3_EEviiT0_iil13rocblas_fill_: ; @_ZN9rocsolver6v33100L8set_zeroI19rocblas_complex_numIfEPS3_EEviiT0_iil13rocblas_fill_
; %bb.0:
	s_clause 0x1
	s_load_b32 s4, s[0:1], 0x34
	s_load_b64 s[2:3], s[0:1], 0x0
	v_and_b32_e32 v2, 0x3ff, v0
	v_bfe_u32 v3, v0, 10, 10
	s_waitcnt lgkmcnt(0)
	s_lshr_b32 s5, s4, 16
	s_and_b32 s4, s4, 0xffff
	s_delay_alu instid0(VALU_DEP_1) | instid1(SALU_CYCLE_1)
	v_mad_u64_u32 v[0:1], null, s13, s4, v[2:3]
	v_mad_u64_u32 v[1:2], null, s14, s5, v[3:4]
	s_delay_alu instid0(VALU_DEP_2) | instskip(NEXT) | instid1(VALU_DEP_2)
	v_cmp_gt_u32_e32 vcc_lo, s2, v0
	v_cmp_gt_u32_e64 s2, s3, v1
	s_delay_alu instid0(VALU_DEP_1) | instskip(NEXT) | instid1(SALU_CYCLE_1)
	s_and_b32 s2, vcc_lo, s2
	s_and_saveexec_b32 s3, s2
	s_cbranch_execz .LBB88_12
; %bb.1:
	s_load_b32 s3, s[0:1], 0x20
	s_waitcnt lgkmcnt(0)
	s_cmpk_lt_i32 s3, 0x7a
	s_cbranch_scc1 .LBB88_4
; %bb.2:
	s_cmpk_gt_i32 s3, 0x7a
	s_cbranch_scc0 .LBB88_5
; %bb.3:
	s_cmpk_eq_i32 s3, 0x7b
	s_cselect_b32 s2, -1, 0
	s_cbranch_execz .LBB88_6
	s_branch .LBB88_7
.LBB88_4:
	s_mov_b32 s2, 0
	s_cbranch_execnz .LBB88_8
	s_branch .LBB88_10
.LBB88_5:
	s_mov_b32 s2, 0
.LBB88_6:
	v_cmp_gt_u32_e32 vcc_lo, v1, v0
	s_and_not1_b32 s2, s2, exec_lo
	s_and_b32 s4, vcc_lo, exec_lo
	s_delay_alu instid0(SALU_CYCLE_1)
	s_or_b32 s2, s2, s4
.LBB88_7:
	s_branch .LBB88_10
.LBB88_8:
	s_cmpk_eq_i32 s3, 0x79
	s_cbranch_scc0 .LBB88_10
; %bb.9:
	v_cmp_gt_u32_e32 vcc_lo, v0, v1
	s_and_not1_b32 s2, s2, exec_lo
	s_and_b32 s3, vcc_lo, exec_lo
	s_delay_alu instid0(SALU_CYCLE_1)
	s_or_b32 s2, s2, s3
.LBB88_10:
	s_delay_alu instid0(SALU_CYCLE_1)
	s_and_b32 exec_lo, exec_lo, s2
	s_cbranch_execz .LBB88_12
; %bb.11:
	s_clause 0x1
	s_load_b128 s[4:7], s[0:1], 0x8
	s_load_b64 s[0:1], s[0:1], 0x18
	s_waitcnt lgkmcnt(0)
	v_mad_u64_u32 v[2:3], null, v1, s7, v[0:1]
	s_mul_i32 s1, s15, s1
	s_mul_hi_u32 s2, s15, s0
	v_mov_b32_e32 v3, 0
	s_mul_i32 s0, s15, s0
	s_add_i32 s1, s2, s1
	s_ashr_i32 s3, s6, 31
	s_lshl_b64 s[0:1], s[0:1], 3
	s_mov_b32 s2, s6
	v_lshlrev_b64 v[0:1], 3, v[2:3]
	s_add_u32 s4, s4, s0
	s_addc_u32 s5, s5, s1
	s_lshl_b64 s[0:1], s[2:3], 3
	v_mov_b32_e32 v2, v3
	s_add_u32 s0, s4, s0
	s_addc_u32 s1, s5, s1
	v_add_co_u32 v0, vcc_lo, s0, v0
	v_add_co_ci_u32_e32 v1, vcc_lo, s1, v1, vcc_lo
	global_store_b64 v[0:1], v[2:3], off
.LBB88_12:
	s_nop 0
	s_sendmsg sendmsg(MSG_DEALLOC_VGPRS)
	s_endpgm
	.section	.rodata,"a",@progbits
	.p2align	6, 0x0
	.amdhsa_kernel _ZN9rocsolver6v33100L8set_zeroI19rocblas_complex_numIfEPS3_EEviiT0_iil13rocblas_fill_
		.amdhsa_group_segment_fixed_size 0
		.amdhsa_private_segment_fixed_size 0
		.amdhsa_kernarg_size 296
		.amdhsa_user_sgpr_count 13
		.amdhsa_user_sgpr_dispatch_ptr 0
		.amdhsa_user_sgpr_queue_ptr 0
		.amdhsa_user_sgpr_kernarg_segment_ptr 1
		.amdhsa_user_sgpr_dispatch_id 0
		.amdhsa_user_sgpr_private_segment_size 0
		.amdhsa_wavefront_size32 1
		.amdhsa_uses_dynamic_stack 0
		.amdhsa_enable_private_segment 0
		.amdhsa_system_sgpr_workgroup_id_x 1
		.amdhsa_system_sgpr_workgroup_id_y 1
		.amdhsa_system_sgpr_workgroup_id_z 1
		.amdhsa_system_sgpr_workgroup_info 0
		.amdhsa_system_vgpr_workitem_id 1
		.amdhsa_next_free_vgpr 5
		.amdhsa_next_free_sgpr 16
		.amdhsa_reserve_vcc 1
		.amdhsa_float_round_mode_32 0
		.amdhsa_float_round_mode_16_64 0
		.amdhsa_float_denorm_mode_32 3
		.amdhsa_float_denorm_mode_16_64 3
		.amdhsa_dx10_clamp 1
		.amdhsa_ieee_mode 1
		.amdhsa_fp16_overflow 0
		.amdhsa_workgroup_processor_mode 1
		.amdhsa_memory_ordered 1
		.amdhsa_forward_progress 0
		.amdhsa_shared_vgpr_count 0
		.amdhsa_exception_fp_ieee_invalid_op 0
		.amdhsa_exception_fp_denorm_src 0
		.amdhsa_exception_fp_ieee_div_zero 0
		.amdhsa_exception_fp_ieee_overflow 0
		.amdhsa_exception_fp_ieee_underflow 0
		.amdhsa_exception_fp_ieee_inexact 0
		.amdhsa_exception_int_div_zero 0
	.end_amdhsa_kernel
	.section	.text._ZN9rocsolver6v33100L8set_zeroI19rocblas_complex_numIfEPS3_EEviiT0_iil13rocblas_fill_,"axG",@progbits,_ZN9rocsolver6v33100L8set_zeroI19rocblas_complex_numIfEPS3_EEviiT0_iil13rocblas_fill_,comdat
.Lfunc_end88:
	.size	_ZN9rocsolver6v33100L8set_zeroI19rocblas_complex_numIfEPS3_EEviiT0_iil13rocblas_fill_, .Lfunc_end88-_ZN9rocsolver6v33100L8set_zeroI19rocblas_complex_numIfEPS3_EEviiT0_iil13rocblas_fill_
                                        ; -- End function
	.section	.AMDGPU.csdata,"",@progbits
; Kernel info:
; codeLenInByte = 356
; NumSgprs: 18
; NumVgprs: 5
; ScratchSize: 0
; MemoryBound: 0
; FloatMode: 240
; IeeeMode: 1
; LDSByteSize: 0 bytes/workgroup (compile time only)
; SGPRBlocks: 2
; VGPRBlocks: 0
; NumSGPRsForWavesPerEU: 18
; NumVGPRsForWavesPerEU: 5
; Occupancy: 16
; WaveLimiterHint : 0
; COMPUTE_PGM_RSRC2:SCRATCH_EN: 0
; COMPUTE_PGM_RSRC2:USER_SGPR: 13
; COMPUTE_PGM_RSRC2:TRAP_HANDLER: 0
; COMPUTE_PGM_RSRC2:TGID_X_EN: 1
; COMPUTE_PGM_RSRC2:TGID_Y_EN: 1
; COMPUTE_PGM_RSRC2:TGID_Z_EN: 1
; COMPUTE_PGM_RSRC2:TIDIG_COMP_CNT: 1
	.section	.text._ZN9rocsolver6v33100L16org2r_init_identI19rocblas_complex_numIfEPS3_EEviiiT0_iil,"axG",@progbits,_ZN9rocsolver6v33100L16org2r_init_identI19rocblas_complex_numIfEPS3_EEviiiT0_iil,comdat
	.globl	_ZN9rocsolver6v33100L16org2r_init_identI19rocblas_complex_numIfEPS3_EEviiiT0_iil ; -- Begin function _ZN9rocsolver6v33100L16org2r_init_identI19rocblas_complex_numIfEPS3_EEviiiT0_iil
	.p2align	8
	.type	_ZN9rocsolver6v33100L16org2r_init_identI19rocblas_complex_numIfEPS3_EEviiiT0_iil,@function
_ZN9rocsolver6v33100L16org2r_init_identI19rocblas_complex_numIfEPS3_EEviiiT0_iil: ; @_ZN9rocsolver6v33100L16org2r_init_identI19rocblas_complex_numIfEPS3_EEviiiT0_iil
; %bb.0:
	s_clause 0x1
	s_load_b32 s2, s[0:1], 0x34
	s_load_b128 s[4:7], s[0:1], 0x0
	v_and_b32_e32 v1, 0x3ff, v0
	v_bfe_u32 v0, v0, 10, 10
	s_waitcnt lgkmcnt(0)
	s_lshr_b32 s3, s2, 16
	s_and_b32 s2, s2, 0xffff
	s_delay_alu instid0(SALU_CYCLE_1) | instskip(SKIP_1) | instid1(VALU_DEP_2)
	v_mad_u64_u32 v[4:5], null, s13, s2, v[1:2]
	v_mad_u64_u32 v[2:3], null, s14, s3, v[0:1]
	v_cmp_gt_u32_e32 vcc_lo, s4, v4
	s_delay_alu instid0(VALU_DEP_2) | instskip(NEXT) | instid1(VALU_DEP_1)
	v_cmp_gt_u32_e64 s2, s5, v2
	s_and_b32 s2, vcc_lo, s2
	s_delay_alu instid0(SALU_CYCLE_1)
	s_and_saveexec_b32 s3, s2
	s_cbranch_execz .LBB89_5
; %bb.1:
	s_clause 0x1
	s_load_b64 s[4:5], s[0:1], 0x20
	s_load_b128 s[0:3], s[0:1], 0x10
                                        ; implicit-def: $vgpr0_vgpr1
	s_waitcnt lgkmcnt(0)
	s_mul_i32 s5, s15, s5
	s_mul_hi_u32 s7, s15, s4
	s_mul_i32 s4, s15, s4
	s_add_i32 s5, s7, s5
	s_ashr_i32 s9, s2, 31
	s_lshl_b64 s[4:5], s[4:5], 3
	s_mov_b32 s8, s2
	s_add_u32 s2, s0, s4
	s_addc_u32 s4, s1, s5
	s_lshl_b64 s[0:1], s[8:9], 3
	s_delay_alu instid0(SALU_CYCLE_1)
	s_add_u32 s0, s2, s0
	s_addc_u32 s1, s4, s1
	s_mov_b32 s4, 0
	s_mov_b32 s2, exec_lo
	v_cmpx_ne_u32_e64 v4, v2
	s_xor_b32 s2, exec_lo, s2
	s_cbranch_execnz .LBB89_6
; %bb.2:
	s_and_not1_saveexec_b32 s2, s2
	s_cbranch_execnz .LBB89_13
.LBB89_3:
	s_or_b32 exec_lo, exec_lo, s2
	s_delay_alu instid0(SALU_CYCLE_1)
	s_and_b32 exec_lo, exec_lo, s4
	s_cbranch_execz .LBB89_5
.LBB89_4:
	v_mov_b32_e32 v2, 0
	global_store_b32 v[0:1], v2, off
.LBB89_5:
	s_nop 0
	s_sendmsg sendmsg(MSG_DEALLOC_VGPRS)
	s_endpgm
.LBB89_6:
	s_mov_b32 s5, exec_lo
                                        ; implicit-def: $vgpr0_vgpr1
	v_cmpx_le_u32_e64 v2, v4
	s_xor_b32 s5, exec_lo, s5
	s_cbranch_execz .LBB89_10
; %bb.7:
	v_cmp_le_u32_e32 vcc_lo, s6, v2
                                        ; implicit-def: $vgpr0_vgpr1
	s_and_saveexec_b32 s6, vcc_lo
	s_delay_alu instid0(SALU_CYCLE_1)
	s_xor_b32 s6, exec_lo, s6
	s_cbranch_execz .LBB89_9
; %bb.8:
	v_mad_u64_u32 v[5:6], null, v2, s3, v[4:5]
	v_mov_b32_e32 v6, 0
	s_mov_b32 s4, exec_lo
	s_delay_alu instid0(VALU_DEP_1) | instskip(NEXT) | instid1(VALU_DEP_1)
	v_lshlrev_b64 v[0:1], 3, v[5:6]
	v_add_co_u32 v2, vcc_lo, s0, v0
	s_delay_alu instid0(VALU_DEP_2) | instskip(NEXT) | instid1(VALU_DEP_2)
	v_add_co_ci_u32_e32 v3, vcc_lo, s1, v1, vcc_lo
	v_add_co_u32 v0, vcc_lo, v2, 4
	s_delay_alu instid0(VALU_DEP_2)
	v_add_co_ci_u32_e32 v1, vcc_lo, 0, v3, vcc_lo
	global_store_b32 v[2:3], v6, off
.LBB89_9:
	s_or_b32 exec_lo, exec_lo, s6
	s_delay_alu instid0(SALU_CYCLE_1)
	s_and_b32 s4, s4, exec_lo
                                        ; implicit-def: $vgpr4_vgpr5
                                        ; implicit-def: $vgpr2_vgpr3
.LBB89_10:
	s_and_not1_saveexec_b32 s5, s5
	s_cbranch_execz .LBB89_12
; %bb.11:
	v_mad_u64_u32 v[5:6], null, v2, s3, v[4:5]
	v_mov_b32_e32 v6, 0
	s_or_b32 s4, s4, exec_lo
	s_delay_alu instid0(VALU_DEP_1) | instskip(NEXT) | instid1(VALU_DEP_1)
	v_lshlrev_b64 v[0:1], 3, v[5:6]
	v_add_co_u32 v2, vcc_lo, s0, v0
	s_delay_alu instid0(VALU_DEP_2) | instskip(NEXT) | instid1(VALU_DEP_2)
	v_add_co_ci_u32_e32 v3, vcc_lo, s1, v1, vcc_lo
	v_add_co_u32 v0, vcc_lo, v2, 4
	s_delay_alu instid0(VALU_DEP_2)
	v_add_co_ci_u32_e32 v1, vcc_lo, 0, v3, vcc_lo
	global_store_b32 v[2:3], v6, off
.LBB89_12:
	s_or_b32 exec_lo, exec_lo, s5
	s_delay_alu instid0(SALU_CYCLE_1)
	s_and_b32 s4, s4, exec_lo
                                        ; implicit-def: $vgpr2_vgpr3
	s_and_not1_saveexec_b32 s2, s2
	s_cbranch_execz .LBB89_3
.LBB89_13:
	v_mad_u64_u32 v[0:1], null, v2, s3, v[2:3]
	v_dual_mov_b32 v1, 0 :: v_dual_mov_b32 v4, 1.0
	s_or_b32 s4, s4, exec_lo
	s_delay_alu instid0(VALU_DEP_1) | instskip(NEXT) | instid1(VALU_DEP_1)
	v_lshlrev_b64 v[0:1], 3, v[0:1]
	v_add_co_u32 v2, vcc_lo, s0, v0
	s_delay_alu instid0(VALU_DEP_2) | instskip(NEXT) | instid1(VALU_DEP_2)
	v_add_co_ci_u32_e32 v3, vcc_lo, s1, v1, vcc_lo
	v_add_co_u32 v0, vcc_lo, v2, 4
	s_delay_alu instid0(VALU_DEP_2) | instskip(SKIP_2) | instid1(SALU_CYCLE_1)
	v_add_co_ci_u32_e32 v1, vcc_lo, 0, v3, vcc_lo
	global_store_b32 v[2:3], v4, off
	s_or_b32 exec_lo, exec_lo, s2
	s_and_b32 exec_lo, exec_lo, s4
	s_cbranch_execnz .LBB89_4
	s_branch .LBB89_5
	.section	.rodata,"a",@progbits
	.p2align	6, 0x0
	.amdhsa_kernel _ZN9rocsolver6v33100L16org2r_init_identI19rocblas_complex_numIfEPS3_EEviiiT0_iil
		.amdhsa_group_segment_fixed_size 0
		.amdhsa_private_segment_fixed_size 0
		.amdhsa_kernarg_size 296
		.amdhsa_user_sgpr_count 13
		.amdhsa_user_sgpr_dispatch_ptr 0
		.amdhsa_user_sgpr_queue_ptr 0
		.amdhsa_user_sgpr_kernarg_segment_ptr 1
		.amdhsa_user_sgpr_dispatch_id 0
		.amdhsa_user_sgpr_private_segment_size 0
		.amdhsa_wavefront_size32 1
		.amdhsa_uses_dynamic_stack 0
		.amdhsa_enable_private_segment 0
		.amdhsa_system_sgpr_workgroup_id_x 1
		.amdhsa_system_sgpr_workgroup_id_y 1
		.amdhsa_system_sgpr_workgroup_id_z 1
		.amdhsa_system_sgpr_workgroup_info 0
		.amdhsa_system_vgpr_workitem_id 1
		.amdhsa_next_free_vgpr 7
		.amdhsa_next_free_sgpr 16
		.amdhsa_reserve_vcc 1
		.amdhsa_float_round_mode_32 0
		.amdhsa_float_round_mode_16_64 0
		.amdhsa_float_denorm_mode_32 3
		.amdhsa_float_denorm_mode_16_64 3
		.amdhsa_dx10_clamp 1
		.amdhsa_ieee_mode 1
		.amdhsa_fp16_overflow 0
		.amdhsa_workgroup_processor_mode 1
		.amdhsa_memory_ordered 1
		.amdhsa_forward_progress 0
		.amdhsa_shared_vgpr_count 0
		.amdhsa_exception_fp_ieee_invalid_op 0
		.amdhsa_exception_fp_denorm_src 0
		.amdhsa_exception_fp_ieee_div_zero 0
		.amdhsa_exception_fp_ieee_overflow 0
		.amdhsa_exception_fp_ieee_underflow 0
		.amdhsa_exception_fp_ieee_inexact 0
		.amdhsa_exception_int_div_zero 0
	.end_amdhsa_kernel
	.section	.text._ZN9rocsolver6v33100L16org2r_init_identI19rocblas_complex_numIfEPS3_EEviiiT0_iil,"axG",@progbits,_ZN9rocsolver6v33100L16org2r_init_identI19rocblas_complex_numIfEPS3_EEviiiT0_iil,comdat
.Lfunc_end89:
	.size	_ZN9rocsolver6v33100L16org2r_init_identI19rocblas_complex_numIfEPS3_EEviiiT0_iil, .Lfunc_end89-_ZN9rocsolver6v33100L16org2r_init_identI19rocblas_complex_numIfEPS3_EEviiiT0_iil
                                        ; -- End function
	.section	.AMDGPU.csdata,"",@progbits
; Kernel info:
; codeLenInByte = 556
; NumSgprs: 18
; NumVgprs: 7
; ScratchSize: 0
; MemoryBound: 0
; FloatMode: 240
; IeeeMode: 1
; LDSByteSize: 0 bytes/workgroup (compile time only)
; SGPRBlocks: 2
; VGPRBlocks: 0
; NumSGPRsForWavesPerEU: 18
; NumVGPRsForWavesPerEU: 7
; Occupancy: 16
; WaveLimiterHint : 0
; COMPUTE_PGM_RSRC2:SCRATCH_EN: 0
; COMPUTE_PGM_RSRC2:USER_SGPR: 13
; COMPUTE_PGM_RSRC2:TRAP_HANDLER: 0
; COMPUTE_PGM_RSRC2:TGID_X_EN: 1
; COMPUTE_PGM_RSRC2:TGID_Y_EN: 1
; COMPUTE_PGM_RSRC2:TGID_Z_EN: 1
; COMPUTE_PGM_RSRC2:TIDIG_COMP_CNT: 1
	.section	.text._ZN9rocsolver6v33100L12subtract_tauI19rocblas_complex_numIfEPS3_EEviiT0_iilPT_l,"axG",@progbits,_ZN9rocsolver6v33100L12subtract_tauI19rocblas_complex_numIfEPS3_EEviiT0_iilPT_l,comdat
	.globl	_ZN9rocsolver6v33100L12subtract_tauI19rocblas_complex_numIfEPS3_EEviiT0_iilPT_l ; -- Begin function _ZN9rocsolver6v33100L12subtract_tauI19rocblas_complex_numIfEPS3_EEviiT0_iilPT_l
	.p2align	8
	.type	_ZN9rocsolver6v33100L12subtract_tauI19rocblas_complex_numIfEPS3_EEviiT0_iilPT_l,@function
_ZN9rocsolver6v33100L12subtract_tauI19rocblas_complex_numIfEPS3_EEviiT0_iilPT_l: ; @_ZN9rocsolver6v33100L12subtract_tauI19rocblas_complex_numIfEPS3_EEviiT0_iilPT_l
; %bb.0:
	s_clause 0x3
	s_load_b64 s[8:9], s[0:1], 0x10
	s_load_b128 s[4:7], s[0:1], 0x18
	s_load_b64 s[10:11], s[0:1], 0x28
	s_load_b128 s[0:3], s[0:1], 0x0
	s_waitcnt lgkmcnt(0)
	s_ashr_i32 s13, s8, 31
	s_mov_b32 s12, s8
	s_mul_i32 s5, s15, s5
	s_mul_hi_u32 s8, s15, s4
	s_mul_i32 s4, s15, s4
	s_add_i32 s5, s8, s5
	s_mul_i32 s8, s15, s11
	s_lshl_b64 s[4:5], s[4:5], 3
	s_mul_hi_u32 s11, s15, s10
	s_add_u32 s14, s2, s4
	s_addc_u32 s5, s3, s5
	s_lshl_b64 s[2:3], s[12:13], 3
	s_mul_i32 s4, s15, s10
	s_add_u32 s10, s14, s2
	s_addc_u32 s12, s5, s3
	s_add_i32 s5, s11, s8
	s_mul_i32 s1, s9, s1
	s_lshl_b64 s[2:3], s[4:5], 3
	s_delay_alu instid0(SALU_CYCLE_1) | instskip(SKIP_4) | instid1(SALU_CYCLE_1)
	s_add_u32 s2, s6, s2
	s_addc_u32 s3, s7, s3
	s_add_i32 s0, s1, s0
	s_load_b64 s[4:5], s[2:3], 0x0
	s_ashr_i32 s1, s0, 31
	s_lshl_b64 s[0:1], s[0:1], 3
	s_waitcnt lgkmcnt(0)
	s_xor_b32 s6, s4, 0x80000000
	s_xor_b32 s5, s5, 0x80000000
	s_delay_alu instid0(SALU_CYCLE_1)
	v_dual_mov_b32 v2, 0 :: v_dual_mov_b32 v1, s5
	v_mov_b32_e32 v0, s6
	s_add_u32 s0, s10, s0
	s_addc_u32 s1, s12, s1
	global_store_b64 v2, v[0:1], s[2:3]
	v_sub_f32_e64 v0, 1.0, s4
	global_store_b64 v2, v[0:1], s[0:1]
	s_nop 0
	s_sendmsg sendmsg(MSG_DEALLOC_VGPRS)
	s_endpgm
	.section	.rodata,"a",@progbits
	.p2align	6, 0x0
	.amdhsa_kernel _ZN9rocsolver6v33100L12subtract_tauI19rocblas_complex_numIfEPS3_EEviiT0_iilPT_l
		.amdhsa_group_segment_fixed_size 0
		.amdhsa_private_segment_fixed_size 0
		.amdhsa_kernarg_size 48
		.amdhsa_user_sgpr_count 15
		.amdhsa_user_sgpr_dispatch_ptr 0
		.amdhsa_user_sgpr_queue_ptr 0
		.amdhsa_user_sgpr_kernarg_segment_ptr 1
		.amdhsa_user_sgpr_dispatch_id 0
		.amdhsa_user_sgpr_private_segment_size 0
		.amdhsa_wavefront_size32 1
		.amdhsa_uses_dynamic_stack 0
		.amdhsa_enable_private_segment 0
		.amdhsa_system_sgpr_workgroup_id_x 1
		.amdhsa_system_sgpr_workgroup_id_y 0
		.amdhsa_system_sgpr_workgroup_id_z 0
		.amdhsa_system_sgpr_workgroup_info 0
		.amdhsa_system_vgpr_workitem_id 0
		.amdhsa_next_free_vgpr 3
		.amdhsa_next_free_sgpr 16
		.amdhsa_reserve_vcc 0
		.amdhsa_float_round_mode_32 0
		.amdhsa_float_round_mode_16_64 0
		.amdhsa_float_denorm_mode_32 3
		.amdhsa_float_denorm_mode_16_64 3
		.amdhsa_dx10_clamp 1
		.amdhsa_ieee_mode 1
		.amdhsa_fp16_overflow 0
		.amdhsa_workgroup_processor_mode 1
		.amdhsa_memory_ordered 1
		.amdhsa_forward_progress 0
		.amdhsa_shared_vgpr_count 0
		.amdhsa_exception_fp_ieee_invalid_op 0
		.amdhsa_exception_fp_denorm_src 0
		.amdhsa_exception_fp_ieee_div_zero 0
		.amdhsa_exception_fp_ieee_overflow 0
		.amdhsa_exception_fp_ieee_underflow 0
		.amdhsa_exception_fp_ieee_inexact 0
		.amdhsa_exception_int_div_zero 0
	.end_amdhsa_kernel
	.section	.text._ZN9rocsolver6v33100L12subtract_tauI19rocblas_complex_numIfEPS3_EEviiT0_iilPT_l,"axG",@progbits,_ZN9rocsolver6v33100L12subtract_tauI19rocblas_complex_numIfEPS3_EEviiT0_iilPT_l,comdat
.Lfunc_end90:
	.size	_ZN9rocsolver6v33100L12subtract_tauI19rocblas_complex_numIfEPS3_EEviiT0_iilPT_l, .Lfunc_end90-_ZN9rocsolver6v33100L12subtract_tauI19rocblas_complex_numIfEPS3_EEviiT0_iilPT_l
                                        ; -- End function
	.section	.AMDGPU.csdata,"",@progbits
; Kernel info:
; codeLenInByte = 224
; NumSgprs: 16
; NumVgprs: 3
; ScratchSize: 0
; MemoryBound: 0
; FloatMode: 240
; IeeeMode: 1
; LDSByteSize: 0 bytes/workgroup (compile time only)
; SGPRBlocks: 1
; VGPRBlocks: 0
; NumSGPRsForWavesPerEU: 16
; NumVGPRsForWavesPerEU: 3
; Occupancy: 16
; WaveLimiterHint : 0
; COMPUTE_PGM_RSRC2:SCRATCH_EN: 0
; COMPUTE_PGM_RSRC2:USER_SGPR: 15
; COMPUTE_PGM_RSRC2:TRAP_HANDLER: 0
; COMPUTE_PGM_RSRC2:TGID_X_EN: 1
; COMPUTE_PGM_RSRC2:TGID_Y_EN: 0
; COMPUTE_PGM_RSRC2:TGID_Z_EN: 0
; COMPUTE_PGM_RSRC2:TIDIG_COMP_CNT: 0
	.section	.text._ZN9rocsolver6v33100L6restauI19rocblas_complex_numIfEEEviPT_l,"axG",@progbits,_ZN9rocsolver6v33100L6restauI19rocblas_complex_numIfEEEviPT_l,comdat
	.globl	_ZN9rocsolver6v33100L6restauI19rocblas_complex_numIfEEEviPT_l ; -- Begin function _ZN9rocsolver6v33100L6restauI19rocblas_complex_numIfEEEviPT_l
	.p2align	8
	.type	_ZN9rocsolver6v33100L6restauI19rocblas_complex_numIfEEEviPT_l,@function
_ZN9rocsolver6v33100L6restauI19rocblas_complex_numIfEEEviPT_l: ; @_ZN9rocsolver6v33100L6restauI19rocblas_complex_numIfEEEviPT_l
; %bb.0:
	s_clause 0x1
	s_load_b32 s2, s[0:1], 0x24
	s_load_b32 s3, s[0:1], 0x0
	s_waitcnt lgkmcnt(0)
	s_and_b32 s2, s2, 0xffff
	s_delay_alu instid0(SALU_CYCLE_1) | instskip(SKIP_1) | instid1(VALU_DEP_1)
	v_mad_u64_u32 v[1:2], null, s14, s2, v[0:1]
	s_mov_b32 s2, exec_lo
	v_cmpx_gt_u32_e64 s3, v1
	s_cbranch_execz .LBB91_2
; %bb.1:
	s_load_b128 s[0:3], s[0:1], 0x8
	v_mov_b32_e32 v2, 0
	s_delay_alu instid0(VALU_DEP_1)
	v_lshlrev_b64 v[0:1], 3, v[1:2]
	s_waitcnt lgkmcnt(0)
	s_mul_i32 s3, s15, s3
	s_mul_hi_u32 s4, s15, s2
	s_mul_i32 s2, s15, s2
	s_add_i32 s3, s4, s3
	s_delay_alu instid0(SALU_CYCLE_1) | instskip(NEXT) | instid1(SALU_CYCLE_1)
	s_lshl_b64 s[2:3], s[2:3], 3
	s_add_u32 s0, s0, s2
	s_addc_u32 s1, s1, s3
	v_add_co_u32 v0, vcc_lo, s0, v0
	v_add_co_ci_u32_e32 v1, vcc_lo, s1, v1, vcc_lo
	global_load_b64 v[2:3], v[0:1], off
	s_waitcnt vmcnt(0)
	v_xor_b32_e32 v2, 0x80000000, v2
	v_xor_b32_e32 v3, 0x80000000, v3
	global_store_b64 v[0:1], v[2:3], off
.LBB91_2:
	s_nop 0
	s_sendmsg sendmsg(MSG_DEALLOC_VGPRS)
	s_endpgm
	.section	.rodata,"a",@progbits
	.p2align	6, 0x0
	.amdhsa_kernel _ZN9rocsolver6v33100L6restauI19rocblas_complex_numIfEEEviPT_l
		.amdhsa_group_segment_fixed_size 0
		.amdhsa_private_segment_fixed_size 0
		.amdhsa_kernarg_size 280
		.amdhsa_user_sgpr_count 14
		.amdhsa_user_sgpr_dispatch_ptr 0
		.amdhsa_user_sgpr_queue_ptr 0
		.amdhsa_user_sgpr_kernarg_segment_ptr 1
		.amdhsa_user_sgpr_dispatch_id 0
		.amdhsa_user_sgpr_private_segment_size 0
		.amdhsa_wavefront_size32 1
		.amdhsa_uses_dynamic_stack 0
		.amdhsa_enable_private_segment 0
		.amdhsa_system_sgpr_workgroup_id_x 1
		.amdhsa_system_sgpr_workgroup_id_y 1
		.amdhsa_system_sgpr_workgroup_id_z 0
		.amdhsa_system_sgpr_workgroup_info 0
		.amdhsa_system_vgpr_workitem_id 0
		.amdhsa_next_free_vgpr 4
		.amdhsa_next_free_sgpr 16
		.amdhsa_reserve_vcc 1
		.amdhsa_float_round_mode_32 0
		.amdhsa_float_round_mode_16_64 0
		.amdhsa_float_denorm_mode_32 3
		.amdhsa_float_denorm_mode_16_64 3
		.amdhsa_dx10_clamp 1
		.amdhsa_ieee_mode 1
		.amdhsa_fp16_overflow 0
		.amdhsa_workgroup_processor_mode 1
		.amdhsa_memory_ordered 1
		.amdhsa_forward_progress 0
		.amdhsa_shared_vgpr_count 0
		.amdhsa_exception_fp_ieee_invalid_op 0
		.amdhsa_exception_fp_denorm_src 0
		.amdhsa_exception_fp_ieee_div_zero 0
		.amdhsa_exception_fp_ieee_overflow 0
		.amdhsa_exception_fp_ieee_underflow 0
		.amdhsa_exception_fp_ieee_inexact 0
		.amdhsa_exception_int_div_zero 0
	.end_amdhsa_kernel
	.section	.text._ZN9rocsolver6v33100L6restauI19rocblas_complex_numIfEEEviPT_l,"axG",@progbits,_ZN9rocsolver6v33100L6restauI19rocblas_complex_numIfEEEviPT_l,comdat
.Lfunc_end91:
	.size	_ZN9rocsolver6v33100L6restauI19rocblas_complex_numIfEEEviPT_l, .Lfunc_end91-_ZN9rocsolver6v33100L6restauI19rocblas_complex_numIfEEEviPT_l
                                        ; -- End function
	.section	.AMDGPU.csdata,"",@progbits
; Kernel info:
; codeLenInByte = 180
; NumSgprs: 18
; NumVgprs: 4
; ScratchSize: 0
; MemoryBound: 0
; FloatMode: 240
; IeeeMode: 1
; LDSByteSize: 0 bytes/workgroup (compile time only)
; SGPRBlocks: 2
; VGPRBlocks: 0
; NumSGPRsForWavesPerEU: 18
; NumVGPRsForWavesPerEU: 4
; Occupancy: 16
; WaveLimiterHint : 0
; COMPUTE_PGM_RSRC2:SCRATCH_EN: 0
; COMPUTE_PGM_RSRC2:USER_SGPR: 14
; COMPUTE_PGM_RSRC2:TRAP_HANDLER: 0
; COMPUTE_PGM_RSRC2:TGID_X_EN: 1
; COMPUTE_PGM_RSRC2:TGID_Y_EN: 1
; COMPUTE_PGM_RSRC2:TGID_Z_EN: 0
; COMPUTE_PGM_RSRC2:TIDIG_COMP_CNT: 0
	.section	.text._ZN9rocsolver6v33100L15copyshift_rightI19rocblas_complex_numIfEPS3_EEvbiT0_iilPT_iil,"axG",@progbits,_ZN9rocsolver6v33100L15copyshift_rightI19rocblas_complex_numIfEPS3_EEvbiT0_iilPT_iil,comdat
	.globl	_ZN9rocsolver6v33100L15copyshift_rightI19rocblas_complex_numIfEPS3_EEvbiT0_iilPT_iil ; -- Begin function _ZN9rocsolver6v33100L15copyshift_rightI19rocblas_complex_numIfEPS3_EEvbiT0_iilPT_iil
	.p2align	8
	.type	_ZN9rocsolver6v33100L15copyshift_rightI19rocblas_complex_numIfEPS3_EEvbiT0_iilPT_iil,@function
_ZN9rocsolver6v33100L15copyshift_rightI19rocblas_complex_numIfEPS3_EEvbiT0_iilPT_iil: ; @_ZN9rocsolver6v33100L15copyshift_rightI19rocblas_complex_numIfEPS3_EEvbiT0_iilPT_iil
; %bb.0:
	s_clause 0x3
	s_load_b128 s[8:11], s[0:1], 0x0
	s_load_b32 s2, s[0:1], 0x44
	s_load_b128 s[4:7], s[0:1], 0x18
	s_load_b64 s[16:17], s[0:1], 0x10
	v_bfe_u32 v2, v0, 10, 10
	v_and_b32_e32 v3, 0x3ff, v0
	s_waitcnt lgkmcnt(0)
	s_bitcmp1_b32 s8, 0
	s_cselect_b32 s3, -1, 0
	s_lshr_b32 s8, s2, 16
	s_and_b32 s2, s2, 0xffff
	v_mad_u64_u32 v[0:1], null, s14, s8, v[2:3]
	v_mad_u64_u32 v[1:2], null, s13, s2, v[3:4]
	s_mul_i32 s2, s15, s5
	s_mul_hi_u32 s5, s15, s4
	s_mul_i32 s4, s15, s4
	s_add_i32 s5, s5, s2
	s_xor_b32 s8, s3, -1
	s_lshl_b64 s[4:5], s[4:5], 3
	s_delay_alu instid0(VALU_DEP_1)
	v_or_b32_e32 v2, v1, v0
	s_ashr_i32 s3, s16, 31
	s_mov_b32 s2, s16
	s_add_u32 s4, s10, s4
	s_addc_u32 s5, s11, s5
	v_cmp_eq_u32_e32 vcc_lo, 0, v2
	s_lshl_b64 s[2:3], s[2:3], 3
	s_delay_alu instid0(SALU_CYCLE_1) | instskip(SKIP_2) | instid1(SALU_CYCLE_1)
	s_add_u32 s4, s4, s2
	s_addc_u32 s5, s5, s3
	s_and_b32 s3, vcc_lo, s8
	s_and_saveexec_b32 s2, s3
	s_cbranch_execz .LBB92_2
; %bb.1:
	v_dual_mov_b32 v2, 1.0 :: v_dual_mov_b32 v3, 0
	global_store_b64 v3, v[2:3], s[4:5]
.LBB92_2:
	s_or_b32 exec_lo, exec_lo, s2
	v_max_u32_e32 v2, v0, v1
	v_cmp_le_u32_e64 s2, v0, v1
	s_delay_alu instid0(VALU_DEP_2) | instskip(NEXT) | instid1(VALU_DEP_2)
	v_cmp_gt_u32_e32 vcc_lo, s9, v2
	s_and_b32 s2, s2, vcc_lo
	s_delay_alu instid0(SALU_CYCLE_1)
	s_and_saveexec_b32 s3, s2
	s_cbranch_execz .LBB92_11
; %bb.3:
	s_load_b128 s[0:3], s[0:1], 0x28
	v_mad_u64_u32 v[2:3], null, v0, v0, v[0:1]
	s_delay_alu instid0(VALU_DEP_1)
	v_lshrrev_b32_e32 v5, 1, v2
	s_waitcnt lgkmcnt(0)
	s_mul_i32 s3, s15, s3
	s_mul_hi_u32 s9, s15, s2
	s_mul_i32 s2, s15, s2
	s_add_i32 s3, s9, s3
	s_ashr_i32 s11, s0, 31
	s_lshl_b64 s[2:3], s[2:3], 3
	s_mov_b32 s10, s0
	s_add_u32 s0, s6, s2
	s_addc_u32 s6, s7, s3
	s_lshl_b64 s[2:3], s[10:11], 3
	s_delay_alu instid0(SALU_CYCLE_1)
	s_add_u32 s0, s0, s2
	s_addc_u32 s2, s6, s3
	s_and_b32 vcc_lo, exec_lo, s8
	s_mov_b32 s3, -1
	s_cbranch_vccz .LBB92_7
; %bb.4:
	v_mad_u64_u32 v[2:3], null, v0, s1, v[1:2]
	v_mov_b32_e32 v3, 0
	v_mul_lo_u32 v4, v0, s17
	s_mov_b32 s3, 0
	s_mov_b32 s6, exec_lo
	s_delay_alu instid0(VALU_DEP_3) | instskip(NEXT) | instid1(VALU_DEP_1)
	v_sub_nc_u32_e32 v2, v2, v5
	v_lshlrev_b64 v[6:7], 3, v[2:3]
	s_delay_alu instid0(VALU_DEP_3) | instskip(NEXT) | instid1(VALU_DEP_1)
	v_add3_u32 v2, v1, v4, 1
	v_lshlrev_b64 v[8:9], 3, v[2:3]
	s_delay_alu instid0(VALU_DEP_3) | instskip(NEXT) | instid1(VALU_DEP_4)
	v_add_co_u32 v6, vcc_lo, s0, v6
	v_add_co_ci_u32_e32 v7, vcc_lo, s2, v7, vcc_lo
	s_delay_alu instid0(VALU_DEP_3)
	v_add_co_u32 v8, vcc_lo, s4, v8
	global_load_b64 v[6:7], v[6:7], off
	v_add_co_ci_u32_e32 v9, vcc_lo, s5, v9, vcc_lo
	s_waitcnt vmcnt(0)
	global_store_b64 v[8:9], v[6:7], off
	v_cmpx_eq_u32_e64 v1, v0
	s_cbranch_execz .LBB92_6
; %bb.5:
	v_add_nc_u32_e32 v2, s17, v4
	s_delay_alu instid0(VALU_DEP_1) | instskip(SKIP_1) | instid1(VALU_DEP_2)
	v_lshlrev_b64 v[6:7], 3, v[2:3]
	v_mov_b32_e32 v2, v3
	v_add_co_u32 v6, vcc_lo, s4, v6
	s_delay_alu instid0(VALU_DEP_3)
	v_add_co_ci_u32_e32 v7, vcc_lo, s5, v7, vcc_lo
	global_store_b64 v[6:7], v[2:3], off
.LBB92_6:
	s_or_b32 exec_lo, exec_lo, s6
.LBB92_7:
	s_delay_alu instid0(SALU_CYCLE_1)
	s_and_not1_b32 vcc_lo, exec_lo, s3
	s_cbranch_vccnz .LBB92_11
; %bb.8:
	v_dual_mov_b32 v2, 0 :: v_dual_mov_b32 v3, 0
	v_mov_b32_e32 v4, 0
	s_mov_b32 s3, exec_lo
	v_cmpx_ne_u32_e32 0, v0
	s_cbranch_execz .LBB92_10
; %bb.9:
	v_dual_mov_b32 v4, 0 :: v_dual_add_nc_u32 v3, -1, v0
	s_delay_alu instid0(VALU_DEP_1) | instskip(NEXT) | instid1(VALU_DEP_1)
	v_mul_lo_u32 v3, v3, s17
	v_add3_u32 v3, v1, v3, 1
	s_delay_alu instid0(VALU_DEP_1) | instskip(NEXT) | instid1(VALU_DEP_1)
	v_lshlrev_b64 v[3:4], 3, v[3:4]
	v_add_co_u32 v3, vcc_lo, s4, v3
	s_delay_alu instid0(VALU_DEP_2)
	v_add_co_ci_u32_e32 v4, vcc_lo, s5, v4, vcc_lo
	global_load_b64 v[3:4], v[3:4], off
.LBB92_10:
	s_or_b32 exec_lo, exec_lo, s3
	v_mad_u64_u32 v[6:7], null, v0, s1, v[1:2]
	s_delay_alu instid0(VALU_DEP_1) | instskip(NEXT) | instid1(VALU_DEP_1)
	v_sub_nc_u32_e32 v1, v6, v5
	v_lshlrev_b64 v[0:1], 3, v[1:2]
	s_delay_alu instid0(VALU_DEP_1) | instskip(NEXT) | instid1(VALU_DEP_2)
	v_add_co_u32 v0, vcc_lo, s0, v0
	v_add_co_ci_u32_e32 v1, vcc_lo, s2, v1, vcc_lo
	s_waitcnt vmcnt(0)
	global_store_b64 v[0:1], v[3:4], off
.LBB92_11:
	s_nop 0
	s_sendmsg sendmsg(MSG_DEALLOC_VGPRS)
	s_endpgm
	.section	.rodata,"a",@progbits
	.p2align	6, 0x0
	.amdhsa_kernel _ZN9rocsolver6v33100L15copyshift_rightI19rocblas_complex_numIfEPS3_EEvbiT0_iilPT_iil
		.amdhsa_group_segment_fixed_size 0
		.amdhsa_private_segment_fixed_size 0
		.amdhsa_kernarg_size 312
		.amdhsa_user_sgpr_count 13
		.amdhsa_user_sgpr_dispatch_ptr 0
		.amdhsa_user_sgpr_queue_ptr 0
		.amdhsa_user_sgpr_kernarg_segment_ptr 1
		.amdhsa_user_sgpr_dispatch_id 0
		.amdhsa_user_sgpr_private_segment_size 0
		.amdhsa_wavefront_size32 1
		.amdhsa_uses_dynamic_stack 0
		.amdhsa_enable_private_segment 0
		.amdhsa_system_sgpr_workgroup_id_x 1
		.amdhsa_system_sgpr_workgroup_id_y 1
		.amdhsa_system_sgpr_workgroup_id_z 1
		.amdhsa_system_sgpr_workgroup_info 0
		.amdhsa_system_vgpr_workitem_id 1
		.amdhsa_next_free_vgpr 10
		.amdhsa_next_free_sgpr 18
		.amdhsa_reserve_vcc 1
		.amdhsa_float_round_mode_32 0
		.amdhsa_float_round_mode_16_64 0
		.amdhsa_float_denorm_mode_32 3
		.amdhsa_float_denorm_mode_16_64 3
		.amdhsa_dx10_clamp 1
		.amdhsa_ieee_mode 1
		.amdhsa_fp16_overflow 0
		.amdhsa_workgroup_processor_mode 1
		.amdhsa_memory_ordered 1
		.amdhsa_forward_progress 0
		.amdhsa_shared_vgpr_count 0
		.amdhsa_exception_fp_ieee_invalid_op 0
		.amdhsa_exception_fp_denorm_src 0
		.amdhsa_exception_fp_ieee_div_zero 0
		.amdhsa_exception_fp_ieee_overflow 0
		.amdhsa_exception_fp_ieee_underflow 0
		.amdhsa_exception_fp_ieee_inexact 0
		.amdhsa_exception_int_div_zero 0
	.end_amdhsa_kernel
	.section	.text._ZN9rocsolver6v33100L15copyshift_rightI19rocblas_complex_numIfEPS3_EEvbiT0_iilPT_iil,"axG",@progbits,_ZN9rocsolver6v33100L15copyshift_rightI19rocblas_complex_numIfEPS3_EEvbiT0_iilPT_iil,comdat
.Lfunc_end92:
	.size	_ZN9rocsolver6v33100L15copyshift_rightI19rocblas_complex_numIfEPS3_EEvbiT0_iilPT_iil, .Lfunc_end92-_ZN9rocsolver6v33100L15copyshift_rightI19rocblas_complex_numIfEPS3_EEvbiT0_iilPT_iil
                                        ; -- End function
	.section	.AMDGPU.csdata,"",@progbits
; Kernel info:
; codeLenInByte = 664
; NumSgprs: 20
; NumVgprs: 10
; ScratchSize: 0
; MemoryBound: 0
; FloatMode: 240
; IeeeMode: 1
; LDSByteSize: 0 bytes/workgroup (compile time only)
; SGPRBlocks: 2
; VGPRBlocks: 1
; NumSGPRsForWavesPerEU: 20
; NumVGPRsForWavesPerEU: 10
; Occupancy: 16
; WaveLimiterHint : 0
; COMPUTE_PGM_RSRC2:SCRATCH_EN: 0
; COMPUTE_PGM_RSRC2:USER_SGPR: 13
; COMPUTE_PGM_RSRC2:TRAP_HANDLER: 0
; COMPUTE_PGM_RSRC2:TGID_X_EN: 1
; COMPUTE_PGM_RSRC2:TGID_Y_EN: 1
; COMPUTE_PGM_RSRC2:TGID_Z_EN: 1
; COMPUTE_PGM_RSRC2:TIDIG_COMP_CNT: 1
	.section	.text._ZN9rocsolver6v33100L16orgl2_init_identI19rocblas_complex_numIfEPS3_EEviiiT0_iil,"axG",@progbits,_ZN9rocsolver6v33100L16orgl2_init_identI19rocblas_complex_numIfEPS3_EEviiiT0_iil,comdat
	.globl	_ZN9rocsolver6v33100L16orgl2_init_identI19rocblas_complex_numIfEPS3_EEviiiT0_iil ; -- Begin function _ZN9rocsolver6v33100L16orgl2_init_identI19rocblas_complex_numIfEPS3_EEviiiT0_iil
	.p2align	8
	.type	_ZN9rocsolver6v33100L16orgl2_init_identI19rocblas_complex_numIfEPS3_EEviiiT0_iil,@function
_ZN9rocsolver6v33100L16orgl2_init_identI19rocblas_complex_numIfEPS3_EEviiiT0_iil: ; @_ZN9rocsolver6v33100L16orgl2_init_identI19rocblas_complex_numIfEPS3_EEviiiT0_iil
; %bb.0:
	s_clause 0x1
	s_load_b32 s2, s[0:1], 0x34
	s_load_b128 s[4:7], s[0:1], 0x0
	v_and_b32_e32 v1, 0x3ff, v0
	v_bfe_u32 v0, v0, 10, 10
	s_waitcnt lgkmcnt(0)
	s_lshr_b32 s3, s2, 16
	s_and_b32 s2, s2, 0xffff
	s_delay_alu instid0(SALU_CYCLE_1) | instskip(SKIP_1) | instid1(VALU_DEP_2)
	v_mad_u64_u32 v[4:5], null, s13, s2, v[1:2]
	v_mad_u64_u32 v[2:3], null, s14, s3, v[0:1]
	v_cmp_gt_u32_e32 vcc_lo, s4, v4
	s_delay_alu instid0(VALU_DEP_2) | instskip(NEXT) | instid1(VALU_DEP_1)
	v_cmp_gt_u32_e64 s2, s5, v2
	s_and_b32 s2, vcc_lo, s2
	s_delay_alu instid0(SALU_CYCLE_1)
	s_and_saveexec_b32 s3, s2
	s_cbranch_execz .LBB93_5
; %bb.1:
	s_clause 0x1
	s_load_b64 s[4:5], s[0:1], 0x20
	s_load_b128 s[0:3], s[0:1], 0x10
                                        ; implicit-def: $vgpr0_vgpr1
	s_waitcnt lgkmcnt(0)
	s_mul_i32 s5, s15, s5
	s_mul_hi_u32 s7, s15, s4
	s_mul_i32 s4, s15, s4
	s_add_i32 s5, s7, s5
	s_ashr_i32 s9, s2, 31
	s_lshl_b64 s[4:5], s[4:5], 3
	s_mov_b32 s8, s2
	s_add_u32 s2, s0, s4
	s_addc_u32 s4, s1, s5
	s_lshl_b64 s[0:1], s[8:9], 3
	s_delay_alu instid0(SALU_CYCLE_1)
	s_add_u32 s0, s2, s0
	s_addc_u32 s1, s4, s1
	s_mov_b32 s4, 0
	s_mov_b32 s2, exec_lo
	v_cmpx_ne_u32_e64 v4, v2
	s_xor_b32 s2, exec_lo, s2
	s_cbranch_execnz .LBB93_6
; %bb.2:
	s_and_not1_saveexec_b32 s2, s2
	s_cbranch_execnz .LBB93_13
.LBB93_3:
	s_or_b32 exec_lo, exec_lo, s2
	s_delay_alu instid0(SALU_CYCLE_1)
	s_and_b32 exec_lo, exec_lo, s4
	s_cbranch_execz .LBB93_5
.LBB93_4:
	v_mov_b32_e32 v2, 0
	global_store_b32 v[0:1], v2, off
.LBB93_5:
	s_nop 0
	s_sendmsg sendmsg(MSG_DEALLOC_VGPRS)
	s_endpgm
.LBB93_6:
	s_mov_b32 s5, exec_lo
                                        ; implicit-def: $vgpr0_vgpr1
	v_cmpx_ge_u32_e64 v2, v4
	s_xor_b32 s5, exec_lo, s5
	s_cbranch_execz .LBB93_10
; %bb.7:
	v_cmp_le_u32_e32 vcc_lo, s6, v4
                                        ; implicit-def: $vgpr0_vgpr1
	s_and_saveexec_b32 s6, vcc_lo
	s_delay_alu instid0(SALU_CYCLE_1)
	s_xor_b32 s6, exec_lo, s6
	s_cbranch_execz .LBB93_9
; %bb.8:
	v_mad_u64_u32 v[5:6], null, v2, s3, v[4:5]
	v_mov_b32_e32 v6, 0
	s_mov_b32 s4, exec_lo
	s_delay_alu instid0(VALU_DEP_1) | instskip(NEXT) | instid1(VALU_DEP_1)
	v_lshlrev_b64 v[0:1], 3, v[5:6]
	v_add_co_u32 v2, vcc_lo, s0, v0
	s_delay_alu instid0(VALU_DEP_2) | instskip(NEXT) | instid1(VALU_DEP_2)
	v_add_co_ci_u32_e32 v3, vcc_lo, s1, v1, vcc_lo
	v_add_co_u32 v0, vcc_lo, v2, 4
	s_delay_alu instid0(VALU_DEP_2)
	v_add_co_ci_u32_e32 v1, vcc_lo, 0, v3, vcc_lo
	global_store_b32 v[2:3], v6, off
.LBB93_9:
	s_or_b32 exec_lo, exec_lo, s6
	s_delay_alu instid0(SALU_CYCLE_1)
	s_and_b32 s4, s4, exec_lo
                                        ; implicit-def: $vgpr4_vgpr5
                                        ; implicit-def: $vgpr2_vgpr3
.LBB93_10:
	s_and_not1_saveexec_b32 s5, s5
	s_cbranch_execz .LBB93_12
; %bb.11:
	v_mad_u64_u32 v[5:6], null, v2, s3, v[4:5]
	v_mov_b32_e32 v6, 0
	s_or_b32 s4, s4, exec_lo
	s_delay_alu instid0(VALU_DEP_1) | instskip(NEXT) | instid1(VALU_DEP_1)
	v_lshlrev_b64 v[0:1], 3, v[5:6]
	v_add_co_u32 v2, vcc_lo, s0, v0
	s_delay_alu instid0(VALU_DEP_2) | instskip(NEXT) | instid1(VALU_DEP_2)
	v_add_co_ci_u32_e32 v3, vcc_lo, s1, v1, vcc_lo
	v_add_co_u32 v0, vcc_lo, v2, 4
	s_delay_alu instid0(VALU_DEP_2)
	v_add_co_ci_u32_e32 v1, vcc_lo, 0, v3, vcc_lo
	global_store_b32 v[2:3], v6, off
.LBB93_12:
	s_or_b32 exec_lo, exec_lo, s5
	s_delay_alu instid0(SALU_CYCLE_1)
	s_and_b32 s4, s4, exec_lo
                                        ; implicit-def: $vgpr2_vgpr3
	s_and_not1_saveexec_b32 s2, s2
	s_cbranch_execz .LBB93_3
.LBB93_13:
	v_mad_u64_u32 v[0:1], null, v2, s3, v[2:3]
	v_dual_mov_b32 v1, 0 :: v_dual_mov_b32 v4, 1.0
	s_or_b32 s4, s4, exec_lo
	s_delay_alu instid0(VALU_DEP_1) | instskip(NEXT) | instid1(VALU_DEP_1)
	v_lshlrev_b64 v[0:1], 3, v[0:1]
	v_add_co_u32 v2, vcc_lo, s0, v0
	s_delay_alu instid0(VALU_DEP_2) | instskip(NEXT) | instid1(VALU_DEP_2)
	v_add_co_ci_u32_e32 v3, vcc_lo, s1, v1, vcc_lo
	v_add_co_u32 v0, vcc_lo, v2, 4
	s_delay_alu instid0(VALU_DEP_2) | instskip(SKIP_2) | instid1(SALU_CYCLE_1)
	v_add_co_ci_u32_e32 v1, vcc_lo, 0, v3, vcc_lo
	global_store_b32 v[2:3], v4, off
	s_or_b32 exec_lo, exec_lo, s2
	s_and_b32 exec_lo, exec_lo, s4
	s_cbranch_execnz .LBB93_4
	s_branch .LBB93_5
	.section	.rodata,"a",@progbits
	.p2align	6, 0x0
	.amdhsa_kernel _ZN9rocsolver6v33100L16orgl2_init_identI19rocblas_complex_numIfEPS3_EEviiiT0_iil
		.amdhsa_group_segment_fixed_size 0
		.amdhsa_private_segment_fixed_size 0
		.amdhsa_kernarg_size 296
		.amdhsa_user_sgpr_count 13
		.amdhsa_user_sgpr_dispatch_ptr 0
		.amdhsa_user_sgpr_queue_ptr 0
		.amdhsa_user_sgpr_kernarg_segment_ptr 1
		.amdhsa_user_sgpr_dispatch_id 0
		.amdhsa_user_sgpr_private_segment_size 0
		.amdhsa_wavefront_size32 1
		.amdhsa_uses_dynamic_stack 0
		.amdhsa_enable_private_segment 0
		.amdhsa_system_sgpr_workgroup_id_x 1
		.amdhsa_system_sgpr_workgroup_id_y 1
		.amdhsa_system_sgpr_workgroup_id_z 1
		.amdhsa_system_sgpr_workgroup_info 0
		.amdhsa_system_vgpr_workitem_id 1
		.amdhsa_next_free_vgpr 7
		.amdhsa_next_free_sgpr 16
		.amdhsa_reserve_vcc 1
		.amdhsa_float_round_mode_32 0
		.amdhsa_float_round_mode_16_64 0
		.amdhsa_float_denorm_mode_32 3
		.amdhsa_float_denorm_mode_16_64 3
		.amdhsa_dx10_clamp 1
		.amdhsa_ieee_mode 1
		.amdhsa_fp16_overflow 0
		.amdhsa_workgroup_processor_mode 1
		.amdhsa_memory_ordered 1
		.amdhsa_forward_progress 0
		.amdhsa_shared_vgpr_count 0
		.amdhsa_exception_fp_ieee_invalid_op 0
		.amdhsa_exception_fp_denorm_src 0
		.amdhsa_exception_fp_ieee_div_zero 0
		.amdhsa_exception_fp_ieee_overflow 0
		.amdhsa_exception_fp_ieee_underflow 0
		.amdhsa_exception_fp_ieee_inexact 0
		.amdhsa_exception_int_div_zero 0
	.end_amdhsa_kernel
	.section	.text._ZN9rocsolver6v33100L16orgl2_init_identI19rocblas_complex_numIfEPS3_EEviiiT0_iil,"axG",@progbits,_ZN9rocsolver6v33100L16orgl2_init_identI19rocblas_complex_numIfEPS3_EEviiiT0_iil,comdat
.Lfunc_end93:
	.size	_ZN9rocsolver6v33100L16orgl2_init_identI19rocblas_complex_numIfEPS3_EEviiiT0_iil, .Lfunc_end93-_ZN9rocsolver6v33100L16orgl2_init_identI19rocblas_complex_numIfEPS3_EEviiiT0_iil
                                        ; -- End function
	.section	.AMDGPU.csdata,"",@progbits
; Kernel info:
; codeLenInByte = 556
; NumSgprs: 18
; NumVgprs: 7
; ScratchSize: 0
; MemoryBound: 0
; FloatMode: 240
; IeeeMode: 1
; LDSByteSize: 0 bytes/workgroup (compile time only)
; SGPRBlocks: 2
; VGPRBlocks: 0
; NumSGPRsForWavesPerEU: 18
; NumVGPRsForWavesPerEU: 7
; Occupancy: 16
; WaveLimiterHint : 0
; COMPUTE_PGM_RSRC2:SCRATCH_EN: 0
; COMPUTE_PGM_RSRC2:USER_SGPR: 13
; COMPUTE_PGM_RSRC2:TRAP_HANDLER: 0
; COMPUTE_PGM_RSRC2:TGID_X_EN: 1
; COMPUTE_PGM_RSRC2:TGID_Y_EN: 1
; COMPUTE_PGM_RSRC2:TGID_Z_EN: 1
; COMPUTE_PGM_RSRC2:TIDIG_COMP_CNT: 1
	.section	.text._ZN9rocsolver6v33100L14copyshift_downI19rocblas_complex_numIfEPS3_EEvbiT0_iilPT_iil,"axG",@progbits,_ZN9rocsolver6v33100L14copyshift_downI19rocblas_complex_numIfEPS3_EEvbiT0_iilPT_iil,comdat
	.globl	_ZN9rocsolver6v33100L14copyshift_downI19rocblas_complex_numIfEPS3_EEvbiT0_iilPT_iil ; -- Begin function _ZN9rocsolver6v33100L14copyshift_downI19rocblas_complex_numIfEPS3_EEvbiT0_iilPT_iil
	.p2align	8
	.type	_ZN9rocsolver6v33100L14copyshift_downI19rocblas_complex_numIfEPS3_EEvbiT0_iilPT_iil,@function
_ZN9rocsolver6v33100L14copyshift_downI19rocblas_complex_numIfEPS3_EEvbiT0_iilPT_iil: ; @_ZN9rocsolver6v33100L14copyshift_downI19rocblas_complex_numIfEPS3_EEvbiT0_iilPT_iil
; %bb.0:
	s_clause 0x3
	s_load_b128 s[8:11], s[0:1], 0x0
	s_load_b32 s12, s[0:1], 0x44
	s_load_b128 s[4:7], s[0:1], 0x18
	s_load_b64 s[2:3], s[0:1], 0x10
	v_bfe_u32 v1, v0, 10, 10
	v_and_b32_e32 v4, 0x3ff, v0
	s_waitcnt lgkmcnt(0)
	s_bitcmp1_b32 s8, 0
	s_cselect_b32 s8, -1, 0
	s_lshr_b32 s16, s12, 16
	s_and_b32 s12, s12, 0xffff
	v_mad_u64_u32 v[2:3], null, s14, s16, v[1:2]
	v_mad_u64_u32 v[0:1], null, s13, s12, v[4:5]
	s_mul_i32 s12, s15, s5
	s_mul_hi_u32 s13, s15, s4
	s_xor_b32 s8, s8, -1
	s_add_i32 s13, s13, s12
	s_mul_i32 s12, s15, s4
	s_ashr_i32 s5, s2, 31
	s_delay_alu instid0(VALU_DEP_1)
	v_or_b32_e32 v1, v0, v2
	s_lshl_b64 s[12:13], s[12:13], 3
	s_mov_b32 s4, s2
	s_add_u32 s2, s10, s12
	s_addc_u32 s10, s11, s13
	v_cmp_eq_u32_e32 vcc_lo, 0, v1
	s_lshl_b64 s[4:5], s[4:5], 3
	s_delay_alu instid0(SALU_CYCLE_1) | instskip(SKIP_2) | instid1(SALU_CYCLE_1)
	s_add_u32 s4, s2, s4
	s_addc_u32 s5, s10, s5
	s_and_b32 s10, vcc_lo, s8
	s_and_saveexec_b32 s2, s10
	s_cbranch_execz .LBB94_2
; %bb.1:
	v_dual_mov_b32 v3, 1.0 :: v_dual_mov_b32 v4, 0
	global_store_b64 v4, v[3:4], s[4:5]
.LBB94_2:
	s_or_b32 exec_lo, exec_lo, s2
	v_max_u32_e32 v1, v2, v0
	v_cmp_le_u32_e64 s2, v0, v2
	s_delay_alu instid0(VALU_DEP_2) | instskip(NEXT) | instid1(VALU_DEP_2)
	v_cmp_gt_u32_e32 vcc_lo, s9, v1
	s_and_b32 s2, s2, vcc_lo
	s_delay_alu instid0(SALU_CYCLE_1)
	s_and_saveexec_b32 s9, s2
	s_cbranch_execz .LBB94_11
; %bb.3:
	s_clause 0x1
	s_load_b64 s[10:11], s[0:1], 0x30
	s_load_b32 s0, s[0:1], 0x28
	v_add_nc_u32_e32 v6, 1, v2
	s_delay_alu instid0(VALU_DEP_1) | instskip(NEXT) | instid1(VALU_DEP_1)
	v_mul_lo_u32 v1, v6, v2
	v_lshrrev_b32_e32 v1, 1, v1
	s_delay_alu instid0(VALU_DEP_1)
	v_add_nc_u32_e32 v4, v0, v1
	s_waitcnt lgkmcnt(0)
	s_mul_i32 s1, s15, s11
	s_mul_hi_u32 s2, s15, s10
	s_mul_i32 s10, s15, s10
	s_add_i32 s11, s2, s1
	s_ashr_i32 s1, s0, 31
	s_lshl_b64 s[10:11], s[10:11], 3
	s_delay_alu instid0(SALU_CYCLE_1) | instskip(SKIP_2) | instid1(SALU_CYCLE_1)
	s_add_u32 s2, s6, s10
	s_addc_u32 s6, s7, s11
	s_lshl_b64 s[0:1], s[0:1], 3
	s_add_u32 s0, s2, s0
	s_addc_u32 s1, s6, s1
	s_and_b32 vcc_lo, exec_lo, s8
	s_mov_b32 s2, -1
	s_cbranch_vccz .LBB94_7
; %bb.4:
	v_mov_b32_e32 v5, 0
	v_mad_u64_u32 v[9:10], null, v6, s3, v[0:1]
	s_mov_b32 s2, 0
	s_mov_b32 s6, exec_lo
	s_delay_alu instid0(VALU_DEP_2) | instskip(SKIP_1) | instid1(VALU_DEP_1)
	v_lshlrev_b64 v[7:8], 3, v[4:5]
	v_mov_b32_e32 v10, v5
	v_lshlrev_b64 v[9:10], 3, v[9:10]
	s_delay_alu instid0(VALU_DEP_3) | instskip(NEXT) | instid1(VALU_DEP_4)
	v_add_co_u32 v7, vcc_lo, s0, v7
	v_add_co_ci_u32_e32 v8, vcc_lo, s1, v8, vcc_lo
	s_delay_alu instid0(VALU_DEP_3)
	v_add_co_u32 v9, vcc_lo, s4, v9
	global_load_b64 v[7:8], v[7:8], off
	v_add_co_ci_u32_e32 v10, vcc_lo, s5, v10, vcc_lo
	s_waitcnt vmcnt(0)
	global_store_b64 v[9:10], v[7:8], off
	v_cmpx_eq_u32_e64 v0, v2
	s_cbranch_execz .LBB94_6
; %bb.5:
	v_mov_b32_e32 v3, v5
	v_mov_b32_e32 v7, v5
	;; [unrolled: 1-line block ×3, first 2 shown]
	s_delay_alu instid0(VALU_DEP_3) | instskip(NEXT) | instid1(VALU_DEP_1)
	v_lshlrev_b64 v[1:2], 3, v[2:3]
	v_add_co_u32 v1, vcc_lo, s4, v1
	s_delay_alu instid0(VALU_DEP_2)
	v_add_co_ci_u32_e32 v2, vcc_lo, s5, v2, vcc_lo
	global_store_b64 v[1:2], v[7:8], off offset:8
.LBB94_6:
	s_or_b32 exec_lo, exec_lo, s6
.LBB94_7:
	s_delay_alu instid0(SALU_CYCLE_1)
	s_and_not1_b32 vcc_lo, exec_lo, s2
	s_cbranch_vccnz .LBB94_11
; %bb.8:
	v_dual_mov_b32 v5, 0 :: v_dual_mov_b32 v2, 0
	v_mov_b32_e32 v1, 0
	s_mov_b32 s2, exec_lo
	v_cmpx_ne_u32_e32 0, v0
	s_cbranch_execz .LBB94_10
; %bb.9:
	v_mul_lo_u32 v2, v6, s3
	v_mov_b32_e32 v1, 0
	s_delay_alu instid0(VALU_DEP_2) | instskip(NEXT) | instid1(VALU_DEP_1)
	v_add3_u32 v0, v0, v2, -1
	v_lshlrev_b64 v[0:1], 3, v[0:1]
	s_delay_alu instid0(VALU_DEP_1) | instskip(NEXT) | instid1(VALU_DEP_2)
	v_add_co_u32 v0, vcc_lo, s4, v0
	v_add_co_ci_u32_e32 v1, vcc_lo, s5, v1, vcc_lo
	global_load_b64 v[1:2], v[0:1], off
.LBB94_10:
	s_or_b32 exec_lo, exec_lo, s2
	v_lshlrev_b64 v[3:4], 3, v[4:5]
	s_delay_alu instid0(VALU_DEP_1) | instskip(NEXT) | instid1(VALU_DEP_2)
	v_add_co_u32 v3, vcc_lo, s0, v3
	v_add_co_ci_u32_e32 v4, vcc_lo, s1, v4, vcc_lo
	s_waitcnt vmcnt(0)
	global_store_b64 v[3:4], v[1:2], off
.LBB94_11:
	s_nop 0
	s_sendmsg sendmsg(MSG_DEALLOC_VGPRS)
	s_endpgm
	.section	.rodata,"a",@progbits
	.p2align	6, 0x0
	.amdhsa_kernel _ZN9rocsolver6v33100L14copyshift_downI19rocblas_complex_numIfEPS3_EEvbiT0_iilPT_iil
		.amdhsa_group_segment_fixed_size 0
		.amdhsa_private_segment_fixed_size 0
		.amdhsa_kernarg_size 312
		.amdhsa_user_sgpr_count 13
		.amdhsa_user_sgpr_dispatch_ptr 0
		.amdhsa_user_sgpr_queue_ptr 0
		.amdhsa_user_sgpr_kernarg_segment_ptr 1
		.amdhsa_user_sgpr_dispatch_id 0
		.amdhsa_user_sgpr_private_segment_size 0
		.amdhsa_wavefront_size32 1
		.amdhsa_uses_dynamic_stack 0
		.amdhsa_enable_private_segment 0
		.amdhsa_system_sgpr_workgroup_id_x 1
		.amdhsa_system_sgpr_workgroup_id_y 1
		.amdhsa_system_sgpr_workgroup_id_z 1
		.amdhsa_system_sgpr_workgroup_info 0
		.amdhsa_system_vgpr_workitem_id 1
		.amdhsa_next_free_vgpr 11
		.amdhsa_next_free_sgpr 17
		.amdhsa_reserve_vcc 1
		.amdhsa_float_round_mode_32 0
		.amdhsa_float_round_mode_16_64 0
		.amdhsa_float_denorm_mode_32 3
		.amdhsa_float_denorm_mode_16_64 3
		.amdhsa_dx10_clamp 1
		.amdhsa_ieee_mode 1
		.amdhsa_fp16_overflow 0
		.amdhsa_workgroup_processor_mode 1
		.amdhsa_memory_ordered 1
		.amdhsa_forward_progress 0
		.amdhsa_shared_vgpr_count 0
		.amdhsa_exception_fp_ieee_invalid_op 0
		.amdhsa_exception_fp_denorm_src 0
		.amdhsa_exception_fp_ieee_div_zero 0
		.amdhsa_exception_fp_ieee_overflow 0
		.amdhsa_exception_fp_ieee_underflow 0
		.amdhsa_exception_fp_ieee_inexact 0
		.amdhsa_exception_int_div_zero 0
	.end_amdhsa_kernel
	.section	.text._ZN9rocsolver6v33100L14copyshift_downI19rocblas_complex_numIfEPS3_EEvbiT0_iilPT_iil,"axG",@progbits,_ZN9rocsolver6v33100L14copyshift_downI19rocblas_complex_numIfEPS3_EEvbiT0_iilPT_iil,comdat
.Lfunc_end94:
	.size	_ZN9rocsolver6v33100L14copyshift_downI19rocblas_complex_numIfEPS3_EEvbiT0_iilPT_iil, .Lfunc_end94-_ZN9rocsolver6v33100L14copyshift_downI19rocblas_complex_numIfEPS3_EEvbiT0_iilPT_iil
                                        ; -- End function
	.section	.AMDGPU.csdata,"",@progbits
; Kernel info:
; codeLenInByte = 644
; NumSgprs: 19
; NumVgprs: 11
; ScratchSize: 0
; MemoryBound: 0
; FloatMode: 240
; IeeeMode: 1
; LDSByteSize: 0 bytes/workgroup (compile time only)
; SGPRBlocks: 2
; VGPRBlocks: 1
; NumSGPRsForWavesPerEU: 19
; NumVGPRsForWavesPerEU: 11
; Occupancy: 16
; WaveLimiterHint : 0
; COMPUTE_PGM_RSRC2:SCRATCH_EN: 0
; COMPUTE_PGM_RSRC2:USER_SGPR: 13
; COMPUTE_PGM_RSRC2:TRAP_HANDLER: 0
; COMPUTE_PGM_RSRC2:TGID_X_EN: 1
; COMPUTE_PGM_RSRC2:TGID_Y_EN: 1
; COMPUTE_PGM_RSRC2:TGID_Z_EN: 1
; COMPUTE_PGM_RSRC2:TIDIG_COMP_CNT: 1
	.section	.text._ZN9rocsolver6v33100L10bdsqr_initI19rocblas_complex_numIfEfEEviPT0_lS5_lPiiS4_S4_S6_S5_lS6_,"axG",@progbits,_ZN9rocsolver6v33100L10bdsqr_initI19rocblas_complex_numIfEfEEviPT0_lS5_lPiiS4_S4_S6_S5_lS6_,comdat
	.globl	_ZN9rocsolver6v33100L10bdsqr_initI19rocblas_complex_numIfEfEEviPT0_lS5_lPiiS4_S4_S6_S5_lS6_ ; -- Begin function _ZN9rocsolver6v33100L10bdsqr_initI19rocblas_complex_numIfEfEEviPT0_lS5_lPiiS4_S4_S6_S5_lS6_
	.p2align	8
	.type	_ZN9rocsolver6v33100L10bdsqr_initI19rocblas_complex_numIfEfEEviPT0_lS5_lPiiS4_S4_S6_S5_lS6_,@function
_ZN9rocsolver6v33100L10bdsqr_initI19rocblas_complex_numIfEfEEviPT0_lS5_lPiiS4_S4_S6_S5_lS6_: ; @_ZN9rocsolver6v33100L10bdsqr_initI19rocblas_complex_numIfEfEEviPT0_lS5_lPiiS4_S4_S6_S5_lS6_
; %bb.0:
	s_clause 0x1
	s_load_b32 s12, s[0:1], 0x0
	s_load_b256 s[4:11], s[0:1], 0x8
	s_mov_b32 s14, s15
	s_ashr_i32 s15, s15, 31
	s_waitcnt lgkmcnt(0)
	s_ashr_i32 s13, s12, 31
	s_mul_i32 s3, s14, s7
	s_mul_hi_u32 s7, s14, s6
	s_mul_i32 s16, s15, s6
	s_add_i32 s3, s7, s3
	s_mul_i32 s2, s14, s6
	s_add_i32 s3, s3, s16
	s_mul_i32 s6, s14, s11
	s_lshl_b64 s[2:3], s[2:3], 2
	s_mul_hi_u32 s7, s14, s10
	s_add_u32 s18, s4, s2
	s_mul_i32 s11, s15, s10
	s_addc_u32 s19, s5, s3
	s_add_i32 s3, s7, s6
	s_mul_i32 s2, s14, s10
	s_add_i32 s3, s3, s11
	s_load_b32 s4, s[18:19], 0x0
	s_lshl_b64 s[2:3], s[2:3], 2
	v_cmp_lt_i64_e64 s5, s[12:13], 2
	s_add_u32 s22, s8, s2
	s_addc_u32 s23, s9, s3
	s_lshl_b64 s[2:3], s[12:13], 2
	v_cmp_gt_i64_e64 s25, s[12:13], 1
	s_add_u32 s16, s18, s2
	s_addc_u32 s17, s19, s3
	s_add_u32 s2, s16, -4
	s_addc_u32 s3, s17, -1
	s_load_b32 s3, s[2:3], 0x0
	s_load_b64 s[20:21], s[0:1], 0x28
	s_and_b32 vcc_lo, exec_lo, s5
	s_waitcnt lgkmcnt(0)
	v_mov_b32_e32 v0, s4
	v_cmp_ge_f32_e64 s2, s4, s3
	s_delay_alu instid0(VALU_DEP_1) | instskip(NEXT) | instid1(VALU_DEP_1)
	v_cndmask_b32_e64 v0, s3, v0, s2
	v_and_b32_e32 v3, 0x7fffffff, v0
	s_cbranch_vccnz .LBB95_3
; %bb.1:
	s_delay_alu instid0(VALU_DEP_1)
	v_mov_b32_e32 v0, v3
	s_add_i32 s3, s12, -2
	s_mov_b32 s4, 1
	s_set_inst_prefetch_distance 0x1
	.p2align	6
.LBB95_2:                               ; =>This Inner Loop Header: Depth=1
	s_and_b32 s5, s2, exec_lo
	s_cselect_b32 s6, s4, s3
	s_add_i32 s5, s4, -1
	s_and_b32 s7, s2, exec_lo
	s_cselect_b32 s8, s5, s3
	s_delay_alu instid0(SALU_CYCLE_1) | instskip(NEXT) | instid1(SALU_CYCLE_1)
	s_ashr_i32 s9, s8, 31
	s_lshl_b64 s[8:9], s[8:9], 2
	s_delay_alu instid0(SALU_CYCLE_1) | instskip(SKIP_4) | instid1(SALU_CYCLE_1)
	s_add_u32 s8, s22, s8
	s_addc_u32 s9, s23, s9
	s_ashr_i32 s7, s6, 31
	s_load_b32 s5, s[8:9], 0x0
	s_lshl_b64 s[6:7], s[6:7], 2
	s_add_u32 s6, s18, s6
	s_addc_u32 s7, s19, s7
	s_add_i32 s4, s4, 1
	s_add_i32 s3, s3, -1
	s_cmp_lg_u32 s4, s12
	s_waitcnt lgkmcnt(0)
	v_add_f32_e64 v1, v0, |s5|
	s_load_b32 s5, s[6:7], 0x0
	s_delay_alu instid0(VALU_DEP_1) | instskip(SKIP_1) | instid1(VALU_DEP_2)
	v_div_scale_f32 v2, null, v1, v1, v0
	v_div_scale_f32 v6, vcc_lo, v0, v1, v0
	v_rcp_f32_e32 v4, v2
	s_waitcnt_depctr 0xfff
	v_fma_f32 v5, -v2, v4, 1.0
	s_delay_alu instid0(VALU_DEP_1) | instskip(NEXT) | instid1(VALU_DEP_1)
	v_fmac_f32_e32 v4, v5, v4
	v_mul_f32_e32 v5, v6, v4
	s_delay_alu instid0(VALU_DEP_1) | instskip(NEXT) | instid1(VALU_DEP_1)
	v_fma_f32 v7, -v2, v5, v6
	v_fmac_f32_e32 v5, v7, v4
	s_delay_alu instid0(VALU_DEP_1) | instskip(NEXT) | instid1(VALU_DEP_1)
	v_fma_f32 v2, -v2, v5, v6
	v_div_fmas_f32 v2, v2, v4, v5
	s_delay_alu instid0(VALU_DEP_1) | instskip(SKIP_1) | instid1(VALU_DEP_1)
	v_div_fixup_f32 v0, v2, v1, v0
	s_waitcnt lgkmcnt(0)
	v_mul_f32_e64 v0, |s5|, v0
	s_delay_alu instid0(VALU_DEP_1)
	v_cmp_lt_f32_e32 vcc_lo, v0, v3
	v_cndmask_b32_e32 v3, v3, v0, vcc_lo
	s_cbranch_scc1 .LBB95_2
.LBB95_3:
	s_set_inst_prefetch_distance 0x2
	v_cvt_f64_i32_e32 v[0:1], s12
	s_load_b256 s[4:11], s[0:1], 0x40
	s_lshl_b32 s24, s12, 1
	s_load_b128 s[28:31], s[0:1], 0x30
	s_mul_i32 s2, s24, s14
	s_delay_alu instid0(SALU_CYCLE_1) | instskip(NEXT) | instid1(SALU_CYCLE_1)
	s_ashr_i32 s3, s2, 31
	s_lshl_b64 s[2:3], s[2:3], 2
	s_waitcnt lgkmcnt(0)
	s_add_u32 s13, s4, s2
	s_mul_i32 s2, s14, s9
	s_mul_hi_u32 s4, s14, s8
	s_mul_i32 s26, s15, s8
	s_addc_u32 s9, s5, s3
	s_add_i32 s3, s4, s2
	s_mul_i32 s2, s14, s8
	s_add_i32 s3, s3, s26
	s_mov_b32 s8, 0
	s_lshl_b64 s[2:3], s[2:3], 2
	s_delay_alu instid0(SALU_CYCLE_1) | instskip(SKIP_3) | instid1(VALU_DEP_1)
	s_add_u32 s2, s6, s2
	s_addc_u32 s3, s7, s3
	s_add_i32 s6, s12, -1
	s_mov_b32 s7, 0
	v_cmp_gt_f64_e32 vcc_lo, 0x10000000, v[0:1]
	v_cndmask_b32_e64 v2, 0, 1, vcc_lo
	s_and_b32 s4, vcc_lo, exec_lo
	s_cselect_b32 s4, 0xffffff80, 0
	s_delay_alu instid0(VALU_DEP_1) | instskip(NEXT) | instid1(VALU_DEP_1)
	v_lshlrev_b32_e32 v2, 8, v2
	v_ldexp_f64 v[0:1], v[0:1], v2
	s_delay_alu instid0(VALU_DEP_1) | instskip(SKIP_4) | instid1(VALU_DEP_1)
	v_rsq_f64_e32 v[4:5], v[0:1]
	v_cmp_class_f64_e64 vcc_lo, v[0:1], 0x260
	s_waitcnt_depctr 0xfff
	v_mul_f64 v[6:7], v[0:1], v[4:5]
	v_mul_f64 v[4:5], v[4:5], 0.5
	v_fma_f64 v[8:9], -v[4:5], v[6:7], 0.5
	s_delay_alu instid0(VALU_DEP_1) | instskip(SKIP_1) | instid1(VALU_DEP_2)
	v_fma_f64 v[6:7], v[6:7], v[8:9], v[6:7]
	v_fma_f64 v[4:5], v[4:5], v[8:9], v[4:5]
	v_fma_f64 v[8:9], -v[6:7], v[6:7], v[0:1]
	s_delay_alu instid0(VALU_DEP_1) | instskip(NEXT) | instid1(VALU_DEP_1)
	v_fma_f64 v[6:7], v[8:9], v[4:5], v[6:7]
	v_fma_f64 v[8:9], -v[6:7], v[6:7], v[0:1]
	s_delay_alu instid0(VALU_DEP_1) | instskip(NEXT) | instid1(VALU_DEP_1)
	v_fma_f64 v[4:5], v[8:9], v[4:5], v[6:7]
	v_ldexp_f64 v[4:5], v[4:5], s4
	s_delay_alu instid0(VALU_DEP_1) | instskip(NEXT) | instid1(VALU_DEP_1)
	v_dual_cndmask_b32 v1, v5, v1 :: v_dual_cndmask_b32 v0, v4, v0
	v_cvt_f32_f64_e32 v0, v[0:1]
	v_mul_f32_e32 v1, s30, v3
	s_delay_alu instid0(VALU_DEP_1) | instskip(SKIP_1) | instid1(VALU_DEP_2)
	v_div_scale_f32 v2, null, v0, v0, v1
	v_div_scale_f32 v6, vcc_lo, v1, v0, v1
	v_rcp_f32_e32 v4, v2
	s_waitcnt_depctr 0xfff
	v_fma_f32 v5, -v2, v4, 1.0
	s_delay_alu instid0(VALU_DEP_1) | instskip(NEXT) | instid1(VALU_DEP_1)
	v_fmac_f32_e32 v4, v5, v4
	v_mul_f32_e32 v5, v6, v4
	s_delay_alu instid0(VALU_DEP_1) | instskip(NEXT) | instid1(VALU_DEP_1)
	v_fma_f32 v7, -v2, v5, v6
	v_fmac_f32_e32 v5, v7, v4
	s_delay_alu instid0(VALU_DEP_1) | instskip(SKIP_1) | instid1(VALU_DEP_2)
	v_fma_f32 v2, -v2, v5, v6
	v_cvt_f32_i32_e32 v6, s28
	v_div_fmas_f32 v2, v2, v4, v5
	s_delay_alu instid0(VALU_DEP_2) | instskip(SKIP_1) | instid1(VALU_DEP_3)
	v_mul_f32_e32 v4, s29, v6
	v_cndmask_b32_e64 v5, 0, 1, s25
	v_div_fixup_f32 v1, v2, v0, v1
	v_mov_b32_e32 v0, 0
	s_delay_alu instid0(VALU_DEP_2)
	v_cmp_lt_f32_e32 vcc_lo, v1, v4
	v_cndmask_b32_e32 v4, v1, v4, vcc_lo
	s_and_not1_b32 vcc_lo, exec_lo, s25
	s_mov_b32 s25, 0
	global_store_b64 v0, v[3:4], s[2:3]
	s_cbranch_vccnz .LBB95_20
; %bb.4:
	s_mov_b32 s1, 0
	s_delay_alu instid0(SALU_CYCLE_1) | instskip(SKIP_3) | instid1(SALU_CYCLE_1)
	s_mov_b32 s0, s1
	s_mov_b32 s7, s1
	;; [unrolled: 1-line block ×3, first 2 shown]
	s_lshl_b32 s4, s0, 2
	s_or_b32 s5, s4, 3
	s_delay_alu instid0(SALU_CYCLE_1)
	s_cmp_ge_i32 s5, s24
	s_cbranch_scc1 .LBB95_6
.LBB95_5:
	s_mov_b32 s5, s1
	s_waitcnt vmcnt(0)
	v_mov_b32_e32 v1, v0
	s_lshl_b64 s[4:5], s[4:5], 2
	v_mov_b32_e32 v2, v0
	v_mov_b32_e32 v3, v0
	s_add_u32 s4, s13, s4
	s_addc_u32 s5, s9, s5
	global_store_b128 v0, v[0:3], s[4:5]
	s_waitcnt_vscnt null, 0x0
	buffer_gl1_inv
	buffer_gl0_inv
.LBB95_6:                               ; =>This Inner Loop Header: Depth=1
	s_lshl_b64 s[4:5], s[0:1], 2
	s_delay_alu instid0(SALU_CYCLE_1)
	s_add_u32 s26, s18, s4
	s_addc_u32 s27, s19, s5
	s_add_u32 s4, s22, s4
	global_load_b32 v2, v0, s[26:27]
	s_addc_u32 s5, s23, s5
	global_load_b32 v1, v0, s[4:5]
	s_waitcnt vmcnt(1)
	v_cmp_class_f32_e64 s26, v2, 0x1f8
	s_delay_alu instid0(VALU_DEP_1)
	s_and_b32 vcc_lo, exec_lo, s26
	s_cbranch_vccz .LBB95_19
; %bb.7:                                ;   in Loop: Header=BB95_6 Depth=1
	s_waitcnt vmcnt(0)
	v_cmp_class_f32_e64 s26, v1, 0x1f8
	s_delay_alu instid0(VALU_DEP_1)
	s_and_b32 vcc_lo, exec_lo, s26
	s_cbranch_vccnz .LBB95_9
; %bb.8:                                ;   in Loop: Header=BB95_6 Depth=1
	s_mov_b32 s8, -1
.LBB95_9:                               ;   in Loop: Header=BB95_6 Depth=1
	v_and_b32_e32 v2, 0x7fffffff, v1
	s_cbranch_execnz .LBB95_11
.LBB95_10:                              ;   in Loop: Header=BB95_6 Depth=1
	s_waitcnt vmcnt(0)
	v_and_b32_e32 v2, 0x7fffffff, v1
	s_mov_b32 s8, -1
.LBB95_11:                              ;   in Loop: Header=BB95_6 Depth=1
	s_delay_alu instid0(VALU_DEP_1)
	v_cmp_lt_f32_e32 vcc_lo, v2, v4
	s_mov_b32 s27, -1
                                        ; implicit-def: $sgpr26
	s_cbranch_vccz .LBB95_14
; %bb.12:                               ;   in Loop: Header=BB95_6 Depth=1
	s_and_not1_b32 vcc_lo, exec_lo, s27
	s_cbranch_vccz .LBB95_15
.LBB95_13:                              ;   in Loop: Header=BB95_6 Depth=1
	s_cmp_eq_u32 s26, s6
	s_cbranch_scc0 .LBB95_18
	s_branch .LBB95_20
.LBB95_14:                              ;   in Loop: Header=BB95_6 Depth=1
	s_add_i32 s26, s0, 1
	s_cbranch_execnz .LBB95_13
.LBB95_15:                              ;   in Loop: Header=BB95_6 Depth=1
	s_cmp_ge_i32 s25, s0
	global_store_b32 v0, v0, s[4:5]
	s_cbranch_scc1 .LBB95_17
; %bb.16:                               ;   in Loop: Header=BB95_6 Depth=1
	s_lshl_b32 s4, s7, 2
	s_waitcnt vmcnt(0)
	v_dual_mov_b32 v1, s25 :: v_dual_mov_b32 v2, s0
	s_ashr_i32 s5, s4, 31
	s_delay_alu instid0(SALU_CYCLE_1) | instskip(NEXT) | instid1(SALU_CYCLE_1)
	s_lshl_b64 s[4:5], s[4:5], 2
	s_add_u32 s4, s13, s4
	s_addc_u32 s5, s9, s5
	s_add_i32 s7, s7, 1
	global_store_b64 v0, v[1:2], s[4:5] offset:4
.LBB95_17:                              ;   in Loop: Header=BB95_6 Depth=1
	s_add_i32 s25, s0, 1
	s_delay_alu instid0(SALU_CYCLE_1) | instskip(NEXT) | instid1(SALU_CYCLE_1)
	s_mov_b32 s26, s25
	s_cmp_eq_u32 s26, s6
	s_cbranch_scc1 .LBB95_20
.LBB95_18:                              ;   in Loop: Header=BB95_6 Depth=1
	s_mov_b32 s0, s26
	s_delay_alu instid0(SALU_CYCLE_1) | instskip(NEXT) | instid1(SALU_CYCLE_1)
	s_lshl_b32 s4, s0, 2
	s_or_b32 s5, s4, 3
	s_delay_alu instid0(SALU_CYCLE_1)
	s_cmp_ge_i32 s5, s24
	s_cbranch_scc0 .LBB95_5
	s_branch .LBB95_6
.LBB95_19:                              ;   in Loop: Header=BB95_6 Depth=1
                                        ; implicit-def: $sgpr8
                                        ; implicit-def: $vgpr2
	s_branch .LBB95_10
.LBB95_20:
	s_waitcnt vmcnt(0)
	v_mov_b32_e32 v1, 0
	s_cmp_lt_i32 s25, s6
	global_load_b32 v0, v1, s[16:17] offset:-4
	s_cbranch_scc0 .LBB95_22
; %bb.21:
	s_lshl_b32 s0, s7, 2
	v_dual_mov_b32 v2, s25 :: v_dual_mov_b32 v3, s6
	s_ashr_i32 s1, s0, 31
	s_delay_alu instid0(SALU_CYCLE_1) | instskip(NEXT) | instid1(SALU_CYCLE_1)
	s_lshl_b64 s[0:1], s[0:1], 2
	s_add_u32 s0, s13, s0
	s_addc_u32 s1, s9, s1
	global_store_b64 v1, v[2:3], s[0:1] offset:4
.LBB95_22:
	s_waitcnt vmcnt(0)
	v_cmp_nlg_f32_e64 s0, 0x7f800000, |v0|
	s_delay_alu instid0(VALU_DEP_1) | instskip(NEXT) | instid1(SALU_CYCLE_1)
	s_or_b32 s0, s0, s8
	s_and_not1_b32 vcc_lo, exec_lo, s0
	s_mov_b32 s0, -1
	s_cbranch_vccz .LBB95_27
; %bb.23:
	s_add_i32 s1, s7, 1
	s_lshl_b64 s[4:5], s[14:15], 2
	v_mov_b32_e32 v1, 0
	v_cvt_f32_i32_e32 v0, s1
	s_add_u32 s4, s20, s4
	s_addc_u32 s5, s21, s5
	s_mov_b32 s0, 0
	s_cmp_lt_i32 s7, 0
	s_clause 0x1
	global_store_b64 v1, v[0:1], s[2:3] offset:8
	global_store_b32 v1, v1, s[4:5]
	s_cbranch_scc1 .LBB95_27
; %bb.24:
	v_mov_b32_e32 v3, 0
	s_mov_b32 s2, 0
.LBB95_25:                              ; =>This Inner Loop Header: Depth=1
	v_mov_b32_e32 v2, s1
	global_atomic_cmpswap_b32 v3, v1, v[2:3], s[10:11] offset:4 glc
	s_waitcnt vmcnt(0)
	v_cmp_lt_i32_e32 vcc_lo, s7, v3
	s_or_b32 s2, vcc_lo, s2
	s_delay_alu instid0(SALU_CYCLE_1)
	s_and_not1_b32 exec_lo, exec_lo, s2
	s_cbranch_execnz .LBB95_25
; %bb.26:
	s_or_b32 exec_lo, exec_lo, s2
.LBB95_27:
	s_delay_alu instid0(SALU_CYCLE_1)
	s_and_not1_b32 vcc_lo, exec_lo, s0
	s_cbranch_vccnz .LBB95_33
; %bb.28:
	v_cmp_ne_u32_e32 vcc_lo, 1, v5
	s_cbranch_vccnz .LBB95_31
; %bb.29:
	v_dual_mov_b32 v0, 0 :: v_dual_mov_b32 v1, 0x7fc00000
.LBB95_30:                              ; =>This Inner Loop Header: Depth=1
	s_add_i32 s6, s6, -1
	s_clause 0x1
	global_store_b32 v0, v1, s[18:19]
	global_store_b32 v0, v1, s[22:23]
	s_add_u32 s18, s18, 4
	s_addc_u32 s19, s19, 0
	s_add_u32 s22, s22, 4
	s_addc_u32 s23, s23, 0
	s_cmp_eq_u32 s6, 0
	s_cbranch_scc0 .LBB95_30
.LBB95_31:
	s_mov_b32 s0, exec_lo
	v_dual_mov_b32 v0, 0 :: v_dual_mov_b32 v1, 0x7fc00000
	s_lshl_b64 s[2:3], s[14:15], 2
	v_mbcnt_lo_u32_b32 v2, s0, 0
	v_dual_mov_b32 v3, s12 :: v_dual_mov_b32 v4, 2
	s_add_u32 s4, s20, s2
	s_addc_u32 s5, s21, s3
	s_add_u32 s2, s10, s2
	s_addc_u32 s3, s11, s3
	s_clause 0x2
	global_store_b32 v0, v1, s[16:17] offset:-4
	global_store_b32 v0, v3, s[4:5]
	global_store_b32 v0, v4, s[2:3] offset:8
	s_mov_b32 s1, exec_lo
	v_cmpx_eq_u32_e32 0, v2
	s_cbranch_execz .LBB95_33
; %bb.32:
	s_bcnt1_i32_b32 s0, s0
	s_delay_alu instid0(SALU_CYCLE_1)
	v_mov_b32_e32 v1, s0
	global_atomic_add_u32 v0, v1, s[10:11]
.LBB95_33:
	s_nop 0
	s_sendmsg sendmsg(MSG_DEALLOC_VGPRS)
	s_endpgm
	.section	.rodata,"a",@progbits
	.p2align	6, 0x0
	.amdhsa_kernel _ZN9rocsolver6v33100L10bdsqr_initI19rocblas_complex_numIfEfEEviPT0_lS5_lPiiS4_S4_S6_S5_lS6_
		.amdhsa_group_segment_fixed_size 0
		.amdhsa_private_segment_fixed_size 0
		.amdhsa_kernarg_size 96
		.amdhsa_user_sgpr_count 14
		.amdhsa_user_sgpr_dispatch_ptr 0
		.amdhsa_user_sgpr_queue_ptr 0
		.amdhsa_user_sgpr_kernarg_segment_ptr 1
		.amdhsa_user_sgpr_dispatch_id 0
		.amdhsa_user_sgpr_private_segment_size 0
		.amdhsa_wavefront_size32 1
		.amdhsa_uses_dynamic_stack 0
		.amdhsa_enable_private_segment 0
		.amdhsa_system_sgpr_workgroup_id_x 1
		.amdhsa_system_sgpr_workgroup_id_y 1
		.amdhsa_system_sgpr_workgroup_id_z 0
		.amdhsa_system_sgpr_workgroup_info 0
		.amdhsa_system_vgpr_workitem_id 0
		.amdhsa_next_free_vgpr 10
		.amdhsa_next_free_sgpr 32
		.amdhsa_reserve_vcc 1
		.amdhsa_float_round_mode_32 0
		.amdhsa_float_round_mode_16_64 0
		.amdhsa_float_denorm_mode_32 3
		.amdhsa_float_denorm_mode_16_64 3
		.amdhsa_dx10_clamp 1
		.amdhsa_ieee_mode 1
		.amdhsa_fp16_overflow 0
		.amdhsa_workgroup_processor_mode 1
		.amdhsa_memory_ordered 1
		.amdhsa_forward_progress 0
		.amdhsa_shared_vgpr_count 0
		.amdhsa_exception_fp_ieee_invalid_op 0
		.amdhsa_exception_fp_denorm_src 0
		.amdhsa_exception_fp_ieee_div_zero 0
		.amdhsa_exception_fp_ieee_overflow 0
		.amdhsa_exception_fp_ieee_underflow 0
		.amdhsa_exception_fp_ieee_inexact 0
		.amdhsa_exception_int_div_zero 0
	.end_amdhsa_kernel
	.section	.text._ZN9rocsolver6v33100L10bdsqr_initI19rocblas_complex_numIfEfEEviPT0_lS5_lPiiS4_S4_S6_S5_lS6_,"axG",@progbits,_ZN9rocsolver6v33100L10bdsqr_initI19rocblas_complex_numIfEfEEviPT0_lS5_lPiiS4_S4_S6_S5_lS6_,comdat
.Lfunc_end95:
	.size	_ZN9rocsolver6v33100L10bdsqr_initI19rocblas_complex_numIfEfEEviPT0_lS5_lPiiS4_S4_S6_S5_lS6_, .Lfunc_end95-_ZN9rocsolver6v33100L10bdsqr_initI19rocblas_complex_numIfEfEEviPT0_lS5_lPiiS4_S4_S6_S5_lS6_
                                        ; -- End function
	.section	.AMDGPU.csdata,"",@progbits
; Kernel info:
; codeLenInByte = 1692
; NumSgprs: 34
; NumVgprs: 10
; ScratchSize: 0
; MemoryBound: 0
; FloatMode: 240
; IeeeMode: 1
; LDSByteSize: 0 bytes/workgroup (compile time only)
; SGPRBlocks: 4
; VGPRBlocks: 1
; NumSGPRsForWavesPerEU: 34
; NumVGPRsForWavesPerEU: 10
; Occupancy: 16
; WaveLimiterHint : 0
; COMPUTE_PGM_RSRC2:SCRATCH_EN: 0
; COMPUTE_PGM_RSRC2:USER_SGPR: 14
; COMPUTE_PGM_RSRC2:TRAP_HANDLER: 0
; COMPUTE_PGM_RSRC2:TGID_X_EN: 1
; COMPUTE_PGM_RSRC2:TGID_Y_EN: 1
; COMPUTE_PGM_RSRC2:TGID_Z_EN: 0
; COMPUTE_PGM_RSRC2:TIDIG_COMP_CNT: 0
	.section	.text._ZN9rocsolver6v33100L11swap_kernelI19rocblas_complex_numIfEiEEvT0_PT_S4_S6_S4_,"axG",@progbits,_ZN9rocsolver6v33100L11swap_kernelI19rocblas_complex_numIfEiEEvT0_PT_S4_S6_S4_,comdat
	.globl	_ZN9rocsolver6v33100L11swap_kernelI19rocblas_complex_numIfEiEEvT0_PT_S4_S6_S4_ ; -- Begin function _ZN9rocsolver6v33100L11swap_kernelI19rocblas_complex_numIfEiEEvT0_PT_S4_S6_S4_
	.p2align	8
	.type	_ZN9rocsolver6v33100L11swap_kernelI19rocblas_complex_numIfEiEEvT0_PT_S4_S6_S4_,@function
_ZN9rocsolver6v33100L11swap_kernelI19rocblas_complex_numIfEiEEvT0_PT_S4_S6_S4_: ; @_ZN9rocsolver6v33100L11swap_kernelI19rocblas_complex_numIfEiEEvT0_PT_S4_S6_S4_
; %bb.0:
	s_load_b32 s12, s[0:1], 0x0
	s_waitcnt lgkmcnt(0)
	s_cmp_lt_i32 s12, 1
	s_cbranch_scc1 .LBB96_10
; %bb.1:
	s_clause 0x5
	s_load_b32 s6, s[0:1], 0x34
	s_load_b32 s8, s[0:1], 0x10
	;; [unrolled: 1-line block ×4, first 2 shown]
	s_load_b64 s[2:3], s[0:1], 0x8
	s_load_b64 s[4:5], s[0:1], 0x18
	s_waitcnt lgkmcnt(0)
	s_and_b32 s0, s6, 0xffff
	s_cmp_eq_u32 s8, 1
	v_mad_u64_u32 v[1:2], null, s15, s0, v[0:1]
	s_cselect_b32 s1, -1, 0
	s_cmp_eq_u32 s9, 1
	s_mul_i32 s6, s7, s0
	s_cselect_b32 s10, -1, 0
	s_delay_alu instid0(SALU_CYCLE_1) | instskip(NEXT) | instid1(VALU_DEP_1)
	s_and_b32 s1, s1, s10
	v_cmp_gt_i32_e64 s0, s12, v1
	s_and_b32 vcc_lo, exec_lo, s1
	s_mov_b32 s1, -1
	s_cbranch_vccnz .LBB96_6
; %bb.2:
	s_delay_alu instid0(VALU_DEP_1)
	s_and_saveexec_b32 s7, s0
	s_cbranch_execz .LBB96_5
; %bb.3:
	v_mad_i64_i32 v[2:3], null, s9, v1, 0
	v_mad_i64_i32 v[4:5], null, s8, v1, 0
	v_mov_b32_e32 v0, v1
	s_mul_hi_i32 s11, s9, s6
	s_mul_i32 s10, s9, s6
	s_mul_hi_i32 s15, s8, s6
	s_delay_alu instid0(VALU_DEP_3) | instskip(SKIP_1) | instid1(VALU_DEP_3)
	v_lshlrev_b64 v[2:3], 3, v[2:3]
	s_mul_i32 s14, s8, s6
	v_lshlrev_b64 v[4:5], 3, v[4:5]
	s_lshl_b64 s[8:9], s[10:11], 3
	s_lshl_b64 s[10:11], s[14:15], 3
	s_mov_b32 s13, 0
	v_add_co_u32 v2, vcc_lo, s4, v2
	v_add_co_ci_u32_e32 v3, vcc_lo, s5, v3, vcc_lo
	v_add_co_u32 v4, vcc_lo, s2, v4
	v_add_co_ci_u32_e32 v5, vcc_lo, s3, v5, vcc_lo
	.p2align	6
.LBB96_4:                               ; =>This Inner Loop Header: Depth=1
	global_load_b64 v[6:7], v[4:5], off
	global_load_b64 v[8:9], v[2:3], off
	v_add_nc_u32_e32 v0, s6, v0
	s_waitcnt vmcnt(1)
	global_store_b64 v[2:3], v[6:7], off
	s_waitcnt vmcnt(0)
	global_store_b64 v[4:5], v[8:9], off
	v_add_co_u32 v2, s1, v2, s8
	s_delay_alu instid0(VALU_DEP_1) | instskip(SKIP_2) | instid1(VALU_DEP_1)
	v_add_co_ci_u32_e64 v3, s1, s9, v3, s1
	v_cmp_le_i32_e32 vcc_lo, s12, v0
	v_add_co_u32 v4, s1, v4, s10
	v_add_co_ci_u32_e64 v5, s1, s11, v5, s1
	s_or_b32 s13, vcc_lo, s13
	s_delay_alu instid0(SALU_CYCLE_1)
	s_and_not1_b32 exec_lo, exec_lo, s13
	s_cbranch_execnz .LBB96_4
.LBB96_5:
	s_or_b32 exec_lo, exec_lo, s7
	s_mov_b32 s1, 0
.LBB96_6:
	s_delay_alu instid0(SALU_CYCLE_1)
	s_and_not1_b32 vcc_lo, exec_lo, s1
	s_cbranch_vccnz .LBB96_10
; %bb.7:
	s_and_saveexec_b32 s1, s0
	s_cbranch_execz .LBB96_10
; %bb.8:
	v_ashrrev_i32_e32 v2, 31, v1
	s_ashr_i32 s7, s6, 31
	s_mov_b32 s1, 0
	s_lshl_b64 s[8:9], s[6:7], 3
	s_delay_alu instid0(VALU_DEP_1)
	v_lshlrev_b64 v[2:3], 3, v[1:2]
	.p2align	6
.LBB96_9:                               ; =>This Inner Loop Header: Depth=1
	s_delay_alu instid0(VALU_DEP_1) | instskip(NEXT) | instid1(VALU_DEP_2)
	v_add_co_u32 v4, vcc_lo, s2, v2
	v_add_co_ci_u32_e32 v5, vcc_lo, s3, v3, vcc_lo
	v_add_co_u32 v6, vcc_lo, s4, v2
	v_add_co_ci_u32_e32 v7, vcc_lo, s5, v3, vcc_lo
	v_add_nc_u32_e32 v1, s6, v1
	global_load_b64 v[8:9], v[4:5], off
	global_load_b64 v[10:11], v[6:7], off
	v_add_co_u32 v2, s0, v2, s8
	v_cmp_le_i32_e32 vcc_lo, s12, v1
	v_add_co_ci_u32_e64 v3, s0, s9, v3, s0
	s_waitcnt vmcnt(1)
	global_store_b64 v[6:7], v[8:9], off
	s_waitcnt vmcnt(0)
	global_store_b64 v[4:5], v[10:11], off
	s_or_b32 s1, vcc_lo, s1
	s_delay_alu instid0(SALU_CYCLE_1)
	s_and_not1_b32 exec_lo, exec_lo, s1
	s_cbranch_execnz .LBB96_9
.LBB96_10:
	s_nop 0
	s_sendmsg sendmsg(MSG_DEALLOC_VGPRS)
	s_endpgm
	.section	.rodata,"a",@progbits
	.p2align	6, 0x0
	.amdhsa_kernel _ZN9rocsolver6v33100L11swap_kernelI19rocblas_complex_numIfEiEEvT0_PT_S4_S6_S4_
		.amdhsa_group_segment_fixed_size 0
		.amdhsa_private_segment_fixed_size 0
		.amdhsa_kernarg_size 296
		.amdhsa_user_sgpr_count 15
		.amdhsa_user_sgpr_dispatch_ptr 0
		.amdhsa_user_sgpr_queue_ptr 0
		.amdhsa_user_sgpr_kernarg_segment_ptr 1
		.amdhsa_user_sgpr_dispatch_id 0
		.amdhsa_user_sgpr_private_segment_size 0
		.amdhsa_wavefront_size32 1
		.amdhsa_uses_dynamic_stack 0
		.amdhsa_enable_private_segment 0
		.amdhsa_system_sgpr_workgroup_id_x 1
		.amdhsa_system_sgpr_workgroup_id_y 0
		.amdhsa_system_sgpr_workgroup_id_z 0
		.amdhsa_system_sgpr_workgroup_info 0
		.amdhsa_system_vgpr_workitem_id 0
		.amdhsa_next_free_vgpr 12
		.amdhsa_next_free_sgpr 16
		.amdhsa_reserve_vcc 1
		.amdhsa_float_round_mode_32 0
		.amdhsa_float_round_mode_16_64 0
		.amdhsa_float_denorm_mode_32 3
		.amdhsa_float_denorm_mode_16_64 3
		.amdhsa_dx10_clamp 1
		.amdhsa_ieee_mode 1
		.amdhsa_fp16_overflow 0
		.amdhsa_workgroup_processor_mode 1
		.amdhsa_memory_ordered 1
		.amdhsa_forward_progress 0
		.amdhsa_shared_vgpr_count 0
		.amdhsa_exception_fp_ieee_invalid_op 0
		.amdhsa_exception_fp_denorm_src 0
		.amdhsa_exception_fp_ieee_div_zero 0
		.amdhsa_exception_fp_ieee_overflow 0
		.amdhsa_exception_fp_ieee_underflow 0
		.amdhsa_exception_fp_ieee_inexact 0
		.amdhsa_exception_int_div_zero 0
	.end_amdhsa_kernel
	.section	.text._ZN9rocsolver6v33100L11swap_kernelI19rocblas_complex_numIfEiEEvT0_PT_S4_S6_S4_,"axG",@progbits,_ZN9rocsolver6v33100L11swap_kernelI19rocblas_complex_numIfEiEEvT0_PT_S4_S6_S4_,comdat
.Lfunc_end96:
	.size	_ZN9rocsolver6v33100L11swap_kernelI19rocblas_complex_numIfEiEEvT0_PT_S4_S6_S4_, .Lfunc_end96-_ZN9rocsolver6v33100L11swap_kernelI19rocblas_complex_numIfEiEEvT0_PT_S4_S6_S4_
                                        ; -- End function
	.section	.AMDGPU.csdata,"",@progbits
; Kernel info:
; codeLenInByte = 520
; NumSgprs: 18
; NumVgprs: 12
; ScratchSize: 0
; MemoryBound: 0
; FloatMode: 240
; IeeeMode: 1
; LDSByteSize: 0 bytes/workgroup (compile time only)
; SGPRBlocks: 2
; VGPRBlocks: 1
; NumSGPRsForWavesPerEU: 18
; NumVGPRsForWavesPerEU: 12
; Occupancy: 16
; WaveLimiterHint : 0
; COMPUTE_PGM_RSRC2:SCRATCH_EN: 0
; COMPUTE_PGM_RSRC2:USER_SGPR: 15
; COMPUTE_PGM_RSRC2:TRAP_HANDLER: 0
; COMPUTE_PGM_RSRC2:TGID_X_EN: 1
; COMPUTE_PGM_RSRC2:TGID_Y_EN: 0
; COMPUTE_PGM_RSRC2:TGID_Z_EN: 0
; COMPUTE_PGM_RSRC2:TIDIG_COMP_CNT: 0
	.section	.text._ZN9rocsolver6v33100L10rot_kernelIf19rocblas_complex_numIfEiEEvT1_PT0_S4_S6_S4_T_S7_,"axG",@progbits,_ZN9rocsolver6v33100L10rot_kernelIf19rocblas_complex_numIfEiEEvT1_PT0_S4_S6_S4_T_S7_,comdat
	.globl	_ZN9rocsolver6v33100L10rot_kernelIf19rocblas_complex_numIfEiEEvT1_PT0_S4_S6_S4_T_S7_ ; -- Begin function _ZN9rocsolver6v33100L10rot_kernelIf19rocblas_complex_numIfEiEEvT1_PT0_S4_S6_S4_T_S7_
	.p2align	8
	.type	_ZN9rocsolver6v33100L10rot_kernelIf19rocblas_complex_numIfEiEEvT1_PT0_S4_S6_S4_T_S7_,@function
_ZN9rocsolver6v33100L10rot_kernelIf19rocblas_complex_numIfEiEEvT1_PT0_S4_S6_S4_T_S7_: ; @_ZN9rocsolver6v33100L10rot_kernelIf19rocblas_complex_numIfEiEEvT1_PT0_S4_S6_S4_T_S7_
; %bb.0:
	s_load_b32 s16, s[0:1], 0x0
	s_waitcnt lgkmcnt(0)
	s_cmp_lt_i32 s16, 1
	s_cbranch_scc1 .LBB97_10
; %bb.1:
	s_clause 0x2
	s_load_b32 s10, s[0:1], 0x3c
	s_load_b32 s11, s[0:1], 0x10
	s_load_b128 s[4:7], s[0:1], 0x20
	s_waitcnt lgkmcnt(0)
	s_clause 0x2
	s_load_b32 s7, s[0:1], 0x30
	s_load_b64 s[2:3], s[0:1], 0x8
	s_load_b64 s[8:9], s[0:1], 0x18
	s_and_b32 s0, s10, 0xffff
	s_cmp_eq_u32 s11, 1
	v_mad_u64_u32 v[1:2], null, s15, s0, v[0:1]
	s_cselect_b32 s1, -1, 0
	s_cmp_eq_u32 s4, 1
	s_waitcnt lgkmcnt(0)
	s_mul_i32 s10, s7, s0
	s_cselect_b32 s12, -1, 0
	s_delay_alu instid0(SALU_CYCLE_1) | instskip(NEXT) | instid1(VALU_DEP_1)
	s_and_b32 s1, s1, s12
	v_cmp_gt_i32_e64 s0, s16, v1
	s_and_b32 vcc_lo, exec_lo, s1
	s_mov_b32 s1, -1
	s_cbranch_vccnz .LBB97_6
; %bb.2:
	s_delay_alu instid0(VALU_DEP_1)
	s_and_saveexec_b32 s7, s0
	s_cbranch_execz .LBB97_5
; %bb.3:
	v_mad_i64_i32 v[2:3], null, s4, v1, 0
	v_mad_i64_i32 v[4:5], null, s11, v1, 0
	s_mul_hi_i32 s13, s4, s10
	s_mul_i32 s12, s4, s10
	s_mul_hi_i32 s15, s11, s10
	s_mul_i32 s14, s11, s10
	s_delay_alu instid0(VALU_DEP_2) | instskip(SKIP_1) | instid1(VALU_DEP_2)
	v_lshlrev_b64 v[2:3], 3, v[2:3]
	s_lshl_b64 s[12:13], s[12:13], 3
	v_lshlrev_b64 v[4:5], 3, v[4:5]
	s_lshl_b64 s[14:15], s[14:15], 3
	s_mov_b32 s4, 0
	s_delay_alu instid0(VALU_DEP_2) | instskip(SKIP_1) | instid1(VALU_DEP_3)
	v_add_co_u32 v0, vcc_lo, v2, s8
	v_add_co_ci_u32_e32 v3, vcc_lo, s9, v3, vcc_lo
	v_add_co_u32 v4, vcc_lo, v4, s2
	v_add_co_ci_u32_e32 v5, vcc_lo, s3, v5, vcc_lo
	s_delay_alu instid0(VALU_DEP_4) | instskip(NEXT) | instid1(VALU_DEP_4)
	v_add_co_u32 v2, vcc_lo, v0, 4
	v_add_co_ci_u32_e32 v3, vcc_lo, 0, v3, vcc_lo
	s_delay_alu instid0(VALU_DEP_4) | instskip(NEXT) | instid1(VALU_DEP_4)
	v_add_co_u32 v4, vcc_lo, v4, 4
	v_add_co_ci_u32_e32 v5, vcc_lo, 0, v5, vcc_lo
	v_mov_b32_e32 v0, v1
	.p2align	6
.LBB97_4:                               ; =>This Inner Loop Header: Depth=1
	global_load_b64 v[6:7], v[2:3], off offset:-4
	global_load_b64 v[8:9], v[4:5], off offset:-4
	s_waitcnt vmcnt(0)
	v_dual_mul_f32 v10, s6, v6 :: v_dual_mul_f32 v13, s6, v9
	v_dual_mul_f32 v12, s6, v8 :: v_dual_mul_f32 v11, s6, v7
	v_add_nc_u32_e32 v0, s10, v0
	s_delay_alu instid0(VALU_DEP_3) | instskip(NEXT) | instid1(VALU_DEP_4)
	v_fmac_f32_e32 v10, s5, v8
	v_fma_f32 v7, v7, s5, -v13
	s_delay_alu instid0(VALU_DEP_4)
	v_fma_f32 v6, v6, s5, -v12
	v_fmac_f32_e32 v11, s5, v9
	v_cmp_le_i32_e32 vcc_lo, s16, v0
	global_store_b64 v[2:3], v[6:7], off offset:-4
	global_store_b64 v[4:5], v[10:11], off offset:-4
	v_add_co_u32 v2, s1, v2, s12
	s_delay_alu instid0(VALU_DEP_1) | instskip(SKIP_1) | instid1(VALU_DEP_1)
	v_add_co_ci_u32_e64 v3, s1, s13, v3, s1
	v_add_co_u32 v4, s1, v4, s14
	v_add_co_ci_u32_e64 v5, s1, s15, v5, s1
	s_or_b32 s4, vcc_lo, s4
	s_delay_alu instid0(SALU_CYCLE_1)
	s_and_not1_b32 exec_lo, exec_lo, s4
	s_cbranch_execnz .LBB97_4
.LBB97_5:
	s_or_b32 exec_lo, exec_lo, s7
	s_mov_b32 s1, 0
.LBB97_6:
	s_delay_alu instid0(SALU_CYCLE_1)
	s_and_not1_b32 vcc_lo, exec_lo, s1
	s_cbranch_vccnz .LBB97_10
; %bb.7:
	s_and_saveexec_b32 s1, s0
	s_cbranch_execz .LBB97_10
; %bb.8:
	v_ashrrev_i32_e32 v2, 31, v1
	s_ashr_i32 s11, s10, 31
	s_mov_b32 s1, 0
	s_lshl_b64 s[12:13], s[10:11], 3
	s_delay_alu instid0(VALU_DEP_1)
	v_lshlrev_b64 v[2:3], 3, v[1:2]
	s_set_inst_prefetch_distance 0x1
	.p2align	6
.LBB97_9:                               ; =>This Inner Loop Header: Depth=1
	s_delay_alu instid0(VALU_DEP_1) | instskip(NEXT) | instid1(VALU_DEP_2)
	v_add_co_u32 v4, vcc_lo, s8, v2
	v_add_co_ci_u32_e32 v5, vcc_lo, s9, v3, vcc_lo
	v_add_co_u32 v6, vcc_lo, s2, v2
	v_add_co_ci_u32_e32 v7, vcc_lo, s3, v3, vcc_lo
	v_add_co_u32 v2, vcc_lo, v2, s12
	global_load_b64 v[8:9], v[4:5], off
	global_load_b64 v[10:11], v[6:7], off
	v_add_nc_u32_e32 v1, s10, v1
	v_add_co_ci_u32_e32 v3, vcc_lo, s13, v3, vcc_lo
	s_waitcnt vmcnt(1)
	v_dual_mul_f32 v12, s6, v8 :: v_dual_mul_f32 v13, s6, v9
	s_waitcnt vmcnt(0)
	v_mul_f32_e32 v0, s6, v10
	v_mul_f32_e32 v14, s6, v11
	v_cmp_le_i32_e64 s0, s16, v1
	v_dual_fmac_f32 v12, s5, v10 :: v_dual_fmac_f32 v13, s5, v11
	s_delay_alu instid0(VALU_DEP_4) | instskip(NEXT) | instid1(VALU_DEP_4)
	v_fma_f32 v8, v8, s5, -v0
	v_fma_f32 v9, v9, s5, -v14
	s_delay_alu instid0(VALU_DEP_4)
	s_or_b32 s1, s0, s1
	global_store_b64 v[4:5], v[8:9], off
	global_store_b64 v[6:7], v[12:13], off
	s_and_not1_b32 exec_lo, exec_lo, s1
	s_cbranch_execnz .LBB97_9
.LBB97_10:
	s_set_inst_prefetch_distance 0x2
	s_nop 0
	s_sendmsg sendmsg(MSG_DEALLOC_VGPRS)
	s_endpgm
	.section	.rodata,"a",@progbits
	.p2align	6, 0x0
	.amdhsa_kernel _ZN9rocsolver6v33100L10rot_kernelIf19rocblas_complex_numIfEiEEvT1_PT0_S4_S6_S4_T_S7_
		.amdhsa_group_segment_fixed_size 0
		.amdhsa_private_segment_fixed_size 0
		.amdhsa_kernarg_size 304
		.amdhsa_user_sgpr_count 15
		.amdhsa_user_sgpr_dispatch_ptr 0
		.amdhsa_user_sgpr_queue_ptr 0
		.amdhsa_user_sgpr_kernarg_segment_ptr 1
		.amdhsa_user_sgpr_dispatch_id 0
		.amdhsa_user_sgpr_private_segment_size 0
		.amdhsa_wavefront_size32 1
		.amdhsa_uses_dynamic_stack 0
		.amdhsa_enable_private_segment 0
		.amdhsa_system_sgpr_workgroup_id_x 1
		.amdhsa_system_sgpr_workgroup_id_y 0
		.amdhsa_system_sgpr_workgroup_id_z 0
		.amdhsa_system_sgpr_workgroup_info 0
		.amdhsa_system_vgpr_workitem_id 0
		.amdhsa_next_free_vgpr 15
		.amdhsa_next_free_sgpr 17
		.amdhsa_reserve_vcc 1
		.amdhsa_float_round_mode_32 0
		.amdhsa_float_round_mode_16_64 0
		.amdhsa_float_denorm_mode_32 3
		.amdhsa_float_denorm_mode_16_64 3
		.amdhsa_dx10_clamp 1
		.amdhsa_ieee_mode 1
		.amdhsa_fp16_overflow 0
		.amdhsa_workgroup_processor_mode 1
		.amdhsa_memory_ordered 1
		.amdhsa_forward_progress 0
		.amdhsa_shared_vgpr_count 0
		.amdhsa_exception_fp_ieee_invalid_op 0
		.amdhsa_exception_fp_denorm_src 0
		.amdhsa_exception_fp_ieee_div_zero 0
		.amdhsa_exception_fp_ieee_overflow 0
		.amdhsa_exception_fp_ieee_underflow 0
		.amdhsa_exception_fp_ieee_inexact 0
		.amdhsa_exception_int_div_zero 0
	.end_amdhsa_kernel
	.section	.text._ZN9rocsolver6v33100L10rot_kernelIf19rocblas_complex_numIfEiEEvT1_PT0_S4_S6_S4_T_S7_,"axG",@progbits,_ZN9rocsolver6v33100L10rot_kernelIf19rocblas_complex_numIfEiEEvT1_PT0_S4_S6_S4_T_S7_,comdat
.Lfunc_end97:
	.size	_ZN9rocsolver6v33100L10rot_kernelIf19rocblas_complex_numIfEiEEvT1_PT0_S4_S6_S4_T_S7_, .Lfunc_end97-_ZN9rocsolver6v33100L10rot_kernelIf19rocblas_complex_numIfEiEEvT1_PT0_S4_S6_S4_T_S7_
                                        ; -- End function
	.section	.AMDGPU.csdata,"",@progbits
; Kernel info:
; codeLenInByte = 660
; NumSgprs: 19
; NumVgprs: 15
; ScratchSize: 0
; MemoryBound: 0
; FloatMode: 240
; IeeeMode: 1
; LDSByteSize: 0 bytes/workgroup (compile time only)
; SGPRBlocks: 2
; VGPRBlocks: 1
; NumSGPRsForWavesPerEU: 19
; NumVGPRsForWavesPerEU: 15
; Occupancy: 16
; WaveLimiterHint : 0
; COMPUTE_PGM_RSRC2:SCRATCH_EN: 0
; COMPUTE_PGM_RSRC2:USER_SGPR: 15
; COMPUTE_PGM_RSRC2:TRAP_HANDLER: 0
; COMPUTE_PGM_RSRC2:TGID_X_EN: 1
; COMPUTE_PGM_RSRC2:TGID_Y_EN: 0
; COMPUTE_PGM_RSRC2:TGID_Z_EN: 0
; COMPUTE_PGM_RSRC2:TIDIG_COMP_CNT: 0
	.section	.text._ZN9rocsolver6v33100L11lasr_kernelI19rocblas_complex_numIfEfPS3_iEEv13rocblas_side_14rocblas_pivot_15rocblas_direct_T2_S8_PT0_lSA_lT1_lS8_lS8_,"axG",@progbits,_ZN9rocsolver6v33100L11lasr_kernelI19rocblas_complex_numIfEfPS3_iEEv13rocblas_side_14rocblas_pivot_15rocblas_direct_T2_S8_PT0_lSA_lT1_lS8_lS8_,comdat
	.globl	_ZN9rocsolver6v33100L11lasr_kernelI19rocblas_complex_numIfEfPS3_iEEv13rocblas_side_14rocblas_pivot_15rocblas_direct_T2_S8_PT0_lSA_lT1_lS8_lS8_ ; -- Begin function _ZN9rocsolver6v33100L11lasr_kernelI19rocblas_complex_numIfEfPS3_iEEv13rocblas_side_14rocblas_pivot_15rocblas_direct_T2_S8_PT0_lSA_lT1_lS8_lS8_
	.p2align	8
	.type	_ZN9rocsolver6v33100L11lasr_kernelI19rocblas_complex_numIfEfPS3_iEEv13rocblas_side_14rocblas_pivot_15rocblas_direct_T2_S8_PT0_lSA_lT1_lS8_lS8_,@function
_ZN9rocsolver6v33100L11lasr_kernelI19rocblas_complex_numIfEfPS3_iEEv13rocblas_side_14rocblas_pivot_15rocblas_direct_T2_S8_PT0_lSA_lT1_lS8_lS8_: ; @_ZN9rocsolver6v33100L11lasr_kernelI19rocblas_complex_numIfEfPS3_iEEv13rocblas_side_14rocblas_pivot_15rocblas_direct_T2_S8_PT0_lSA_lT1_lS8_lS8_
; %bb.0:
	s_load_b32 s33, s[0:1], 0x58
	s_waitcnt lgkmcnt(0)
	s_cmp_ge_u32 s15, s33
	s_cbranch_scc1 .LBB98_98
; %bb.1:
	s_clause 0x5
	s_load_b32 s12, s[0:1], 0x48
	s_load_b128 s[20:23], s[0:1], 0x38
	s_load_b64 s[24:25], s[0:1], 0x68
	s_load_b128 s[16:19], s[0:1], 0x0
	s_load_b32 s52, s[0:1], 0x10
	s_load_b32 s28, s[0:1], 0x60
	s_mov_b32 s43, 0
	v_mov_b32_e32 v36, 0
	s_mov_b32 s45, s43
	s_waitcnt lgkmcnt(0)
	s_ashr_i32 s13, s12, 31
	s_lshl_b64 s[2:3], s[22:23], 3
	s_and_b32 s26, s25, 0xffff
	s_add_u32 s25, s20, s2
	s_addc_u32 s53, s21, s3
	s_cmpk_lg_i32 s16, 0x8d
	v_mad_u64_u32 v[1:2], null, s14, s26, v[0:1]
	s_cselect_b32 s27, -1, 0
	s_cmpk_lg_i32 s16, 0x8e
	s_mov_b32 s22, s19
	s_cselect_b32 s30, -1, 0
	s_cmpk_lg_i32 s17, 0x119
	s_cselect_b32 s29, -1, 0
	s_cmpk_lg_i32 s17, 0x11b
	v_mad_i64_i32 v[2:3], null, s12, v1, 0
	s_cselect_b32 s31, -1, 0
	s_cmpk_lg_i32 s17, 0x11a
	s_load_b64 s[16:17], s[0:1], 0x50
	s_cselect_b32 s34, -1, 0
	s_cmpk_lg_i32 s18, 0xab
	s_mul_i32 s26, s28, s26
	s_cselect_b32 s35, -1, 0
	s_or_b32 s36, s27, s29
	s_ashr_i32 s23, s19, 31
	s_or_b32 s4, s36, s35
	s_add_i32 s42, s19, -2
	s_xor_b32 s14, s4, -1
	s_cmpk_lg_i32 s18, 0xac
	s_load_b256 s[4:11], s[0:1], 0x18
	s_cselect_b32 s37, -1, 0
	v_cmp_le_i32_e32 vcc_lo, s19, v1
	s_or_b32 s0, s36, s37
	v_lshlrev_b64 v[2:3], 3, v[2:3]
	s_xor_b32 s18, s0, -1
	s_cmp_gt_i32 s19, 1
	v_cmp_gt_i32_e64 s0, s52, v1
	s_cselect_b32 s54, -1, 0
	s_or_b32 s1, s27, s34
	s_or_b32 s27, s27, s31
	;; [unrolled: 1-line block ×9, first 2 shown]
	s_xor_b32 s55, s29, -1
	s_xor_b32 s56, s1, -1
	;; [unrolled: 1-line block ×5, first 2 shown]
	s_add_i32 s60, s52, -1
	s_xor_b32 s61, s28, -1
	s_add_i32 s44, s52, -2
	s_cmp_gt_i32 s52, 1
	s_mul_i32 s36, s12, s26
	s_cselect_b32 s62, -1, 0
	s_or_b32 s27, s30, s34
	s_or_b32 s30, s30, s31
	;; [unrolled: 1-line block ×4, first 2 shown]
	s_or_b32 s31, s37, vcc_lo
	s_xor_b32 s64, s27, -1
	s_or_b32 s27, s30, s35
	v_add_co_u32 v4, vcc_lo, s25, v2
	s_xor_b32 s65, s27, -1
	s_or_b32 s27, s30, s31
	s_mul_hi_i32 s37, s12, s26
	s_lshl_b64 s[38:39], s[42:43], 2
	s_xor_b32 s63, s34, -1
	s_xor_b32 s66, s27, -1
	s_add_i32 s30, s19, -1
	s_waitcnt lgkmcnt(0)
	s_lshl_b64 s[10:11], s[10:11], 2
	s_lshl_b64 s[6:7], s[6:7], 2
	v_add_co_ci_u32_e32 v3, vcc_lo, s53, v3, vcc_lo
	s_lshl_b64 s[34:35], s[16:17], 3
	s_ashr_i32 s27, s26, 31
	s_lshl_b64 s[36:37], s[36:37], 3
	s_add_u32 s67, s4, s38
	s_addc_u32 s68, s5, s39
	v_add_co_u32 v0, vcc_lo, v4, 12
	s_add_u32 s69, s8, s38
	s_addc_u32 s70, s9, s39
	s_lshl_b64 s[38:39], s[42:43], 3
	v_add_co_ci_u32_e32 v15, vcc_lo, 0, v3, vcc_lo
	v_add_co_u32 v16, vcc_lo, v4, s38
	v_add_co_ci_u32_e32 v17, vcc_lo, s39, v3, vcc_lo
	v_add_co_u32 v18, vcc_lo, v4, 8
	v_add_co_ci_u32_e32 v19, vcc_lo, 0, v3, vcc_lo
	v_ashrrev_i32_e32 v2, 31, v1
	v_add_co_u32 v20, vcc_lo, v4, 4
	s_mov_b32 s31, s43
	v_add_co_ci_u32_e32 v21, vcc_lo, 0, v3, vcc_lo
	s_lshl_b64 s[38:39], s[30:31], 3
	v_lshlrev_b64 v[2:3], 3, v[1:2]
	v_add_co_u32 v22, vcc_lo, v20, s38
	s_mul_i32 s31, s13, s44
	s_mul_hi_u32 s38, s12, s44
	v_add_co_ci_u32_e32 v23, vcc_lo, s39, v21, vcc_lo
	s_add_i32 s41, s38, s31
	s_mul_i32 s40, s12, s44
	v_add_co_u32 v24, vcc_lo, v16, 4
	s_lshl_b64 s[46:47], s[40:41], 3
	s_add_i32 s71, s19, 1
	v_add_co_ci_u32_e32 v25, vcc_lo, 0, v17, vcc_lo
	s_lshl_b64 s[38:39], s[26:27], 3
	s_lshl_b64 s[40:41], s[12:13], 3
	v_add_co_u32 v4, vcc_lo, s25, v2
	s_add_u32 s27, s46, s2
	s_mul_i32 s28, s12, s60
	s_addc_u32 s31, s47, s3
	s_mul_i32 s13, s13, s60
	s_mul_hi_u32 s42, s12, s60
	v_add_co_ci_u32_e32 v5, vcc_lo, s53, v3, vcc_lo
	s_add_u32 s27, s20, s27
	s_addc_u32 s31, s21, s31
	s_add_i32 s47, s42, s13
	s_mov_b32 s46, s28
	v_add_co_u32 v26, vcc_lo, v4, 4
	s_lshl_b64 s[42:43], s[46:47], 3
	v_add_co_ci_u32_e32 v27, vcc_lo, 0, v5, vcc_lo
	s_add_u32 s13, s42, s2
	v_add_co_u32 v28, vcc_lo, s27, v2
	s_addc_u32 s27, s43, s3
	s_add_u32 s13, s20, s13
	v_add_co_ci_u32_e32 v29, vcc_lo, s31, v3, vcc_lo
	s_addc_u32 s27, s21, s27
	s_lshl_b64 s[42:43], s[44:45], 2
	v_add_co_u32 v4, vcc_lo, s13, v2
	s_add_u32 s13, s4, s42
	v_add_co_ci_u32_e32 v5, vcc_lo, s27, v3, vcc_lo
	s_addc_u32 s27, s5, s43
	s_add_u32 s31, s8, s42
	s_addc_u32 s72, s9, s43
	s_add_u32 s2, s2, s40
	;; [unrolled: 2-line block ×3, first 2 shown]
	s_addc_u32 s3, s21, s3
	v_add_co_u32 v2, vcc_lo, s2, v2
	v_add_co_ci_u32_e32 v3, vcc_lo, s3, v3, vcc_lo
	v_add_co_u32 v30, vcc_lo, v4, 4
	v_add_co_ci_u32_e32 v31, vcc_lo, 0, v5, vcc_lo
	s_delay_alu instid0(VALU_DEP_4) | instskip(NEXT) | instid1(VALU_DEP_4)
	v_add_co_u32 v32, vcc_lo, v2, 4
	v_add_co_ci_u32_e32 v33, vcc_lo, 0, v3, vcc_lo
	v_add_co_u32 v34, vcc_lo, v28, 4
	v_cmp_gt_i32_e64 s1, s19, v1
	v_add_co_ci_u32_e32 v35, vcc_lo, 0, v29, vcc_lo
	s_add_i32 s73, s52, 1
	s_sub_u32 s74, 0, s40
	s_mul_hi_i32 s29, s12, s60
	s_subb_u32 s75, 0, s41
	s_branch .LBB98_4
.LBB98_2:                               ;   in Loop: Header=BB98_4 Depth=1
	s_or_b32 exec_lo, exec_lo, s42
.LBB98_3:                               ;   in Loop: Header=BB98_4 Depth=1
	s_add_i32 s15, s15, s24
	s_delay_alu instid0(SALU_CYCLE_1)
	s_cmp_ge_u32 s15, s33
	s_cbranch_scc1 .LBB98_98
.LBB98_4:                               ; =>This Loop Header: Depth=1
                                        ;     Child Loop BB98_8 Depth 2
                                        ;       Child Loop BB98_9 Depth 3
                                        ;     Child Loop BB98_16 Depth 2
                                        ;       Child Loop BB98_17 Depth 3
	;; [unrolled: 2-line block ×12, first 2 shown]
	s_mul_i32 s2, s7, s15
	s_mul_hi_u32 s3, s6, s15
	s_mul_hi_u32 s76, s34, s15
	s_add_i32 s50, s3, s2
	s_mul_i32 s2, s11, s15
	s_mul_hi_u32 s3, s10, s15
	s_mul_i32 s80, s6, s15
	s_add_i32 s51, s3, s2
	s_mul_i32 s2, s35, s15
	s_mul_i32 s81, s10, s15
	s_add_i32 s76, s76, s2
	s_add_u32 s20, s4, s80
	s_addc_u32 s21, s5, s50
	s_mul_i32 s2, s15, s17
	s_mul_hi_u32 s3, s15, s16
	s_add_u32 s42, s8, s81
	s_addc_u32 s43, s9, s51
	s_add_i32 s3, s3, s2
	s_mul_i32 s2, s15, s16
	s_mul_i32 s79, s34, s15
	s_lshl_b64 s[2:3], s[2:3], 3
	s_delay_alu instid0(SALU_CYCLE_1)
	s_add_u32 s77, s25, s2
	s_addc_u32 s78, s53, s3
	s_and_not1_b32 vcc_lo, exec_lo, s14
	s_mov_b32 s2, -1
	s_cbranch_vccnz .LBB98_11
; %bb.5:                                ;   in Loop: Header=BB98_4 Depth=1
	s_and_saveexec_b32 s46, s0
	s_cbranch_execz .LBB98_10
; %bb.6:                                ;   in Loop: Header=BB98_4 Depth=1
	v_add_co_u32 v2, vcc_lo, v0, s79
	v_add_co_ci_u32_e32 v3, vcc_lo, s76, v15, vcc_lo
	s_lshl_b64 s[2:3], s[22:23], 3
	v_mov_b32_e32 v10, v1
	s_add_u32 s47, s77, s2
	s_addc_u32 s48, s78, s3
	s_mov_b32 s49, 0
	s_branch .LBB98_8
.LBB98_7:                               ;   in Loop: Header=BB98_8 Depth=2
	v_add_nc_u32_e32 v10, s26, v10
	v_add_co_u32 v4, vcc_lo, s47, v4
	v_add_co_ci_u32_e32 v5, vcc_lo, s48, v5, vcc_lo
	s_delay_alu instid0(VALU_DEP_3) | instskip(SKIP_1) | instid1(VALU_DEP_1)
	v_cmp_le_i32_e32 vcc_lo, s52, v10
	v_add_co_u32 v2, s2, v2, s36
	v_add_co_ci_u32_e64 v3, s2, s37, v3, s2
	s_or_b32 s49, vcc_lo, s49
	s_waitcnt vmcnt(0)
	global_store_b64 v[4:5], v[6:7], off offset:-8
	s_and_not1_b32 exec_lo, exec_lo, s49
	s_cbranch_execz .LBB98_10
.LBB98_8:                               ;   Parent Loop BB98_4 Depth=1
                                        ; =>  This Loop Header: Depth=2
                                        ;       Child Loop BB98_9 Depth 3
	v_mad_i64_i32 v[4:5], null, v10, s12, 0
	v_dual_mov_b32 v9, v3 :: v_dual_mov_b32 v8, v2
	s_mov_b64 s[2:3], s[20:21]
	s_mov_b64 s[44:45], s[42:43]
	s_mov_b32 s82, s30
	s_delay_alu instid0(VALU_DEP_2) | instskip(NEXT) | instid1(VALU_DEP_1)
	v_lshlrev_b64 v[4:5], 3, v[4:5]
	v_add_co_u32 v6, vcc_lo, s77, v4
	s_delay_alu instid0(VALU_DEP_2)
	v_add_co_ci_u32_e32 v7, vcc_lo, s78, v5, vcc_lo
	s_and_not1_b32 vcc_lo, exec_lo, s54
	global_load_b64 v[6:7], v[6:7], off
	s_cbranch_vccnz .LBB98_7
	.p2align	6
.LBB98_9:                               ;   Parent Loop BB98_4 Depth=1
                                        ;     Parent Loop BB98_8 Depth=2
                                        ; =>    This Inner Loop Header: Depth=3
	global_load_b32 v37, v36, s[44:45]
	global_load_b64 v[11:12], v[8:9], off offset:-4
	global_load_b32 v38, v36, s[2:3]
	s_add_i32 s82, s82, -1
	s_add_u32 s44, s44, 4
	s_addc_u32 s45, s45, 0
	s_add_u32 s2, s2, 4
	s_addc_u32 s3, s3, 0
	s_cmp_eq_u32 s82, 0
	s_waitcnt vmcnt(1)
	v_dual_mul_f32 v39, v6, v37 :: v_dual_mul_f32 v14, v37, v12
	v_mul_f32_e32 v13, v37, v11
	v_mul_f32_e32 v37, v7, v37
	s_waitcnt vmcnt(0)
	s_delay_alu instid0(VALU_DEP_3) | instskip(NEXT) | instid1(VALU_DEP_3)
	v_fmac_f32_e32 v14, v7, v38
	v_fmac_f32_e32 v13, v6, v38
	v_fma_f32 v6, v38, v11, -v39
	v_fma_f32 v7, v38, v12, -v37
	global_store_b64 v[8:9], v[13:14], off offset:-12
	v_add_co_u32 v8, vcc_lo, v8, 8
	v_add_co_ci_u32_e32 v9, vcc_lo, 0, v9, vcc_lo
	s_cbranch_scc0 .LBB98_9
	s_branch .LBB98_7
.LBB98_10:                              ;   in Loop: Header=BB98_4 Depth=1
	s_or_b32 exec_lo, exec_lo, s46
	s_mov_b32 s2, 0
.LBB98_11:                              ;   in Loop: Header=BB98_4 Depth=1
	s_delay_alu instid0(SALU_CYCLE_1)
	s_and_not1_b32 vcc_lo, exec_lo, s2
	s_cbranch_vccnz .LBB98_3
; %bb.12:                               ;   in Loop: Header=BB98_4 Depth=1
	s_add_u32 s44, s67, s80
	s_addc_u32 s45, s68, s50
	s_add_u32 s46, s69, s81
	s_addc_u32 s47, s70, s51
	s_and_not1_b32 vcc_lo, exec_lo, s18
	s_mov_b32 s2, -1
	s_cbranch_vccnz .LBB98_19
; %bb.13:                               ;   in Loop: Header=BB98_4 Depth=1
	s_and_saveexec_b32 s82, s0
	s_cbranch_execz .LBB98_18
; %bb.14:                               ;   in Loop: Header=BB98_4 Depth=1
	v_add_co_u32 v2, vcc_lo, v16, s79
	v_add_co_ci_u32_e32 v3, vcc_lo, s76, v17, vcc_lo
	s_lshl_b64 s[2:3], s[22:23], 3
	v_mov_b32_e32 v10, v1
	s_add_u32 s83, s77, s2
	s_addc_u32 s84, s78, s3
	s_mov_b32 s85, 0
	s_branch .LBB98_16
.LBB98_15:                              ;   in Loop: Header=BB98_16 Depth=2
	v_add_nc_u32_e32 v10, s26, v10
	v_add_co_u32 v4, vcc_lo, s77, v4
	v_add_co_ci_u32_e32 v5, vcc_lo, s78, v5, vcc_lo
	s_delay_alu instid0(VALU_DEP_3) | instskip(SKIP_1) | instid1(VALU_DEP_1)
	v_cmp_le_i32_e32 vcc_lo, s52, v10
	v_add_co_u32 v2, s2, v2, s36
	v_add_co_ci_u32_e64 v3, s2, s37, v3, s2
	s_or_b32 s85, vcc_lo, s85
	s_waitcnt vmcnt(0)
	global_store_b64 v[4:5], v[6:7], off
	s_and_not1_b32 exec_lo, exec_lo, s85
	s_cbranch_execz .LBB98_18
.LBB98_16:                              ;   Parent Loop BB98_4 Depth=1
                                        ; =>  This Loop Header: Depth=2
                                        ;       Child Loop BB98_17 Depth 3
	v_mad_i64_i32 v[4:5], null, v10, s12, 0
	v_dual_mov_b32 v9, v3 :: v_dual_mov_b32 v8, v2
	s_mov_b64 s[2:3], s[46:47]
	s_mov_b64 s[48:49], s[44:45]
	s_mov_b32 s86, s30
	s_delay_alu instid0(VALU_DEP_2) | instskip(NEXT) | instid1(VALU_DEP_1)
	v_lshlrev_b64 v[4:5], 3, v[4:5]
	v_add_co_u32 v6, vcc_lo, s83, v4
	s_delay_alu instid0(VALU_DEP_2)
	v_add_co_ci_u32_e32 v7, vcc_lo, s84, v5, vcc_lo
	s_and_not1_b32 vcc_lo, exec_lo, s54
	global_load_b64 v[6:7], v[6:7], off offset:-8
	s_cbranch_vccnz .LBB98_15
	.p2align	6
.LBB98_17:                              ;   Parent Loop BB98_4 Depth=1
                                        ;     Parent Loop BB98_16 Depth=2
                                        ; =>    This Inner Loop Header: Depth=3
	global_load_b32 v13, v36, s[2:3]
	global_load_b64 v[11:12], v[8:9], off
	global_load_b32 v14, v36, s[48:49]
	s_waitcnt vmcnt(3)
	v_dual_mov_b32 v37, v7 :: v_dual_mov_b32 v38, v6
	s_add_i32 s86, s86, -1
	s_add_u32 s48, s48, -4
	s_addc_u32 s49, s49, -1
	s_add_u32 s2, s2, -4
	s_addc_u32 s3, s3, -1
	s_cmp_eq_u32 s86, 0
	s_waitcnt vmcnt(1)
	v_mul_f32_e32 v40, v13, v12
	s_waitcnt vmcnt(0)
	v_mul_f32_e32 v7, v14, v12
	v_mul_f32_e32 v6, v14, v11
	s_delay_alu instid0(VALU_DEP_3) | instskip(NEXT) | instid1(VALU_DEP_3)
	v_fma_f32 v12, v37, v14, -v40
	v_fmac_f32_e32 v7, v37, v13
	s_delay_alu instid0(VALU_DEP_3) | instskip(NEXT) | instid1(VALU_DEP_1)
	v_dual_mul_f32 v39, v13, v11 :: v_dual_fmac_f32 v6, v38, v13
	v_fma_f32 v11, v38, v14, -v39
	global_store_b64 v[8:9], v[11:12], off offset:8
	v_add_co_u32 v8, vcc_lo, v8, -8
	v_add_co_ci_u32_e32 v9, vcc_lo, -1, v9, vcc_lo
	s_cbranch_scc0 .LBB98_17
	s_branch .LBB98_15
.LBB98_18:                              ;   in Loop: Header=BB98_4 Depth=1
	s_or_b32 exec_lo, exec_lo, s82
	s_mov_b32 s2, 0
.LBB98_19:                              ;   in Loop: Header=BB98_4 Depth=1
	s_delay_alu instid0(SALU_CYCLE_1)
	s_and_not1_b32 vcc_lo, exec_lo, s2
	s_cbranch_vccnz .LBB98_3
; %bb.20:                               ;   in Loop: Header=BB98_4 Depth=1
	s_and_not1_b32 vcc_lo, exec_lo, s55
	s_mov_b32 s2, -1
	s_cbranch_vccnz .LBB98_27
; %bb.21:                               ;   in Loop: Header=BB98_4 Depth=1
	s_and_saveexec_b32 s82, s0
	s_cbranch_execz .LBB98_26
; %bb.22:                               ;   in Loop: Header=BB98_4 Depth=1
	v_add_co_u32 v2, vcc_lo, v18, s79
	v_add_co_ci_u32_e32 v3, vcc_lo, s76, v19, vcc_lo
	v_mov_b32_e32 v10, v1
	s_mov_b32 s83, 0
	s_branch .LBB98_24
.LBB98_23:                              ;   in Loop: Header=BB98_24 Depth=2
	v_add_nc_u32_e32 v10, s26, v10
	v_add_co_u32 v2, s2, v2, s36
	s_delay_alu instid0(VALU_DEP_1) | instskip(NEXT) | instid1(VALU_DEP_3)
	v_add_co_ci_u32_e64 v3, s2, s37, v3, s2
	v_cmp_le_i32_e32 vcc_lo, s52, v10
	s_waitcnt vmcnt(0)
	global_store_b64 v[4:5], v[6:7], off
	s_or_b32 s83, vcc_lo, s83
	s_delay_alu instid0(SALU_CYCLE_1)
	s_and_not1_b32 exec_lo, exec_lo, s83
	s_cbranch_execz .LBB98_26
.LBB98_24:                              ;   Parent Loop BB98_4 Depth=1
                                        ; =>  This Loop Header: Depth=2
                                        ;       Child Loop BB98_25 Depth 3
	s_delay_alu instid0(VALU_DEP_1) | instskip(SKIP_4) | instid1(VALU_DEP_2)
	v_mad_i64_i32 v[4:5], null, v10, s12, 0
	v_dual_mov_b32 v9, v3 :: v_dual_mov_b32 v8, v2
	s_mov_b32 s84, s30
	s_mov_b64 s[2:3], s[20:21]
	s_mov_b64 s[48:49], s[42:43]
	v_lshlrev_b64 v[4:5], 3, v[4:5]
	s_delay_alu instid0(VALU_DEP_1) | instskip(NEXT) | instid1(VALU_DEP_2)
	v_add_co_u32 v4, vcc_lo, s77, v4
	v_add_co_ci_u32_e32 v5, vcc_lo, s78, v5, vcc_lo
	s_and_not1_b32 vcc_lo, exec_lo, s54
	global_load_b64 v[6:7], v[4:5], off
	s_cbranch_vccnz .LBB98_23
	.p2align	6
.LBB98_25:                              ;   Parent Loop BB98_4 Depth=1
                                        ;     Parent Loop BB98_24 Depth=2
                                        ; =>    This Inner Loop Header: Depth=3
	s_clause 0x1
	global_load_b32 v13, v36, s[48:49]
	global_load_b32 v14, v36, s[2:3]
	global_load_b64 v[11:12], v[8:9], off
	s_waitcnt vmcnt(3)
	v_dual_mov_b32 v37, v7 :: v_dual_mov_b32 v38, v6
	s_add_u32 s48, s48, 4
	s_addc_u32 s49, s49, 0
	s_add_u32 s2, s2, 4
	s_addc_u32 s3, s3, 0
	s_add_i32 s84, s84, -1
	s_delay_alu instid0(SALU_CYCLE_1)
	s_cmp_eq_u32 s84, 0
	s_waitcnt vmcnt(2)
	v_mul_f32_e32 v39, v38, v13
	v_mul_f32_e32 v40, v37, v13
	s_waitcnt vmcnt(0)
	v_mul_f32_e32 v6, v13, v11
	v_mul_f32_e32 v7, v13, v12
	v_fma_f32 v11, v14, v11, -v39
	v_fma_f32 v12, v14, v12, -v40
	s_delay_alu instid0(VALU_DEP_4) | instskip(NEXT) | instid1(VALU_DEP_4)
	v_fmac_f32_e32 v6, v38, v14
	v_fmac_f32_e32 v7, v37, v14
	global_store_b64 v[8:9], v[11:12], off
	v_add_co_u32 v8, vcc_lo, v8, 8
	v_add_co_ci_u32_e32 v9, vcc_lo, 0, v9, vcc_lo
	s_cbranch_scc0 .LBB98_25
	s_branch .LBB98_23
.LBB98_26:                              ;   in Loop: Header=BB98_4 Depth=1
	s_or_b32 exec_lo, exec_lo, s82
	s_mov_b32 s2, 0
.LBB98_27:                              ;   in Loop: Header=BB98_4 Depth=1
	s_delay_alu instid0(SALU_CYCLE_1)
	s_and_not1_b32 vcc_lo, exec_lo, s2
	s_cbranch_vccnz .LBB98_3
; %bb.28:                               ;   in Loop: Header=BB98_4 Depth=1
	s_and_not1_b32 vcc_lo, exec_lo, s56
	s_mov_b32 s2, -1
	s_cbranch_vccnz .LBB98_35
; %bb.29:                               ;   in Loop: Header=BB98_4 Depth=1
	s_and_saveexec_b32 s82, s0
	s_cbranch_execz .LBB98_34
; %bb.30:                               ;   in Loop: Header=BB98_4 Depth=1
	v_add_co_u32 v2, vcc_lo, v22, s79
	v_add_co_ci_u32_e32 v3, vcc_lo, s76, v23, vcc_lo
	v_mov_b32_e32 v10, v1
	s_mov_b32 s83, 0
	s_branch .LBB98_32
.LBB98_31:                              ;   in Loop: Header=BB98_32 Depth=2
	v_add_nc_u32_e32 v10, s26, v10
	v_add_co_u32 v2, s2, v2, s36
	s_delay_alu instid0(VALU_DEP_1) | instskip(NEXT) | instid1(VALU_DEP_3)
	v_add_co_ci_u32_e64 v3, s2, s37, v3, s2
	v_cmp_le_i32_e32 vcc_lo, s52, v10
	s_waitcnt vmcnt(0)
	global_store_b64 v[4:5], v[6:7], off
	s_or_b32 s83, vcc_lo, s83
	s_delay_alu instid0(SALU_CYCLE_1)
	s_and_not1_b32 exec_lo, exec_lo, s83
	s_cbranch_execz .LBB98_34
.LBB98_32:                              ;   Parent Loop BB98_4 Depth=1
                                        ; =>  This Loop Header: Depth=2
                                        ;       Child Loop BB98_33 Depth 3
	s_delay_alu instid0(VALU_DEP_1) | instskip(SKIP_4) | instid1(VALU_DEP_2)
	v_mad_i64_i32 v[4:5], null, v10, s12, 0
	v_dual_mov_b32 v9, v3 :: v_dual_mov_b32 v8, v2
	s_mov_b64 s[2:3], s[46:47]
	s_mov_b64 s[48:49], s[44:45]
	s_mov_b32 s84, s71
	v_lshlrev_b64 v[4:5], 3, v[4:5]
	s_delay_alu instid0(VALU_DEP_1) | instskip(NEXT) | instid1(VALU_DEP_2)
	v_add_co_u32 v4, vcc_lo, s77, v4
	v_add_co_ci_u32_e32 v5, vcc_lo, s78, v5, vcc_lo
	s_and_not1_b32 vcc_lo, exec_lo, s54
	global_load_b64 v[6:7], v[4:5], off
	s_cbranch_vccnz .LBB98_31
	.p2align	6
.LBB98_33:                              ;   Parent Loop BB98_4 Depth=1
                                        ;     Parent Loop BB98_32 Depth=2
                                        ; =>    This Inner Loop Header: Depth=3
	s_clause 0x1
	global_load_b32 v13, v36, s[2:3]
	global_load_b32 v14, v36, s[48:49]
	global_load_b64 v[11:12], v[8:9], off offset:-4
	s_waitcnt vmcnt(3)
	v_dual_mov_b32 v37, v7 :: v_dual_mov_b32 v38, v6
	s_add_i32 s84, s84, -1
	s_add_u32 s48, s48, -4
	s_addc_u32 s49, s49, -1
	s_add_u32 s2, s2, -4
	s_addc_u32 s3, s3, -1
	s_cmp_lt_u32 s84, 3
	s_waitcnt vmcnt(2)
	v_mul_f32_e32 v39, v38, v13
	v_mul_f32_e32 v40, v37, v13
	s_waitcnt vmcnt(0)
	v_mul_f32_e32 v6, v13, v11
	v_mul_f32_e32 v7, v13, v12
	v_fma_f32 v11, v14, v11, -v39
	v_fma_f32 v12, v14, v12, -v40
	s_delay_alu instid0(VALU_DEP_4) | instskip(NEXT) | instid1(VALU_DEP_4)
	v_fmac_f32_e32 v6, v38, v14
	v_fmac_f32_e32 v7, v37, v14
	global_store_b64 v[8:9], v[11:12], off offset:-4
	v_add_co_u32 v8, vcc_lo, v8, -8
	v_add_co_ci_u32_e32 v9, vcc_lo, -1, v9, vcc_lo
	s_cbranch_scc0 .LBB98_33
	s_branch .LBB98_31
.LBB98_34:                              ;   in Loop: Header=BB98_4 Depth=1
	s_or_b32 exec_lo, exec_lo, s82
	s_mov_b32 s2, 0
.LBB98_35:                              ;   in Loop: Header=BB98_4 Depth=1
	s_delay_alu instid0(SALU_CYCLE_1)
	s_and_not1_b32 vcc_lo, exec_lo, s2
	s_cbranch_vccnz .LBB98_3
; %bb.36:                               ;   in Loop: Header=BB98_4 Depth=1
	s_and_not1_b32 vcc_lo, exec_lo, s57
	s_mov_b32 s2, -1
	s_cbranch_vccnz .LBB98_43
; %bb.37:                               ;   in Loop: Header=BB98_4 Depth=1
	s_and_saveexec_b32 s82, s0
	s_cbranch_execz .LBB98_42
; %bb.38:                               ;   in Loop: Header=BB98_4 Depth=1
	v_add_co_u32 v2, vcc_lo, v20, s79
	v_add_co_ci_u32_e32 v3, vcc_lo, s76, v21, vcc_lo
	s_lshl_b64 s[2:3], s[22:23], 3
	v_mov_b32_e32 v10, v1
	s_add_u32 s83, s77, s2
	s_addc_u32 s84, s78, s3
	s_mov_b32 s85, 0
	s_branch .LBB98_40
.LBB98_39:                              ;   in Loop: Header=BB98_40 Depth=2
	v_add_nc_u32_e32 v10, s26, v10
	v_add_co_u32 v2, s2, v2, s36
	s_delay_alu instid0(VALU_DEP_1) | instskip(NEXT) | instid1(VALU_DEP_3)
	v_add_co_ci_u32_e64 v3, s2, s37, v3, s2
	v_cmp_le_i32_e32 vcc_lo, s52, v10
	s_waitcnt vmcnt(0)
	global_store_b64 v[4:5], v[6:7], off offset:-8
	s_or_b32 s85, vcc_lo, s85
	s_delay_alu instid0(SALU_CYCLE_1)
	s_and_not1_b32 exec_lo, exec_lo, s85
	s_cbranch_execz .LBB98_42
.LBB98_40:                              ;   Parent Loop BB98_4 Depth=1
                                        ; =>  This Loop Header: Depth=2
                                        ;       Child Loop BB98_41 Depth 3
	v_mad_i64_i32 v[4:5], null, v10, s12, 0
	v_dual_mov_b32 v9, v3 :: v_dual_mov_b32 v8, v2
	s_mov_b64 s[2:3], s[42:43]
	s_mov_b64 s[48:49], s[20:21]
	s_mov_b32 s86, s30
	s_delay_alu instid0(VALU_DEP_2) | instskip(NEXT) | instid1(VALU_DEP_1)
	v_lshlrev_b64 v[4:5], 3, v[4:5]
	v_add_co_u32 v4, vcc_lo, s83, v4
	s_delay_alu instid0(VALU_DEP_2)
	v_add_co_ci_u32_e32 v5, vcc_lo, s84, v5, vcc_lo
	s_and_not1_b32 vcc_lo, exec_lo, s54
	global_load_b64 v[6:7], v[4:5], off offset:-8
	s_cbranch_vccnz .LBB98_39
	.p2align	6
.LBB98_41:                              ;   Parent Loop BB98_4 Depth=1
                                        ;     Parent Loop BB98_40 Depth=2
                                        ; =>    This Inner Loop Header: Depth=3
	global_load_b64 v[11:12], v[8:9], off offset:-4
	s_clause 0x1
	global_load_b32 v37, v36, s[48:49]
	global_load_b32 v38, v36, s[2:3]
	s_add_i32 s86, s86, -1
	s_add_u32 s48, s48, 4
	s_addc_u32 s49, s49, 0
	s_add_u32 s2, s2, 4
	s_addc_u32 s3, s3, 0
	s_cmp_eq_u32 s86, 0
	s_waitcnt vmcnt(1)
	v_mul_f32_e32 v13, v37, v11
	s_waitcnt vmcnt(0)
	v_dual_mul_f32 v14, v37, v12 :: v_dual_mul_f32 v11, v38, v11
	v_mul_f32_e32 v12, v38, v12
	s_delay_alu instid0(VALU_DEP_3) | instskip(NEXT) | instid1(VALU_DEP_3)
	v_fmac_f32_e32 v13, v6, v38
	v_fmac_f32_e32 v14, v7, v38
	s_delay_alu instid0(VALU_DEP_4) | instskip(NEXT) | instid1(VALU_DEP_4)
	v_fma_f32 v6, v6, v37, -v11
	v_fma_f32 v7, v7, v37, -v12
	global_store_b64 v[8:9], v[13:14], off offset:-4
	v_add_co_u32 v8, vcc_lo, v8, 8
	v_add_co_ci_u32_e32 v9, vcc_lo, 0, v9, vcc_lo
	s_cbranch_scc0 .LBB98_41
	s_branch .LBB98_39
.LBB98_42:                              ;   in Loop: Header=BB98_4 Depth=1
	s_or_b32 exec_lo, exec_lo, s82
	s_mov_b32 s2, 0
.LBB98_43:                              ;   in Loop: Header=BB98_4 Depth=1
	s_delay_alu instid0(SALU_CYCLE_1)
	s_and_not1_b32 vcc_lo, exec_lo, s2
	s_cbranch_vccnz .LBB98_3
; %bb.44:                               ;   in Loop: Header=BB98_4 Depth=1
	s_and_not1_b32 vcc_lo, exec_lo, s58
	s_mov_b32 s2, -1
	s_cbranch_vccnz .LBB98_51
; %bb.45:                               ;   in Loop: Header=BB98_4 Depth=1
	s_and_saveexec_b32 s82, s0
	s_cbranch_execz .LBB98_50
; %bb.46:                               ;   in Loop: Header=BB98_4 Depth=1
	v_add_co_u32 v2, vcc_lo, v24, s79
	v_add_co_ci_u32_e32 v3, vcc_lo, s76, v25, vcc_lo
	s_lshl_b64 s[2:3], s[22:23], 3
	v_mov_b32_e32 v10, v1
	s_add_u32 s83, s77, s2
	s_addc_u32 s84, s78, s3
	s_mov_b32 s85, 0
	s_branch .LBB98_48
.LBB98_47:                              ;   in Loop: Header=BB98_48 Depth=2
	v_add_nc_u32_e32 v10, s26, v10
	v_add_co_u32 v2, s2, v2, s36
	s_delay_alu instid0(VALU_DEP_1) | instskip(NEXT) | instid1(VALU_DEP_3)
	v_add_co_ci_u32_e64 v3, s2, s37, v3, s2
	v_cmp_le_i32_e32 vcc_lo, s52, v10
	s_waitcnt vmcnt(0)
	global_store_b64 v[4:5], v[6:7], off offset:-8
	s_or_b32 s85, vcc_lo, s85
	s_delay_alu instid0(SALU_CYCLE_1)
	s_and_not1_b32 exec_lo, exec_lo, s85
	s_cbranch_execz .LBB98_50
.LBB98_48:                              ;   Parent Loop BB98_4 Depth=1
                                        ; =>  This Loop Header: Depth=2
                                        ;       Child Loop BB98_49 Depth 3
	v_mad_i64_i32 v[4:5], null, v10, s12, 0
	v_dual_mov_b32 v9, v3 :: v_dual_mov_b32 v8, v2
	s_mov_b64 s[2:3], s[46:47]
	s_mov_b64 s[48:49], s[44:45]
	s_mov_b32 s86, s30
	s_delay_alu instid0(VALU_DEP_2) | instskip(NEXT) | instid1(VALU_DEP_1)
	v_lshlrev_b64 v[4:5], 3, v[4:5]
	v_add_co_u32 v4, vcc_lo, s83, v4
	s_delay_alu instid0(VALU_DEP_2)
	v_add_co_ci_u32_e32 v5, vcc_lo, s84, v5, vcc_lo
	s_and_not1_b32 vcc_lo, exec_lo, s54
	global_load_b64 v[6:7], v[4:5], off offset:-8
	s_cbranch_vccnz .LBB98_47
	.p2align	6
.LBB98_49:                              ;   Parent Loop BB98_4 Depth=1
                                        ;     Parent Loop BB98_48 Depth=2
                                        ; =>    This Inner Loop Header: Depth=3
	global_load_b64 v[11:12], v[8:9], off offset:-4
	s_clause 0x1
	global_load_b32 v37, v36, s[48:49]
	global_load_b32 v38, v36, s[2:3]
	s_add_i32 s86, s86, -1
	s_add_u32 s48, s48, -4
	s_addc_u32 s49, s49, -1
	s_add_u32 s2, s2, -4
	s_addc_u32 s3, s3, -1
	s_cmp_eq_u32 s86, 0
	s_waitcnt vmcnt(1)
	v_mul_f32_e32 v13, v37, v11
	s_waitcnt vmcnt(0)
	v_dual_mul_f32 v14, v37, v12 :: v_dual_mul_f32 v11, v38, v11
	v_mul_f32_e32 v12, v38, v12
	s_delay_alu instid0(VALU_DEP_3) | instskip(NEXT) | instid1(VALU_DEP_3)
	v_fmac_f32_e32 v13, v6, v38
	v_fmac_f32_e32 v14, v7, v38
	s_delay_alu instid0(VALU_DEP_4) | instskip(NEXT) | instid1(VALU_DEP_4)
	v_fma_f32 v6, v6, v37, -v11
	v_fma_f32 v7, v7, v37, -v12
	global_store_b64 v[8:9], v[13:14], off offset:-4
	v_add_co_u32 v8, vcc_lo, v8, -8
	v_add_co_ci_u32_e32 v9, vcc_lo, -1, v9, vcc_lo
	s_cbranch_scc0 .LBB98_49
	s_branch .LBB98_47
.LBB98_50:                              ;   in Loop: Header=BB98_4 Depth=1
	s_or_b32 exec_lo, exec_lo, s82
	s_mov_b32 s2, 0
.LBB98_51:                              ;   in Loop: Header=BB98_4 Depth=1
	s_delay_alu instid0(SALU_CYCLE_1)
	s_and_not1_b32 vcc_lo, exec_lo, s2
	s_cbranch_vccnz .LBB98_3
; %bb.52:                               ;   in Loop: Header=BB98_4 Depth=1
	v_add_co_u32 v2, vcc_lo, v26, s79
	v_add_co_ci_u32_e32 v3, vcc_lo, s76, v27, vcc_lo
	s_and_not1_b32 vcc_lo, exec_lo, s59
	s_mov_b32 s2, -1
	s_cbranch_vccnz .LBB98_59
; %bb.53:                               ;   in Loop: Header=BB98_4 Depth=1
	s_and_saveexec_b32 s46, s1
	s_cbranch_execz .LBB98_58
; %bb.54:                               ;   in Loop: Header=BB98_4 Depth=1
	s_lshl_b64 s[2:3], s[28:29], 3
	v_dual_mov_b32 v5, v3 :: v_dual_mov_b32 v4, v2
	v_mov_b32_e32 v6, v1
	s_add_u32 s47, s77, s2
	s_addc_u32 s48, s78, s3
	s_mov_b32 s49, 0
	s_branch .LBB98_56
.LBB98_55:                              ;   in Loop: Header=BB98_56 Depth=2
	v_add_nc_u32_e32 v6, s26, v6
	v_add_co_u32 v7, vcc_lo, s47, v7
	v_add_co_ci_u32_e32 v8, vcc_lo, s48, v8, vcc_lo
	s_delay_alu instid0(VALU_DEP_3) | instskip(SKIP_1) | instid1(VALU_DEP_1)
	v_cmp_le_i32_e32 vcc_lo, s19, v6
	v_add_co_u32 v4, s2, v4, s38
	v_add_co_ci_u32_e64 v5, s2, s39, v5, s2
	s_or_b32 s49, vcc_lo, s49
	s_waitcnt vmcnt(0)
	global_store_b64 v[7:8], v[9:10], off
	s_and_not1_b32 exec_lo, exec_lo, s49
	s_cbranch_execz .LBB98_58
.LBB98_56:                              ;   Parent Loop BB98_4 Depth=1
                                        ; =>  This Loop Header: Depth=2
                                        ;       Child Loop BB98_57 Depth 3
	v_ashrrev_i32_e32 v7, 31, v6
	v_dual_mov_b32 v12, v5 :: v_dual_mov_b32 v11, v4
	s_mov_b64 s[2:3], s[42:43]
	s_mov_b64 s[44:45], s[20:21]
	s_delay_alu instid0(VALU_DEP_2) | instskip(SKIP_1) | instid1(VALU_DEP_1)
	v_lshlrev_b64 v[7:8], 3, v[6:7]
	s_mov_b32 s82, s60
	v_add_co_u32 v9, vcc_lo, s77, v7
	s_delay_alu instid0(VALU_DEP_2)
	v_add_co_ci_u32_e32 v10, vcc_lo, s78, v8, vcc_lo
	s_and_not1_b32 vcc_lo, exec_lo, s62
	global_load_b64 v[9:10], v[9:10], off
	s_cbranch_vccnz .LBB98_55
	.p2align	6
.LBB98_57:                              ;   Parent Loop BB98_4 Depth=1
                                        ;     Parent Loop BB98_56 Depth=2
                                        ; =>    This Inner Loop Header: Depth=3
	s_delay_alu instid0(VALU_DEP_2)
	v_add_co_u32 v13, vcc_lo, v11, s40
	v_add_co_ci_u32_e32 v14, vcc_lo, s41, v12, vcc_lo
	s_add_i32 s82, s82, -1
	global_load_b32 v41, v36, s[2:3]
	global_load_b64 v[37:38], v[13:14], off offset:-4
	global_load_b32 v42, v36, s[44:45]
	s_add_u32 s44, s44, 4
	s_addc_u32 s45, s45, 0
	s_add_u32 s2, s2, 4
	s_addc_u32 s3, s3, 0
	s_cmp_eq_u32 s82, 0
	s_waitcnt vmcnt(2)
	v_mul_f32_e32 v43, v9, v41
	s_waitcnt vmcnt(1)
	v_mul_f32_e32 v40, v41, v38
	v_mul_f32_e32 v39, v41, v37
	;; [unrolled: 1-line block ×3, first 2 shown]
	s_waitcnt vmcnt(0)
	s_delay_alu instid0(VALU_DEP_3) | instskip(NEXT) | instid1(VALU_DEP_3)
	v_fmac_f32_e32 v40, v10, v42
	v_fmac_f32_e32 v39, v9, v42
	s_delay_alu instid0(VALU_DEP_3)
	v_fma_f32 v10, v42, v38, -v41
	global_store_b64 v[11:12], v[39:40], off offset:-4
	v_dual_mov_b32 v11, v13 :: v_dual_mov_b32 v12, v14
	v_fma_f32 v9, v42, v37, -v43
	s_cbranch_scc0 .LBB98_57
	s_branch .LBB98_55
.LBB98_58:                              ;   in Loop: Header=BB98_4 Depth=1
	s_or_b32 exec_lo, exec_lo, s46
	s_mov_b32 s2, 0
.LBB98_59:                              ;   in Loop: Header=BB98_4 Depth=1
	s_delay_alu instid0(SALU_CYCLE_1)
	s_and_not1_b32 vcc_lo, exec_lo, s2
	s_cbranch_vccnz .LBB98_3
; %bb.60:                               ;   in Loop: Header=BB98_4 Depth=1
	v_add_co_u32 v4, vcc_lo, v30, s79
	s_add_u32 s44, s13, s80
	v_add_co_ci_u32_e32 v5, vcc_lo, s76, v31, vcc_lo
	s_addc_u32 s45, s27, s50
	s_add_u32 s46, s31, s81
	s_addc_u32 s47, s72, s51
	s_and_not1_b32 vcc_lo, exec_lo, s61
	s_mov_b32 s2, -1
	s_cbranch_vccnz .LBB98_68
; %bb.61:                               ;   in Loop: Header=BB98_4 Depth=1
	s_and_saveexec_b32 s80, s1
	s_cbranch_execz .LBB98_67
; %bb.62:                               ;   in Loop: Header=BB98_4 Depth=1
	v_add_co_u32 v13, vcc_lo, v28, s79
	v_add_co_ci_u32_e32 v14, vcc_lo, s76, v29, vcc_lo
	s_lshl_b64 s[2:3], s[28:29], 3
	v_dual_mov_b32 v7, v5 :: v_dual_mov_b32 v6, v4
	v_mov_b32_e32 v8, v1
	s_add_u32 s81, s77, s2
	s_addc_u32 s82, s78, s3
	s_mov_b32 s83, 0
	s_branch .LBB98_64
.LBB98_63:                              ;   in Loop: Header=BB98_64 Depth=2
	s_set_inst_prefetch_distance 0x2
	v_add_co_u32 v9, vcc_lo, s77, v9
	v_add_nc_u32_e32 v8, s26, v8
	v_add_co_ci_u32_e32 v10, vcc_lo, s78, v10, vcc_lo
	v_add_co_u32 v13, vcc_lo, v13, s38
	v_add_co_ci_u32_e32 v14, vcc_lo, s39, v14, vcc_lo
	s_delay_alu instid0(VALU_DEP_4) | instskip(SKIP_1) | instid1(VALU_DEP_1)
	v_cmp_le_i32_e32 vcc_lo, s19, v8
	v_add_co_u32 v6, s2, v6, s38
	v_add_co_ci_u32_e64 v7, s2, s39, v7, s2
	s_or_b32 s83, vcc_lo, s83
	s_waitcnt vmcnt(0)
	global_store_b64 v[9:10], v[11:12], off
	s_and_not1_b32 exec_lo, exec_lo, s83
	s_cbranch_execz .LBB98_67
.LBB98_64:                              ;   Parent Loop BB98_4 Depth=1
                                        ; =>  This Loop Header: Depth=2
                                        ;       Child Loop BB98_66 Depth 3
	v_ashrrev_i32_e32 v9, 31, v8
	s_delay_alu instid0(VALU_DEP_1) | instskip(NEXT) | instid1(VALU_DEP_1)
	v_lshlrev_b64 v[9:10], 3, v[8:9]
	v_add_co_u32 v11, vcc_lo, s81, v9
	s_delay_alu instid0(VALU_DEP_2)
	v_add_co_ci_u32_e32 v12, vcc_lo, s82, v10, vcc_lo
	s_and_not1_b32 vcc_lo, exec_lo, s62
	global_load_b64 v[11:12], v[11:12], off
	s_cbranch_vccnz .LBB98_63
; %bb.65:                               ;   in Loop: Header=BB98_64 Depth=2
	s_mov_b64 s[2:3], 0
	s_mov_b64 s[48:49], s[46:47]
	;; [unrolled: 1-line block ×3, first 2 shown]
	s_mov_b32 s84, s60
	s_set_inst_prefetch_distance 0x1
	.p2align	6
.LBB98_66:                              ;   Parent Loop BB98_4 Depth=1
                                        ;     Parent Loop BB98_64 Depth=2
                                        ; =>    This Inner Loop Header: Depth=3
	v_add_co_u32 v37, vcc_lo, v13, s2
	v_add_co_ci_u32_e32 v38, vcc_lo, s3, v14, vcc_lo
	s_waitcnt vmcnt(0)
	v_dual_mov_b32 v43, v12 :: v_dual_mov_b32 v44, v11
	s_clause 0x1
	global_load_b32 v41, v36, s[50:51]
	global_load_b32 v42, v36, s[48:49]
	global_load_b64 v[37:38], v[37:38], off
	v_add_co_u32 v39, vcc_lo, v6, s2
	s_add_i32 s84, s84, -1
	s_sub_u32 s2, s2, s40
	v_add_co_ci_u32_e32 v40, vcc_lo, s3, v7, vcc_lo
	s_subb_u32 s3, s3, s41
	s_add_u32 s50, s50, -4
	s_addc_u32 s51, s51, -1
	s_add_u32 s48, s48, -4
	s_addc_u32 s49, s49, -1
	s_cmp_eq_u32 s84, 0
	s_waitcnt vmcnt(0)
	v_dual_mul_f32 v45, v42, v37 :: v_dual_mul_f32 v12, v41, v38
	v_dual_mul_f32 v46, v42, v38 :: v_dual_mul_f32 v11, v41, v37
	s_delay_alu instid0(VALU_DEP_2) | instskip(NEXT) | instid1(VALU_DEP_3)
	v_fma_f32 v37, v44, v41, -v45
	v_fmac_f32_e32 v12, v43, v42
	s_delay_alu instid0(VALU_DEP_3) | instskip(NEXT) | instid1(VALU_DEP_4)
	v_fma_f32 v38, v43, v41, -v46
	v_fmac_f32_e32 v11, v44, v42
	global_store_b64 v[39:40], v[37:38], off offset:-4
	s_cbranch_scc0 .LBB98_66
	s_branch .LBB98_63
.LBB98_67:                              ;   in Loop: Header=BB98_4 Depth=1
	s_or_b32 exec_lo, exec_lo, s80
	s_mov_b32 s2, 0
.LBB98_68:                              ;   in Loop: Header=BB98_4 Depth=1
	s_delay_alu instid0(SALU_CYCLE_1)
	s_and_not1_b32 vcc_lo, exec_lo, s2
	s_cbranch_vccnz .LBB98_3
; %bb.69:                               ;   in Loop: Header=BB98_4 Depth=1
	s_and_not1_b32 vcc_lo, exec_lo, s63
	s_mov_b32 s2, -1
	s_cbranch_vccnz .LBB98_76
; %bb.70:                               ;   in Loop: Header=BB98_4 Depth=1
	s_and_saveexec_b32 s50, s1
	s_cbranch_execz .LBB98_75
; %bb.71:                               ;   in Loop: Header=BB98_4 Depth=1
	v_add_co_u32 v6, vcc_lo, v32, s79
	v_add_co_ci_u32_e32 v7, vcc_lo, s76, v33, vcc_lo
	v_mov_b32_e32 v8, v1
	s_mov_b32 s51, 0
	s_branch .LBB98_73
.LBB98_72:                              ;   in Loop: Header=BB98_73 Depth=2
	v_add_nc_u32_e32 v8, s26, v8
	v_add_co_u32 v6, s2, v6, s38
	s_delay_alu instid0(VALU_DEP_1) | instskip(NEXT) | instid1(VALU_DEP_3)
	v_add_co_ci_u32_e64 v7, s2, s39, v7, s2
	v_cmp_le_i32_e32 vcc_lo, s19, v8
	s_waitcnt vmcnt(0)
	global_store_b64 v[9:10], v[11:12], off
	s_or_b32 s51, vcc_lo, s51
	s_delay_alu instid0(SALU_CYCLE_1)
	s_and_not1_b32 exec_lo, exec_lo, s51
	s_cbranch_execz .LBB98_75
.LBB98_73:                              ;   Parent Loop BB98_4 Depth=1
                                        ; =>  This Loop Header: Depth=2
                                        ;       Child Loop BB98_74 Depth 3
	s_delay_alu instid0(VALU_DEP_1) | instskip(SKIP_3) | instid1(VALU_DEP_2)
	v_ashrrev_i32_e32 v9, 31, v8
	v_dual_mov_b32 v14, v7 :: v_dual_mov_b32 v13, v6
	s_mov_b32 s80, s60
	s_mov_b64 s[2:3], s[20:21]
	v_lshlrev_b64 v[9:10], 3, v[8:9]
	s_mov_b64 s[48:49], s[42:43]
	s_delay_alu instid0(VALU_DEP_1) | instskip(NEXT) | instid1(VALU_DEP_2)
	v_add_co_u32 v9, vcc_lo, s77, v9
	v_add_co_ci_u32_e32 v10, vcc_lo, s78, v10, vcc_lo
	s_and_not1_b32 vcc_lo, exec_lo, s62
	global_load_b64 v[11:12], v[9:10], off
	s_cbranch_vccnz .LBB98_72
	.p2align	6
.LBB98_74:                              ;   Parent Loop BB98_4 Depth=1
                                        ;     Parent Loop BB98_73 Depth=2
                                        ; =>    This Inner Loop Header: Depth=3
	s_clause 0x1
	global_load_b32 v39, v36, s[48:49]
	global_load_b32 v40, v36, s[2:3]
	global_load_b64 v[37:38], v[13:14], off offset:-4
	s_waitcnt vmcnt(3)
	v_dual_mov_b32 v41, v12 :: v_dual_mov_b32 v42, v11
	s_add_u32 s48, s48, 4
	s_addc_u32 s49, s49, 0
	s_add_u32 s2, s2, 4
	s_addc_u32 s3, s3, 0
	s_add_i32 s80, s80, -1
	s_delay_alu instid0(SALU_CYCLE_1)
	s_cmp_eq_u32 s80, 0
	s_waitcnt vmcnt(2)
	v_mul_f32_e32 v43, v42, v39
	s_waitcnt vmcnt(0)
	v_dual_mul_f32 v44, v41, v39 :: v_dual_mul_f32 v11, v39, v37
	v_mul_f32_e32 v12, v39, v38
	s_delay_alu instid0(VALU_DEP_3) | instskip(NEXT) | instid1(VALU_DEP_3)
	v_fma_f32 v37, v40, v37, -v43
	v_fma_f32 v38, v40, v38, -v44
	s_delay_alu instid0(VALU_DEP_4) | instskip(NEXT) | instid1(VALU_DEP_4)
	v_fmac_f32_e32 v11, v42, v40
	v_fmac_f32_e32 v12, v41, v40
	global_store_b64 v[13:14], v[37:38], off offset:-4
	v_add_co_u32 v13, vcc_lo, v13, s40
	v_add_co_ci_u32_e32 v14, vcc_lo, s41, v14, vcc_lo
	s_cbranch_scc0 .LBB98_74
	s_branch .LBB98_72
.LBB98_75:                              ;   in Loop: Header=BB98_4 Depth=1
	s_or_b32 exec_lo, exec_lo, s50
	s_mov_b32 s2, 0
.LBB98_76:                              ;   in Loop: Header=BB98_4 Depth=1
	s_delay_alu instid0(SALU_CYCLE_1)
	s_and_not1_b32 vcc_lo, exec_lo, s2
	s_cbranch_vccnz .LBB98_3
; %bb.77:                               ;   in Loop: Header=BB98_4 Depth=1
	s_and_not1_b32 vcc_lo, exec_lo, s64
	s_mov_b32 s2, -1
	s_cbranch_vccnz .LBB98_84
; %bb.78:                               ;   in Loop: Header=BB98_4 Depth=1
	s_and_saveexec_b32 s50, s1
	s_cbranch_execz .LBB98_83
; %bb.79:                               ;   in Loop: Header=BB98_4 Depth=1
	v_mov_b32_e32 v6, v1
	s_mov_b32 s51, 0
	s_branch .LBB98_81
.LBB98_80:                              ;   in Loop: Header=BB98_81 Depth=2
	v_add_nc_u32_e32 v6, s26, v6
	v_add_co_u32 v4, s2, v4, s38
	s_delay_alu instid0(VALU_DEP_1) | instskip(NEXT) | instid1(VALU_DEP_3)
	v_add_co_ci_u32_e64 v5, s2, s39, v5, s2
	v_cmp_le_i32_e32 vcc_lo, s19, v6
	s_waitcnt vmcnt(0)
	global_store_b64 v[7:8], v[9:10], off
	s_or_b32 s51, vcc_lo, s51
	s_delay_alu instid0(SALU_CYCLE_1)
	s_and_not1_b32 exec_lo, exec_lo, s51
	s_cbranch_execz .LBB98_83
.LBB98_81:                              ;   Parent Loop BB98_4 Depth=1
                                        ; =>  This Loop Header: Depth=2
                                        ;       Child Loop BB98_82 Depth 3
	s_delay_alu instid0(VALU_DEP_1) | instskip(SKIP_3) | instid1(VALU_DEP_2)
	v_ashrrev_i32_e32 v7, 31, v6
	v_dual_mov_b32 v12, v5 :: v_dual_mov_b32 v11, v4
	s_mov_b64 s[2:3], s[46:47]
	s_mov_b64 s[48:49], s[44:45]
	v_lshlrev_b64 v[7:8], 3, v[6:7]
	s_mov_b32 s80, s73
	s_delay_alu instid0(VALU_DEP_1) | instskip(NEXT) | instid1(VALU_DEP_2)
	v_add_co_u32 v7, vcc_lo, s77, v7
	v_add_co_ci_u32_e32 v8, vcc_lo, s78, v8, vcc_lo
	s_and_not1_b32 vcc_lo, exec_lo, s62
	global_load_b64 v[9:10], v[7:8], off
	s_cbranch_vccnz .LBB98_80
	.p2align	6
.LBB98_82:                              ;   Parent Loop BB98_4 Depth=1
                                        ;     Parent Loop BB98_81 Depth=2
                                        ; =>    This Inner Loop Header: Depth=3
	s_clause 0x1
	global_load_b32 v37, v36, s[2:3]
	global_load_b32 v38, v36, s[48:49]
	global_load_b64 v[13:14], v[11:12], off offset:-4
	s_waitcnt vmcnt(3)
	v_dual_mov_b32 v39, v10 :: v_dual_mov_b32 v40, v9
	s_add_i32 s80, s80, -1
	s_add_u32 s48, s48, -4
	s_addc_u32 s49, s49, -1
	s_add_u32 s2, s2, -4
	s_addc_u32 s3, s3, -1
	s_cmp_lt_u32 s80, 3
	s_waitcnt vmcnt(0)
	v_dual_mul_f32 v41, v40, v37 :: v_dual_mul_f32 v10, v37, v14
	v_mul_f32_e32 v9, v37, v13
	s_delay_alu instid0(VALU_DEP_2) | instskip(NEXT) | instid1(VALU_DEP_3)
	v_fma_f32 v13, v38, v13, -v41
	v_fmac_f32_e32 v10, v39, v38
	s_delay_alu instid0(VALU_DEP_3) | instskip(NEXT) | instid1(VALU_DEP_1)
	v_dual_mul_f32 v42, v39, v37 :: v_dual_fmac_f32 v9, v40, v38
	v_fma_f32 v14, v38, v14, -v42
	global_store_b64 v[11:12], v[13:14], off offset:-4
	v_add_co_u32 v11, vcc_lo, v11, s74
	v_add_co_ci_u32_e32 v12, vcc_lo, s75, v12, vcc_lo
	s_cbranch_scc0 .LBB98_82
	s_branch .LBB98_80
.LBB98_83:                              ;   in Loop: Header=BB98_4 Depth=1
	s_or_b32 exec_lo, exec_lo, s50
	s_mov_b32 s2, 0
.LBB98_84:                              ;   in Loop: Header=BB98_4 Depth=1
	s_delay_alu instid0(SALU_CYCLE_1)
	s_and_not1_b32 vcc_lo, exec_lo, s2
	s_cbranch_vccnz .LBB98_3
; %bb.85:                               ;   in Loop: Header=BB98_4 Depth=1
	s_and_not1_b32 vcc_lo, exec_lo, s65
	s_mov_b32 s2, -1
	s_cbranch_vccnz .LBB98_92
; %bb.86:                               ;   in Loop: Header=BB98_4 Depth=1
	s_and_saveexec_b32 s50, s1
	s_cbranch_execz .LBB98_91
; %bb.87:                               ;   in Loop: Header=BB98_4 Depth=1
	s_lshl_b64 s[2:3], s[28:29], 3
	v_mov_b32_e32 v4, v1
	s_add_u32 s51, s77, s2
	s_addc_u32 s80, s78, s3
	s_mov_b32 s81, 0
	s_branch .LBB98_89
.LBB98_88:                              ;   in Loop: Header=BB98_89 Depth=2
	v_add_nc_u32_e32 v4, s26, v4
	v_add_co_u32 v2, s2, v2, s38
	s_delay_alu instid0(VALU_DEP_1) | instskip(NEXT) | instid1(VALU_DEP_3)
	v_add_co_ci_u32_e64 v3, s2, s39, v3, s2
	v_cmp_le_i32_e32 vcc_lo, s19, v4
	s_waitcnt vmcnt(0)
	global_store_b64 v[5:6], v[7:8], off
	s_or_b32 s81, vcc_lo, s81
	s_delay_alu instid0(SALU_CYCLE_1)
	s_and_not1_b32 exec_lo, exec_lo, s81
	s_cbranch_execz .LBB98_91
.LBB98_89:                              ;   Parent Loop BB98_4 Depth=1
                                        ; =>  This Loop Header: Depth=2
                                        ;       Child Loop BB98_90 Depth 3
	v_ashrrev_i32_e32 v5, 31, v4
	v_dual_mov_b32 v10, v3 :: v_dual_mov_b32 v9, v2
	s_mov_b64 s[2:3], s[42:43]
	s_mov_b64 s[48:49], s[20:21]
	s_delay_alu instid0(VALU_DEP_2) | instskip(SKIP_1) | instid1(VALU_DEP_1)
	v_lshlrev_b64 v[5:6], 3, v[4:5]
	s_mov_b32 s82, s60
	v_add_co_u32 v5, vcc_lo, s51, v5
	s_delay_alu instid0(VALU_DEP_2)
	v_add_co_ci_u32_e32 v6, vcc_lo, s80, v6, vcc_lo
	s_and_not1_b32 vcc_lo, exec_lo, s62
	global_load_b64 v[7:8], v[5:6], off
	s_cbranch_vccnz .LBB98_88
	.p2align	6
.LBB98_90:                              ;   Parent Loop BB98_4 Depth=1
                                        ;     Parent Loop BB98_89 Depth=2
                                        ; =>    This Inner Loop Header: Depth=3
	global_load_b64 v[11:12], v[9:10], off offset:-4
	s_clause 0x1
	global_load_b32 v37, v36, s[48:49]
	global_load_b32 v38, v36, s[2:3]
	s_add_i32 s82, s82, -1
	s_add_u32 s48, s48, 4
	s_addc_u32 s49, s49, 0
	s_add_u32 s2, s2, 4
	s_addc_u32 s3, s3, 0
	s_cmp_eq_u32 s82, 0
	s_waitcnt vmcnt(1)
	v_mul_f32_e32 v13, v37, v11
	s_waitcnt vmcnt(0)
	v_dual_mul_f32 v14, v37, v12 :: v_dual_mul_f32 v11, v38, v11
	s_delay_alu instid0(VALU_DEP_2) | instskip(NEXT) | instid1(VALU_DEP_2)
	v_dual_mul_f32 v12, v38, v12 :: v_dual_fmac_f32 v13, v7, v38
	v_fmac_f32_e32 v14, v8, v38
	s_delay_alu instid0(VALU_DEP_3) | instskip(NEXT) | instid1(VALU_DEP_3)
	v_fma_f32 v7, v7, v37, -v11
	v_fma_f32 v8, v8, v37, -v12
	global_store_b64 v[9:10], v[13:14], off offset:-4
	v_add_co_u32 v9, vcc_lo, v9, s40
	v_add_co_ci_u32_e32 v10, vcc_lo, s41, v10, vcc_lo
	s_cbranch_scc0 .LBB98_90
	s_branch .LBB98_88
.LBB98_91:                              ;   in Loop: Header=BB98_4 Depth=1
	s_or_b32 exec_lo, exec_lo, s50
	s_mov_b32 s2, 0
.LBB98_92:                              ;   in Loop: Header=BB98_4 Depth=1
	s_delay_alu instid0(SALU_CYCLE_1)
	s_and_not1_b32 vcc_lo, exec_lo, s2
	s_cbranch_vccnz .LBB98_3
; %bb.93:                               ;   in Loop: Header=BB98_4 Depth=1
	s_and_saveexec_b32 s42, s66
	s_cbranch_execz .LBB98_2
; %bb.94:                               ;   in Loop: Header=BB98_4 Depth=1
	v_add_co_u32 v2, vcc_lo, v34, s79
	v_add_co_ci_u32_e32 v3, vcc_lo, s76, v35, vcc_lo
	s_lshl_b64 s[2:3], s[28:29], 3
	v_mov_b32_e32 v4, v1
	s_add_u32 s43, s77, s2
	s_addc_u32 s48, s78, s3
	s_mov_b32 s49, 0
	s_branch .LBB98_96
.LBB98_95:                              ;   in Loop: Header=BB98_96 Depth=2
	v_add_nc_u32_e32 v4, s26, v4
	v_add_co_u32 v2, s2, v2, s38
	s_delay_alu instid0(VALU_DEP_1) | instskip(NEXT) | instid1(VALU_DEP_3)
	v_add_co_ci_u32_e64 v3, s2, s39, v3, s2
	v_cmp_le_i32_e32 vcc_lo, s19, v4
	s_waitcnt vmcnt(0)
	global_store_b64 v[5:6], v[7:8], off
	s_or_b32 s49, vcc_lo, s49
	s_delay_alu instid0(SALU_CYCLE_1)
	s_and_not1_b32 exec_lo, exec_lo, s49
	s_cbranch_execz .LBB98_2
.LBB98_96:                              ;   Parent Loop BB98_4 Depth=1
                                        ; =>  This Loop Header: Depth=2
                                        ;       Child Loop BB98_97 Depth 3
	v_ashrrev_i32_e32 v5, 31, v4
	v_dual_mov_b32 v10, v3 :: v_dual_mov_b32 v9, v2
	s_mov_b64 s[2:3], s[46:47]
	s_mov_b64 s[20:21], s[44:45]
	s_delay_alu instid0(VALU_DEP_2) | instskip(SKIP_1) | instid1(VALU_DEP_1)
	v_lshlrev_b64 v[5:6], 3, v[4:5]
	s_mov_b32 s50, s60
	v_add_co_u32 v5, vcc_lo, s43, v5
	s_delay_alu instid0(VALU_DEP_2)
	v_add_co_ci_u32_e32 v6, vcc_lo, s48, v6, vcc_lo
	s_and_not1_b32 vcc_lo, exec_lo, s62
	global_load_b64 v[7:8], v[5:6], off
	s_cbranch_vccnz .LBB98_95
	.p2align	6
.LBB98_97:                              ;   Parent Loop BB98_4 Depth=1
                                        ;     Parent Loop BB98_96 Depth=2
                                        ; =>    This Inner Loop Header: Depth=3
	global_load_b64 v[11:12], v[9:10], off offset:-4
	s_clause 0x1
	global_load_b32 v37, v36, s[20:21]
	global_load_b32 v38, v36, s[2:3]
	s_add_i32 s50, s50, -1
	s_add_u32 s20, s20, -4
	s_addc_u32 s21, s21, -1
	s_add_u32 s2, s2, -4
	s_addc_u32 s3, s3, -1
	s_cmp_eq_u32 s50, 0
	s_waitcnt vmcnt(1)
	v_mul_f32_e32 v13, v37, v11
	s_waitcnt vmcnt(0)
	v_dual_mul_f32 v14, v37, v12 :: v_dual_mul_f32 v11, v38, v11
	s_delay_alu instid0(VALU_DEP_2) | instskip(NEXT) | instid1(VALU_DEP_2)
	v_dual_mul_f32 v12, v38, v12 :: v_dual_fmac_f32 v13, v7, v38
	v_fmac_f32_e32 v14, v8, v38
	s_delay_alu instid0(VALU_DEP_3) | instskip(NEXT) | instid1(VALU_DEP_3)
	v_fma_f32 v7, v7, v37, -v11
	v_fma_f32 v8, v8, v37, -v12
	global_store_b64 v[9:10], v[13:14], off offset:-4
	v_add_co_u32 v9, vcc_lo, v9, s74
	v_add_co_ci_u32_e32 v10, vcc_lo, s75, v10, vcc_lo
	s_cbranch_scc0 .LBB98_97
	s_branch .LBB98_95
.LBB98_98:
	s_nop 0
	s_sendmsg sendmsg(MSG_DEALLOC_VGPRS)
	s_endpgm
	.section	.rodata,"a",@progbits
	.p2align	6, 0x0
	.amdhsa_kernel _ZN9rocsolver6v33100L11lasr_kernelI19rocblas_complex_numIfEfPS3_iEEv13rocblas_side_14rocblas_pivot_15rocblas_direct_T2_S8_PT0_lSA_lT1_lS8_lS8_
		.amdhsa_group_segment_fixed_size 0
		.amdhsa_private_segment_fixed_size 0
		.amdhsa_kernarg_size 352
		.amdhsa_user_sgpr_count 14
		.amdhsa_user_sgpr_dispatch_ptr 0
		.amdhsa_user_sgpr_queue_ptr 0
		.amdhsa_user_sgpr_kernarg_segment_ptr 1
		.amdhsa_user_sgpr_dispatch_id 0
		.amdhsa_user_sgpr_private_segment_size 0
		.amdhsa_wavefront_size32 1
		.amdhsa_uses_dynamic_stack 0
		.amdhsa_enable_private_segment 0
		.amdhsa_system_sgpr_workgroup_id_x 1
		.amdhsa_system_sgpr_workgroup_id_y 0
		.amdhsa_system_sgpr_workgroup_id_z 1
		.amdhsa_system_sgpr_workgroup_info 0
		.amdhsa_system_vgpr_workitem_id 0
		.amdhsa_next_free_vgpr 47
		.amdhsa_next_free_sgpr 87
		.amdhsa_reserve_vcc 1
		.amdhsa_float_round_mode_32 0
		.amdhsa_float_round_mode_16_64 0
		.amdhsa_float_denorm_mode_32 3
		.amdhsa_float_denorm_mode_16_64 3
		.amdhsa_dx10_clamp 1
		.amdhsa_ieee_mode 1
		.amdhsa_fp16_overflow 0
		.amdhsa_workgroup_processor_mode 1
		.amdhsa_memory_ordered 1
		.amdhsa_forward_progress 0
		.amdhsa_shared_vgpr_count 0
		.amdhsa_exception_fp_ieee_invalid_op 0
		.amdhsa_exception_fp_denorm_src 0
		.amdhsa_exception_fp_ieee_div_zero 0
		.amdhsa_exception_fp_ieee_overflow 0
		.amdhsa_exception_fp_ieee_underflow 0
		.amdhsa_exception_fp_ieee_inexact 0
		.amdhsa_exception_int_div_zero 0
	.end_amdhsa_kernel
	.section	.text._ZN9rocsolver6v33100L11lasr_kernelI19rocblas_complex_numIfEfPS3_iEEv13rocblas_side_14rocblas_pivot_15rocblas_direct_T2_S8_PT0_lSA_lT1_lS8_lS8_,"axG",@progbits,_ZN9rocsolver6v33100L11lasr_kernelI19rocblas_complex_numIfEfPS3_iEEv13rocblas_side_14rocblas_pivot_15rocblas_direct_T2_S8_PT0_lSA_lT1_lS8_lS8_,comdat
.Lfunc_end98:
	.size	_ZN9rocsolver6v33100L11lasr_kernelI19rocblas_complex_numIfEfPS3_iEEv13rocblas_side_14rocblas_pivot_15rocblas_direct_T2_S8_PT0_lSA_lT1_lS8_lS8_, .Lfunc_end98-_ZN9rocsolver6v33100L11lasr_kernelI19rocblas_complex_numIfEfPS3_iEEv13rocblas_side_14rocblas_pivot_15rocblas_direct_T2_S8_PT0_lSA_lT1_lS8_lS8_
                                        ; -- End function
	.section	.AMDGPU.csdata,"",@progbits
; Kernel info:
; codeLenInByte = 5072
; NumSgprs: 89
; NumVgprs: 47
; ScratchSize: 0
; MemoryBound: 0
; FloatMode: 240
; IeeeMode: 1
; LDSByteSize: 0 bytes/workgroup (compile time only)
; SGPRBlocks: 11
; VGPRBlocks: 5
; NumSGPRsForWavesPerEU: 89
; NumVGPRsForWavesPerEU: 47
; Occupancy: 16
; WaveLimiterHint : 0
; COMPUTE_PGM_RSRC2:SCRATCH_EN: 0
; COMPUTE_PGM_RSRC2:USER_SGPR: 14
; COMPUTE_PGM_RSRC2:TRAP_HANDLER: 0
; COMPUTE_PGM_RSRC2:TGID_X_EN: 1
; COMPUTE_PGM_RSRC2:TGID_Y_EN: 0
; COMPUTE_PGM_RSRC2:TGID_Z_EN: 1
; COMPUTE_PGM_RSRC2:TIDIG_COMP_CNT: 0
	.section	.text._ZN9rocsolver6v33100L11scal_kernelIf19rocblas_complex_numIfEiEEvT1_T_PT0_S4_,"axG",@progbits,_ZN9rocsolver6v33100L11scal_kernelIf19rocblas_complex_numIfEiEEvT1_T_PT0_S4_,comdat
	.globl	_ZN9rocsolver6v33100L11scal_kernelIf19rocblas_complex_numIfEiEEvT1_T_PT0_S4_ ; -- Begin function _ZN9rocsolver6v33100L11scal_kernelIf19rocblas_complex_numIfEiEEvT1_T_PT0_S4_
	.p2align	8
	.type	_ZN9rocsolver6v33100L11scal_kernelIf19rocblas_complex_numIfEiEEvT1_T_PT0_S4_,@function
_ZN9rocsolver6v33100L11scal_kernelIf19rocblas_complex_numIfEiEEvT1_T_PT0_S4_: ; @_ZN9rocsolver6v33100L11scal_kernelIf19rocblas_complex_numIfEiEEvT1_T_PT0_S4_
; %bb.0:
	s_load_b64 s[2:3], s[0:1], 0x0
	s_waitcnt lgkmcnt(0)
	s_cmp_lt_i32 s2, 1
	s_cbranch_scc1 .LBB99_10
; %bb.1:
	s_clause 0x3
	s_load_b32 s4, s[0:1], 0x24
	s_load_b32 s5, s[0:1], 0x18
	;; [unrolled: 1-line block ×3, first 2 shown]
	s_load_b64 s[6:7], s[0:1], 0x8
	s_waitcnt lgkmcnt(0)
	s_and_b32 s1, s4, 0xffff
	s_delay_alu instid0(SALU_CYCLE_1) | instskip(SKIP_3) | instid1(VALU_DEP_1)
	v_mad_u64_u32 v[1:2], null, s15, s1, v[0:1]
	s_mul_i32 s4, s5, s1
	s_cmp_eq_u32 s8, 1
	s_mov_b32 s1, -1
	v_cmp_gt_i32_e64 s0, s2, v1
	s_cbranch_scc1 .LBB99_6
; %bb.2:
	s_delay_alu instid0(VALU_DEP_1)
	s_and_saveexec_b32 s5, s0
	s_cbranch_execz .LBB99_5
; %bb.3:
	v_mad_i64_i32 v[2:3], null, s8, v1, 0
	s_mul_hi_i32 s9, s8, s4
	s_mul_i32 s8, s8, s4
	s_mov_b32 s10, 0
	s_lshl_b64 s[8:9], s[8:9], 3
	s_delay_alu instid0(VALU_DEP_1) | instskip(NEXT) | instid1(VALU_DEP_1)
	v_lshlrev_b64 v[2:3], 3, v[2:3]
	v_add_co_u32 v0, vcc_lo, v2, s6
	s_delay_alu instid0(VALU_DEP_2) | instskip(NEXT) | instid1(VALU_DEP_2)
	v_add_co_ci_u32_e32 v3, vcc_lo, s7, v3, vcc_lo
	v_add_co_u32 v2, vcc_lo, v0, 4
	s_delay_alu instid0(VALU_DEP_2)
	v_add_co_ci_u32_e32 v3, vcc_lo, 0, v3, vcc_lo
	v_mov_b32_e32 v0, v1
.LBB99_4:                               ; =>This Inner Loop Header: Depth=1
	global_load_b64 v[4:5], v[2:3], off offset:-4
	s_waitcnt vmcnt(0)
	v_dual_mul_f32 v5, s3, v5 :: v_dual_add_nc_u32 v0, s4, v0
	v_mul_f32_e32 v4, s3, v4
	s_delay_alu instid0(VALU_DEP_2) | instskip(SKIP_2) | instid1(VALU_DEP_1)
	v_cmp_le_i32_e32 vcc_lo, s2, v0
	global_store_b64 v[2:3], v[4:5], off offset:-4
	v_add_co_u32 v2, s1, v2, s8
	v_add_co_ci_u32_e64 v3, s1, s9, v3, s1
	s_or_b32 s10, vcc_lo, s10
	s_delay_alu instid0(SALU_CYCLE_1)
	s_and_not1_b32 exec_lo, exec_lo, s10
	s_cbranch_execnz .LBB99_4
.LBB99_5:
	s_or_b32 exec_lo, exec_lo, s5
	s_mov_b32 s1, 0
.LBB99_6:
	s_delay_alu instid0(SALU_CYCLE_1)
	s_and_not1_b32 vcc_lo, exec_lo, s1
	s_cbranch_vccnz .LBB99_10
; %bb.7:
	s_delay_alu instid0(VALU_DEP_1)
	s_and_saveexec_b32 s1, s0
	s_cbranch_execz .LBB99_10
; %bb.8:
	v_ashrrev_i32_e32 v2, 31, v1
	s_ashr_i32 s5, s4, 31
	s_mov_b32 s1, 0
	s_delay_alu instid0(VALU_DEP_1) | instskip(NEXT) | instid1(VALU_DEP_1)
	v_lshlrev_b64 v[2:3], 3, v[1:2]
	v_add_co_u32 v0, vcc_lo, v2, s6
	s_delay_alu instid0(VALU_DEP_2) | instskip(SKIP_1) | instid1(VALU_DEP_2)
	v_add_co_ci_u32_e32 v3, vcc_lo, s7, v3, vcc_lo
	s_lshl_b64 s[6:7], s[4:5], 3
	v_add_co_u32 v2, vcc_lo, v0, 4
	s_delay_alu instid0(VALU_DEP_2)
	v_add_co_ci_u32_e32 v3, vcc_lo, 0, v3, vcc_lo
.LBB99_9:                               ; =>This Inner Loop Header: Depth=1
	global_load_b64 v[4:5], v[2:3], off offset:-4
	s_waitcnt vmcnt(0)
	v_dual_mul_f32 v4, s3, v4 :: v_dual_add_nc_u32 v1, s4, v1
	v_mul_f32_e32 v5, s3, v5
	s_delay_alu instid0(VALU_DEP_2) | instskip(SKIP_2) | instid1(VALU_DEP_1)
	v_cmp_le_i32_e32 vcc_lo, s2, v1
	global_store_b64 v[2:3], v[4:5], off offset:-4
	v_add_co_u32 v2, s0, v2, s6
	v_add_co_ci_u32_e64 v3, s0, s7, v3, s0
	s_or_b32 s1, vcc_lo, s1
	s_delay_alu instid0(SALU_CYCLE_1)
	s_and_not1_b32 exec_lo, exec_lo, s1
	s_cbranch_execnz .LBB99_9
.LBB99_10:
	s_nop 0
	s_sendmsg sendmsg(MSG_DEALLOC_VGPRS)
	s_endpgm
	.section	.rodata,"a",@progbits
	.p2align	6, 0x0
	.amdhsa_kernel _ZN9rocsolver6v33100L11scal_kernelIf19rocblas_complex_numIfEiEEvT1_T_PT0_S4_
		.amdhsa_group_segment_fixed_size 0
		.amdhsa_private_segment_fixed_size 0
		.amdhsa_kernarg_size 280
		.amdhsa_user_sgpr_count 15
		.amdhsa_user_sgpr_dispatch_ptr 0
		.amdhsa_user_sgpr_queue_ptr 0
		.amdhsa_user_sgpr_kernarg_segment_ptr 1
		.amdhsa_user_sgpr_dispatch_id 0
		.amdhsa_user_sgpr_private_segment_size 0
		.amdhsa_wavefront_size32 1
		.amdhsa_uses_dynamic_stack 0
		.amdhsa_enable_private_segment 0
		.amdhsa_system_sgpr_workgroup_id_x 1
		.amdhsa_system_sgpr_workgroup_id_y 0
		.amdhsa_system_sgpr_workgroup_id_z 0
		.amdhsa_system_sgpr_workgroup_info 0
		.amdhsa_system_vgpr_workitem_id 0
		.amdhsa_next_free_vgpr 6
		.amdhsa_next_free_sgpr 16
		.amdhsa_reserve_vcc 1
		.amdhsa_float_round_mode_32 0
		.amdhsa_float_round_mode_16_64 0
		.amdhsa_float_denorm_mode_32 3
		.amdhsa_float_denorm_mode_16_64 3
		.amdhsa_dx10_clamp 1
		.amdhsa_ieee_mode 1
		.amdhsa_fp16_overflow 0
		.amdhsa_workgroup_processor_mode 1
		.amdhsa_memory_ordered 1
		.amdhsa_forward_progress 0
		.amdhsa_shared_vgpr_count 0
		.amdhsa_exception_fp_ieee_invalid_op 0
		.amdhsa_exception_fp_denorm_src 0
		.amdhsa_exception_fp_ieee_div_zero 0
		.amdhsa_exception_fp_ieee_overflow 0
		.amdhsa_exception_fp_ieee_underflow 0
		.amdhsa_exception_fp_ieee_inexact 0
		.amdhsa_exception_int_div_zero 0
	.end_amdhsa_kernel
	.section	.text._ZN9rocsolver6v33100L11scal_kernelIf19rocblas_complex_numIfEiEEvT1_T_PT0_S4_,"axG",@progbits,_ZN9rocsolver6v33100L11scal_kernelIf19rocblas_complex_numIfEiEEvT1_T_PT0_S4_,comdat
.Lfunc_end99:
	.size	_ZN9rocsolver6v33100L11scal_kernelIf19rocblas_complex_numIfEiEEvT1_T_PT0_S4_, .Lfunc_end99-_ZN9rocsolver6v33100L11scal_kernelIf19rocblas_complex_numIfEiEEvT1_T_PT0_S4_
                                        ; -- End function
	.section	.AMDGPU.csdata,"",@progbits
; Kernel info:
; codeLenInByte = 436
; NumSgprs: 18
; NumVgprs: 6
; ScratchSize: 0
; MemoryBound: 0
; FloatMode: 240
; IeeeMode: 1
; LDSByteSize: 0 bytes/workgroup (compile time only)
; SGPRBlocks: 2
; VGPRBlocks: 0
; NumSGPRsForWavesPerEU: 18
; NumVGPRsForWavesPerEU: 6
; Occupancy: 16
; WaveLimiterHint : 0
; COMPUTE_PGM_RSRC2:SCRATCH_EN: 0
; COMPUTE_PGM_RSRC2:USER_SGPR: 15
; COMPUTE_PGM_RSRC2:TRAP_HANDLER: 0
; COMPUTE_PGM_RSRC2:TGID_X_EN: 1
; COMPUTE_PGM_RSRC2:TGID_Y_EN: 0
; COMPUTE_PGM_RSRC2:TGID_Z_EN: 0
; COMPUTE_PGM_RSRC2:TIDIG_COMP_CNT: 0
	.section	.text._ZN9rocsolver6v33100L17bdsqr_lower2upperI19rocblas_complex_numIfEfPS3_S4_EEviiiPT0_lS6_lT1_iilT2_iilPiS6_lS9_,"axG",@progbits,_ZN9rocsolver6v33100L17bdsqr_lower2upperI19rocblas_complex_numIfEfPS3_S4_EEviiiPT0_lS6_lT1_iilT2_iilPiS6_lS9_,comdat
	.globl	_ZN9rocsolver6v33100L17bdsqr_lower2upperI19rocblas_complex_numIfEfPS3_S4_EEviiiPT0_lS6_lT1_iilT2_iilPiS6_lS9_ ; -- Begin function _ZN9rocsolver6v33100L17bdsqr_lower2upperI19rocblas_complex_numIfEfPS3_S4_EEviiiPT0_lS6_lT1_iilT2_iilPiS6_lS9_
	.p2align	8
	.type	_ZN9rocsolver6v33100L17bdsqr_lower2upperI19rocblas_complex_numIfEfPS3_S4_EEviiiPT0_lS6_lT1_iilT2_iilPiS6_lS9_,@function
_ZN9rocsolver6v33100L17bdsqr_lower2upperI19rocblas_complex_numIfEfPS3_S4_EEviiiPT0_lS6_lT1_iilT2_iilPiS6_lS9_: ; @_ZN9rocsolver6v33100L17bdsqr_lower2upperI19rocblas_complex_numIfEfPS3_S4_EEviiiPT0_lS6_lT1_iilT2_iilPiS6_lS9_
; %bb.0:
	s_load_b64 s[2:3], s[0:1], 0x78
	s_mov_b32 s24, s15
	s_ashr_i32 s25, s15, 31
	s_delay_alu instid0(SALU_CYCLE_1)
	s_lshl_b64 s[4:5], s[24:25], 2
	s_waitcnt lgkmcnt(0)
	s_add_u32 s2, s2, s4
	s_addc_u32 s3, s3, s5
	s_load_b32 s2, s[2:3], 0x8
	s_waitcnt lgkmcnt(0)
	s_cmp_lg_u32 s2, 0
	s_cbranch_scc1 .LBB100_34
; %bb.1:
	s_clause 0x1
	s_load_b256 s[4:11], s[0:1], 0x30
	s_load_b128 s[12:15], s[0:1], 0x68
	s_mov_b64 s[20:21], 0
	s_mov_b64 s[22:23], 0
	s_waitcnt lgkmcnt(0)
	s_cmp_eq_u64 s[4:5], 0
	s_cbranch_scc1 .LBB100_3
; %bb.2:
	s_mul_i32 s2, s24, s9
	s_mul_hi_u32 s3, s24, s8
	s_mul_i32 s9, s25, s8
	s_add_i32 s2, s3, s2
	s_delay_alu instid0(SALU_CYCLE_1)
	s_add_i32 s3, s2, s9
	s_mul_i32 s2, s24, s8
	s_ashr_i32 s9, s6, 31
	s_lshl_b64 s[2:3], s[2:3], 3
	s_mov_b32 s8, s6
	s_add_u32 s4, s4, s2
	s_addc_u32 s5, s5, s3
	s_lshl_b64 s[2:3], s[8:9], 3
	s_delay_alu instid0(SALU_CYCLE_1)
	s_add_u32 s22, s4, s2
	s_addc_u32 s23, s5, s3
.LBB100_3:
	s_load_b64 s[2:3], s[0:1], 0x50
	s_cmp_eq_u64 s[10:11], 0
	s_cbranch_scc1 .LBB100_5
; %bb.4:
	s_load_b64 s[4:5], s[0:1], 0x58
	s_waitcnt lgkmcnt(0)
	s_ashr_i32 s9, s2, 31
	s_mul_i32 s5, s24, s5
	s_mul_hi_u32 s6, s24, s4
	s_mul_i32 s8, s25, s4
	s_add_i32 s5, s6, s5
	s_mul_i32 s4, s24, s4
	s_add_i32 s5, s5, s8
	s_mov_b32 s8, s2
	s_lshl_b64 s[4:5], s[4:5], 3
	s_delay_alu instid0(SALU_CYCLE_1) | instskip(SKIP_2) | instid1(SALU_CYCLE_1)
	s_add_u32 s2, s10, s4
	s_addc_u32 s6, s11, s5
	s_lshl_b64 s[4:5], s[8:9], 3
	s_add_u32 s20, s2, s4
	s_addc_u32 s21, s6, s5
.LBB100_5:
	s_load_b128 s[16:19], s[0:1], 0x0
	s_waitcnt lgkmcnt(0)
	s_mul_i32 s2, s24, s15
	s_mul_hi_u32 s4, s24, s14
	s_mov_b32 s6, exec_lo
	s_add_i32 s2, s4, s2
	s_mul_i32 s4, s25, s14
	s_delay_alu instid0(SALU_CYCLE_1) | instskip(SKIP_1) | instid1(SALU_CYCLE_1)
	s_add_i32 s5, s2, s4
	s_mul_i32 s4, s24, s14
	s_lshl_b64 s[4:5], s[4:5], 2
	s_delay_alu instid0(SALU_CYCLE_1)
	s_add_u32 s19, s12, s4
	s_addc_u32 s28, s13, s5
	v_cmpx_eq_u32_e32 0, v0
	s_cbranch_execz .LBB100_22
; %bb.6:
	s_load_b256 s[8:15], s[0:1], 0x10
	s_waitcnt lgkmcnt(0)
	s_mul_i32 s2, s24, s11
	s_mul_hi_u32 s4, s24, s10
	s_mul_i32 s5, s25, s10
	s_add_i32 s2, s4, s2
	s_mul_i32 s4, s24, s10
	s_add_i32 s5, s2, s5
	s_delay_alu instid0(SALU_CYCLE_1) | instskip(NEXT) | instid1(SALU_CYCLE_1)
	s_lshl_b64 s[26:27], s[4:5], 2
	s_add_u32 s4, s8, s26
	s_addc_u32 s5, s9, s27
	s_add_i32 s10, s16, -1
	s_load_b32 s2, s[4:5], 0x0
	s_cmp_lt_i32 s16, 2
	s_waitcnt lgkmcnt(0)
	v_mov_b32_e32 v2, s2
	s_cbranch_scc1 .LBB100_21
; %bb.7:
	s_mul_i32 s11, s24, s15
	s_mul_hi_u32 s15, s24, s14
	v_dual_mov_b32 v2, s2 :: v_dual_mov_b32 v1, 0
	s_add_i32 s11, s15, s11
	s_mul_i32 s15, s25, s14
	s_mul_i32 s14, s24, s14
	s_add_i32 s15, s11, s15
	s_mov_b32 s29, 0
	s_lshl_b64 s[14:15], s[14:15], 2
	s_delay_alu instid0(SALU_CYCLE_1)
	s_add_u32 s24, s14, s12
	s_addc_u32 s25, s15, s13
	s_or_b32 s11, s18, s17
	s_load_b32 s12, s[24:25], 0x0
	s_cmp_lg_u32 s11, 0
	s_mov_b32 s13, 0
	s_cselect_b32 s11, -1, 0
	s_add_u32 s14, s19, 16
	s_addc_u32 s15, s28, 0
	s_add_u32 s2, s26, s8
	s_addc_u32 s9, s27, s9
	;; [unrolled: 2-line block ×4, first 2 shown]
	s_mov_b64 s[26:27], s[14:15]
	s_waitcnt lgkmcnt(0)
	v_mov_b32_e32 v3, s12
	s_branch .LBB100_9
.LBB100_8:                              ;   in Loop: Header=BB100_9 Depth=1
	s_add_i32 s29, s29, 1
	s_add_u32 s26, s26, 4
	s_addc_u32 s27, s27, 0
	s_add_u32 s8, s8, 4
	s_waitcnt vmcnt(0)
	v_mul_f32_e32 v2, v4, v2
	s_addc_u32 s9, s9, 0
	s_add_u32 s24, s24, 4
	s_addc_u32 s25, s25, 0
	s_cmp_lg_u32 s10, s29
	s_cbranch_scc0 .LBB100_21
.LBB100_9:                              ; =>This Inner Loop Header: Depth=1
	s_delay_alu instid0(VALU_DEP_1)
	v_cmp_eq_f32_e32 vcc_lo, 0, v3
	s_cbranch_vccnz .LBB100_13
; %bb.10:                               ;   in Loop: Header=BB100_9 Depth=1
	v_cmp_neq_f32_e32 vcc_lo, 0, v2
	s_cbranch_vccz .LBB100_14
; %bb.11:                               ;   in Loop: Header=BB100_9 Depth=1
	v_cmp_ngt_f32_e64 s2, |v3|, |v2|
	s_delay_alu instid0(VALU_DEP_1)
	s_and_b32 vcc_lo, exec_lo, s2
	s_cbranch_vccz .LBB100_15
; %bb.12:                               ;   in Loop: Header=BB100_9 Depth=1
	v_div_scale_f32 v4, null, v2, v2, -v3
	v_div_scale_f32 v7, vcc_lo, -v3, v2, -v3
	s_delay_alu instid0(VALU_DEP_2) | instskip(SKIP_2) | instid1(VALU_DEP_1)
	v_rcp_f32_e32 v5, v4
	s_waitcnt_depctr 0xfff
	v_fma_f32 v6, -v4, v5, 1.0
	v_fmac_f32_e32 v5, v6, v5
	s_delay_alu instid0(VALU_DEP_1) | instskip(NEXT) | instid1(VALU_DEP_1)
	v_mul_f32_e32 v6, v7, v5
	v_fma_f32 v8, -v4, v6, v7
	s_delay_alu instid0(VALU_DEP_1) | instskip(NEXT) | instid1(VALU_DEP_1)
	v_fmac_f32_e32 v6, v8, v5
	v_fma_f32 v4, -v4, v6, v7
	s_delay_alu instid0(VALU_DEP_1) | instskip(NEXT) | instid1(VALU_DEP_1)
	v_div_fmas_f32 v4, v4, v5, v6
	v_div_fixup_f32 v5, v4, v2, -v3
	s_delay_alu instid0(VALU_DEP_1) | instskip(NEXT) | instid1(VALU_DEP_1)
	v_fma_f32 v4, v5, v5, 1.0
	v_mul_f32_e32 v6, 0x4f800000, v4
	v_cmp_gt_f32_e32 vcc_lo, 0xf800000, v4
	s_delay_alu instid0(VALU_DEP_2) | instskip(NEXT) | instid1(VALU_DEP_1)
	v_cndmask_b32_e32 v4, v4, v6, vcc_lo
	v_sqrt_f32_e32 v6, v4
	s_waitcnt_depctr 0xfff
	v_add_nc_u32_e32 v7, -1, v6
	v_add_nc_u32_e32 v8, 1, v6
	s_delay_alu instid0(VALU_DEP_2) | instskip(NEXT) | instid1(VALU_DEP_2)
	v_fma_f32 v9, -v7, v6, v4
	v_fma_f32 v10, -v8, v6, v4
	s_delay_alu instid0(VALU_DEP_2) | instskip(NEXT) | instid1(VALU_DEP_1)
	v_cmp_ge_f32_e64 s2, 0, v9
	v_cndmask_b32_e64 v6, v6, v7, s2
	s_delay_alu instid0(VALU_DEP_3) | instskip(NEXT) | instid1(VALU_DEP_1)
	v_cmp_lt_f32_e64 s2, 0, v10
	v_cndmask_b32_e64 v6, v6, v8, s2
	s_delay_alu instid0(VALU_DEP_1) | instskip(NEXT) | instid1(VALU_DEP_1)
	v_mul_f32_e32 v7, 0x37800000, v6
	v_cndmask_b32_e32 v6, v6, v7, vcc_lo
	v_cmp_class_f32_e64 vcc_lo, v4, 0x260
	s_delay_alu instid0(VALU_DEP_2) | instskip(NEXT) | instid1(VALU_DEP_1)
	v_cndmask_b32_e32 v4, v6, v4, vcc_lo
	v_div_scale_f32 v6, null, v4, v4, 1.0
	s_delay_alu instid0(VALU_DEP_1) | instskip(SKIP_2) | instid1(VALU_DEP_1)
	v_rcp_f32_e32 v7, v6
	s_waitcnt_depctr 0xfff
	v_fma_f32 v8, -v6, v7, 1.0
	v_fmac_f32_e32 v7, v8, v7
	v_div_scale_f32 v8, vcc_lo, 1.0, v4, 1.0
	s_delay_alu instid0(VALU_DEP_1) | instskip(NEXT) | instid1(VALU_DEP_1)
	v_mul_f32_e32 v9, v8, v7
	v_fma_f32 v10, -v6, v9, v8
	s_delay_alu instid0(VALU_DEP_1) | instskip(NEXT) | instid1(VALU_DEP_1)
	v_fmac_f32_e32 v9, v10, v7
	v_fma_f32 v6, -v6, v9, v8
	s_delay_alu instid0(VALU_DEP_1) | instskip(NEXT) | instid1(VALU_DEP_1)
	v_div_fmas_f32 v6, v6, v7, v9
	v_div_fixup_f32 v4, v6, v4, 1.0
	s_delay_alu instid0(VALU_DEP_1)
	v_mul_f32_e32 v5, v5, v4
	s_cbranch_execz .LBB100_16
	s_branch .LBB100_17
.LBB100_13:                             ;   in Loop: Header=BB100_9 Depth=1
	v_dual_mov_b32 v5, 0 :: v_dual_mov_b32 v4, 1.0
	s_branch .LBB100_19
.LBB100_14:                             ;   in Loop: Header=BB100_9 Depth=1
                                        ; implicit-def: $vgpr2
                                        ; implicit-def: $vgpr4
                                        ; implicit-def: $vgpr5
	s_cbranch_execnz .LBB100_18
	s_branch .LBB100_19
.LBB100_15:                             ;   in Loop: Header=BB100_9 Depth=1
                                        ; implicit-def: $vgpr4
                                        ; implicit-def: $vgpr5
.LBB100_16:                             ;   in Loop: Header=BB100_9 Depth=1
	v_div_scale_f32 v4, null, v3, v3, -v2
	v_div_scale_f32 v7, vcc_lo, -v2, v3, -v2
	s_delay_alu instid0(VALU_DEP_2) | instskip(SKIP_2) | instid1(VALU_DEP_1)
	v_rcp_f32_e32 v5, v4
	s_waitcnt_depctr 0xfff
	v_fma_f32 v6, -v4, v5, 1.0
	v_fmac_f32_e32 v5, v6, v5
	s_delay_alu instid0(VALU_DEP_1) | instskip(NEXT) | instid1(VALU_DEP_1)
	v_mul_f32_e32 v6, v7, v5
	v_fma_f32 v8, -v4, v6, v7
	s_delay_alu instid0(VALU_DEP_1) | instskip(NEXT) | instid1(VALU_DEP_1)
	v_fmac_f32_e32 v6, v8, v5
	v_fma_f32 v4, -v4, v6, v7
	s_delay_alu instid0(VALU_DEP_1) | instskip(NEXT) | instid1(VALU_DEP_1)
	v_div_fmas_f32 v4, v4, v5, v6
	v_div_fixup_f32 v4, v4, v3, -v2
	s_delay_alu instid0(VALU_DEP_1) | instskip(NEXT) | instid1(VALU_DEP_1)
	v_fma_f32 v5, v4, v4, 1.0
	v_mul_f32_e32 v6, 0x4f800000, v5
	v_cmp_gt_f32_e32 vcc_lo, 0xf800000, v5
	s_delay_alu instid0(VALU_DEP_2) | instskip(NEXT) | instid1(VALU_DEP_1)
	v_cndmask_b32_e32 v5, v5, v6, vcc_lo
	v_sqrt_f32_e32 v6, v5
	s_waitcnt_depctr 0xfff
	v_add_nc_u32_e32 v7, -1, v6
	v_add_nc_u32_e32 v8, 1, v6
	s_delay_alu instid0(VALU_DEP_2) | instskip(NEXT) | instid1(VALU_DEP_2)
	v_fma_f32 v9, -v7, v6, v5
	v_fma_f32 v10, -v8, v6, v5
	s_delay_alu instid0(VALU_DEP_2) | instskip(NEXT) | instid1(VALU_DEP_1)
	v_cmp_ge_f32_e64 s2, 0, v9
	v_cndmask_b32_e64 v6, v6, v7, s2
	s_delay_alu instid0(VALU_DEP_3) | instskip(NEXT) | instid1(VALU_DEP_1)
	v_cmp_lt_f32_e64 s2, 0, v10
	v_cndmask_b32_e64 v6, v6, v8, s2
	s_delay_alu instid0(VALU_DEP_1) | instskip(NEXT) | instid1(VALU_DEP_1)
	v_mul_f32_e32 v7, 0x37800000, v6
	v_cndmask_b32_e32 v6, v6, v7, vcc_lo
	v_cmp_class_f32_e64 vcc_lo, v5, 0x260
	s_delay_alu instid0(VALU_DEP_2) | instskip(NEXT) | instid1(VALU_DEP_1)
	v_cndmask_b32_e32 v5, v6, v5, vcc_lo
	v_div_scale_f32 v6, null, v5, v5, 1.0
	s_delay_alu instid0(VALU_DEP_1) | instskip(SKIP_2) | instid1(VALU_DEP_1)
	v_rcp_f32_e32 v7, v6
	s_waitcnt_depctr 0xfff
	v_fma_f32 v8, -v6, v7, 1.0
	v_fmac_f32_e32 v7, v8, v7
	v_div_scale_f32 v8, vcc_lo, 1.0, v5, 1.0
	s_delay_alu instid0(VALU_DEP_1) | instskip(NEXT) | instid1(VALU_DEP_1)
	v_mul_f32_e32 v9, v8, v7
	v_fma_f32 v10, -v6, v9, v8
	s_delay_alu instid0(VALU_DEP_1) | instskip(NEXT) | instid1(VALU_DEP_1)
	v_fmac_f32_e32 v9, v10, v7
	v_fma_f32 v6, -v6, v9, v8
	s_delay_alu instid0(VALU_DEP_1) | instskip(NEXT) | instid1(VALU_DEP_1)
	v_div_fmas_f32 v6, v6, v7, v9
	v_div_fixup_f32 v5, v6, v5, 1.0
	s_delay_alu instid0(VALU_DEP_1)
	v_mul_f32_e32 v4, v4, v5
.LBB100_17:                             ;   in Loop: Header=BB100_9 Depth=1
	s_delay_alu instid0(VALU_DEP_1) | instskip(NEXT) | instid1(VALU_DEP_1)
	v_mul_f32_e32 v6, v3, v5
	v_fma_f32 v2, v2, v4, -v6
	s_branch .LBB100_19
.LBB100_18:                             ;   in Loop: Header=BB100_9 Depth=1
	v_xor_b32_e32 v2, 0x80000000, v3
	v_dual_mov_b32 v4, 0 :: v_dual_mov_b32 v5, 1.0
.LBB100_19:                             ;   in Loop: Header=BB100_9 Depth=1
	global_load_b32 v6, v1, s[8:9]
	global_store_b32 v1, v2, s[8:9] offset:-4
	global_load_b32 v3, v1, s[24:25]
	s_and_not1_b32 vcc_lo, exec_lo, s11
	s_waitcnt vmcnt(1)
	v_mul_f32_e64 v2, v6, -v5
	global_store_b32 v1, v2, s[24:25] offset:-4
	global_load_b32 v2, v1, s[8:9]
	s_cbranch_vccnz .LBB100_8
; %bb.20:                               ;   in Loop: Header=BB100_9 Depth=1
	s_add_i32 s12, s16, s29
	s_delay_alu instid0(SALU_CYCLE_1) | instskip(NEXT) | instid1(SALU_CYCLE_1)
	s_lshl_b64 s[30:31], s[12:13], 2
	s_add_u32 s30, s14, s30
	s_addc_u32 s31, s15, s31
	s_clause 0x1
	global_store_b32 v1, v4, s[26:27]
	global_store_b32 v1, v5, s[30:31]
	s_branch .LBB100_8
.LBB100_21:
	s_ashr_i32 s11, s10, 31
	v_mov_b32_e32 v1, 0
	s_lshl_b64 s[8:9], s[10:11], 2
	s_delay_alu instid0(SALU_CYCLE_1)
	s_add_u32 s4, s4, s8
	s_addc_u32 s5, s5, s9
	global_store_b32 v1, v2, s[4:5]
.LBB100_22:
	s_or_b32 exec_lo, exec_lo, s6
	s_delay_alu instid0(SALU_CYCLE_1)
	s_mov_b32 s24, exec_lo
	s_waitcnt_vscnt null, 0x0
	s_barrier
	buffer_gl0_inv
	v_cmpx_gt_i32_e64 s17, v0
	s_cbranch_execz .LBB100_28
; %bb.23:
	s_load_b32 s2, s[0:1], 0x8c
	s_add_i32 s25, s16, -1
	s_cmp_gt_i32 s16, 1
	s_mul_i32 s12, s25, s7
	s_cselect_b32 s26, -1, 0
	v_dual_mov_b32 v8, 0 :: v_dual_mov_b32 v1, v0
	s_mov_b32 s10, s7
	s_mov_b32 s5, 0
	;; [unrolled: 1-line block ×3, first 2 shown]
	s_waitcnt lgkmcnt(0)
	s_and_b32 s27, s2, 0xffff
	s_add_u32 s8, s19, 16
	s_addc_u32 s9, s28, 0
	s_ashr_i32 s13, s12, 31
	s_ashr_i32 s11, s7, 31
	s_lshl_b64 s[6:7], s[4:5], 2
	s_lshl_b64 s[10:11], s[10:11], 3
	;; [unrolled: 1-line block ×3, first 2 shown]
	s_branch .LBB100_25
.LBB100_24:                             ;   in Loop: Header=BB100_25 Depth=1
	v_add_nc_u32_e32 v1, s27, v1
	v_add_co_u32 v2, s2, v2, s12
	s_delay_alu instid0(VALU_DEP_1) | instskip(NEXT) | instid1(VALU_DEP_3)
	v_add_co_ci_u32_e64 v3, s2, s13, v3, s2
	v_cmp_le_i32_e32 vcc_lo, s17, v1
	s_waitcnt vmcnt(0) lgkmcnt(0)
	flat_store_b64 v[2:3], v[4:5]
	s_or_b32 s5, vcc_lo, s5
	s_delay_alu instid0(SALU_CYCLE_1)
	s_and_not1_b32 exec_lo, exec_lo, s5
	s_cbranch_execz .LBB100_28
.LBB100_25:                             ; =>This Loop Header: Depth=1
                                        ;     Child Loop BB100_27 Depth 2
	v_ashrrev_i32_e32 v2, 31, v1
	s_delay_alu instid0(VALU_DEP_1) | instskip(NEXT) | instid1(VALU_DEP_1)
	v_lshlrev_b64 v[2:3], 3, v[1:2]
	v_add_co_u32 v2, vcc_lo, s22, v2
	s_delay_alu instid0(VALU_DEP_2)
	v_add_co_ci_u32_e32 v3, vcc_lo, s23, v3, vcc_lo
	s_and_not1_b32 vcc_lo, exec_lo, s26
	flat_load_b64 v[4:5], v[2:3]
	s_cbranch_vccnz .LBB100_24
; %bb.26:                               ;   in Loop: Header=BB100_25 Depth=1
	v_dual_mov_b32 v7, v3 :: v_dual_mov_b32 v6, v2
	s_mov_b32 s2, s25
	s_mov_b64 s[14:15], s[8:9]
	.p2align	6
.LBB100_27:                             ;   Parent Loop BB100_25 Depth=1
                                        ; =>  This Inner Loop Header: Depth=2
	s_delay_alu instid0(VALU_DEP_1) | instskip(NEXT) | instid1(VALU_DEP_2)
	v_add_co_u32 v9, vcc_lo, v6, s10
	v_add_co_ci_u32_e32 v10, vcc_lo, s11, v7, vcc_lo
	s_add_u32 s30, s14, s6
	s_addc_u32 s31, s15, s7
	global_load_b32 v15, v8, s[30:31]
	flat_load_b64 v[11:12], v[9:10]
	global_load_b32 v16, v8, s[14:15]
	s_add_u32 s14, s14, 4
	s_addc_u32 s15, s15, 0
	s_add_i32 s2, s2, -1
	s_delay_alu instid0(SALU_CYCLE_1) | instskip(SKIP_4) | instid1(VALU_DEP_2)
	s_cmp_lg_u32 s2, 0
	s_waitcnt vmcnt(1) lgkmcnt(0)
	v_mul_f32_e32 v13, v11, v15
	v_mul_f32_e32 v14, v12, v15
	s_waitcnt vmcnt(0)
	v_fma_f32 v13, v4, v16, -v13
	s_delay_alu instid0(VALU_DEP_2)
	v_fma_f32 v14, v5, v16, -v14
	v_mul_f32_e32 v4, v4, v15
	v_mul_f32_e32 v5, v5, v15
	flat_store_b64 v[6:7], v[13:14]
	v_fmac_f32_e32 v4, v11, v16
	v_dual_mov_b32 v6, v9 :: v_dual_fmac_f32 v5, v12, v16
	v_mov_b32_e32 v7, v10
	s_cbranch_scc1 .LBB100_27
	s_branch .LBB100_24
.LBB100_28:
	s_or_b32 exec_lo, exec_lo, s24
	s_delay_alu instid0(SALU_CYCLE_1)
	s_mov_b32 s2, exec_lo
	v_cmpx_gt_i32_e64 s18, v0
	s_cbranch_execz .LBB100_34
; %bb.29:
	s_load_b32 s0, s[0:1], 0x8c
	s_add_i32 s4, s16, -1
	v_mul_lo_u32 v1, v0, s3
	s_cmp_gt_i32 s16, 1
	v_mov_b32_e32 v9, 0
	s_cselect_b32 s2, -1, 0
	s_mov_b32 s17, 0
	s_waitcnt lgkmcnt(0)
	s_and_b32 s12, s0, 0xffff
	s_add_u32 s6, s19, 16
	s_addc_u32 s7, s28, 0
	s_ashr_i32 s5, s4, 31
	s_mul_i32 s13, s3, s12
	s_lshl_b64 s[8:9], s[16:17], 2
	s_lshl_b64 s[10:11], s[4:5], 3
	s_branch .LBB100_31
.LBB100_30:                             ;   in Loop: Header=BB100_31 Depth=1
	v_add_nc_u32_e32 v0, s12, v0
	v_add_co_u32 v2, s0, v3, s10
	s_delay_alu instid0(VALU_DEP_1) | instskip(NEXT) | instid1(VALU_DEP_3)
	v_add_co_ci_u32_e64 v3, s0, s11, v4, s0
	v_cmp_le_i32_e32 vcc_lo, s18, v0
	v_add_nc_u32_e32 v1, s13, v1
	s_waitcnt vmcnt(0) lgkmcnt(0)
	flat_store_b64 v[2:3], v[5:6]
	s_or_b32 s17, vcc_lo, s17
	s_delay_alu instid0(SALU_CYCLE_1)
	s_and_not1_b32 exec_lo, exec_lo, s17
	s_cbranch_execz .LBB100_34
.LBB100_31:                             ; =>This Loop Header: Depth=1
                                        ;     Child Loop BB100_33 Depth 2
	v_mul_lo_u32 v2, v0, s3
	s_delay_alu instid0(VALU_DEP_1) | instskip(NEXT) | instid1(VALU_DEP_1)
	v_ashrrev_i32_e32 v3, 31, v2
	v_lshlrev_b64 v[3:4], 3, v[2:3]
	s_delay_alu instid0(VALU_DEP_1) | instskip(NEXT) | instid1(VALU_DEP_2)
	v_add_co_u32 v3, vcc_lo, s20, v3
	v_add_co_ci_u32_e32 v4, vcc_lo, s21, v4, vcc_lo
	s_and_not1_b32 vcc_lo, exec_lo, s2
	flat_load_b64 v[5:6], v[3:4]
	s_cbranch_vccnz .LBB100_30
; %bb.32:                               ;   in Loop: Header=BB100_31 Depth=1
	v_ashrrev_i32_e32 v2, 31, v1
	s_mov_b32 s5, s4
	s_mov_b64 s[0:1], s[6:7]
	s_delay_alu instid0(VALU_DEP_1) | instskip(NEXT) | instid1(VALU_DEP_1)
	v_lshlrev_b64 v[7:8], 3, v[1:2]
	v_add_co_u32 v7, vcc_lo, s20, v7
	s_delay_alu instid0(VALU_DEP_2)
	v_add_co_ci_u32_e32 v8, vcc_lo, s21, v8, vcc_lo
	.p2align	6
.LBB100_33:                             ;   Parent Loop BB100_31 Depth=1
                                        ; =>  This Inner Loop Header: Depth=2
	s_add_u32 s14, s0, s8
	s_addc_u32 s15, s1, s9
	flat_load_b64 v[10:11], v[7:8] offset:8
	s_clause 0x1
	global_load_b32 v2, v9, s[0:1]
	global_load_b32 v16, v9, s[14:15]
	v_add_co_u32 v12, vcc_lo, v7, 8
	v_add_co_ci_u32_e32 v13, vcc_lo, 0, v8, vcc_lo
	s_add_u32 s0, s0, 4
	s_addc_u32 s1, s1, 0
	s_add_i32 s5, s5, -1
	s_delay_alu instid0(SALU_CYCLE_1) | instskip(SKIP_3) | instid1(VALU_DEP_2)
	s_cmp_lg_u32 s5, 0
	s_waitcnt vmcnt(0) lgkmcnt(0)
	v_mul_f32_e32 v14, v10, v16
	v_mul_f32_e32 v15, v11, v16
	v_fma_f32 v14, v5, v2, -v14
	s_delay_alu instid0(VALU_DEP_2)
	v_fma_f32 v15, v6, v2, -v15
	v_mul_f32_e32 v6, v6, v16
	v_mul_f32_e32 v5, v5, v16
	flat_store_b64 v[7:8], v[14:15]
	v_dual_fmac_f32 v6, v11, v2 :: v_dual_mov_b32 v7, v12
	v_dual_fmac_f32 v5, v10, v2 :: v_dual_mov_b32 v8, v13
	s_cbranch_scc1 .LBB100_33
	s_branch .LBB100_30
.LBB100_34:
	s_endpgm
	.section	.rodata,"a",@progbits
	.p2align	6, 0x0
	.amdhsa_kernel _ZN9rocsolver6v33100L17bdsqr_lower2upperI19rocblas_complex_numIfEfPS3_S4_EEviiiPT0_lS6_lT1_iilT2_iilPiS6_lS9_
		.amdhsa_group_segment_fixed_size 0
		.amdhsa_private_segment_fixed_size 0
		.amdhsa_kernarg_size 384
		.amdhsa_user_sgpr_count 14
		.amdhsa_user_sgpr_dispatch_ptr 0
		.amdhsa_user_sgpr_queue_ptr 0
		.amdhsa_user_sgpr_kernarg_segment_ptr 1
		.amdhsa_user_sgpr_dispatch_id 0
		.amdhsa_user_sgpr_private_segment_size 0
		.amdhsa_wavefront_size32 1
		.amdhsa_uses_dynamic_stack 0
		.amdhsa_enable_private_segment 0
		.amdhsa_system_sgpr_workgroup_id_x 1
		.amdhsa_system_sgpr_workgroup_id_y 1
		.amdhsa_system_sgpr_workgroup_id_z 0
		.amdhsa_system_sgpr_workgroup_info 0
		.amdhsa_system_vgpr_workitem_id 0
		.amdhsa_next_free_vgpr 17
		.amdhsa_next_free_sgpr 32
		.amdhsa_reserve_vcc 1
		.amdhsa_float_round_mode_32 0
		.amdhsa_float_round_mode_16_64 0
		.amdhsa_float_denorm_mode_32 3
		.amdhsa_float_denorm_mode_16_64 3
		.amdhsa_dx10_clamp 1
		.amdhsa_ieee_mode 1
		.amdhsa_fp16_overflow 0
		.amdhsa_workgroup_processor_mode 1
		.amdhsa_memory_ordered 1
		.amdhsa_forward_progress 0
		.amdhsa_shared_vgpr_count 0
		.amdhsa_exception_fp_ieee_invalid_op 0
		.amdhsa_exception_fp_denorm_src 0
		.amdhsa_exception_fp_ieee_div_zero 0
		.amdhsa_exception_fp_ieee_overflow 0
		.amdhsa_exception_fp_ieee_underflow 0
		.amdhsa_exception_fp_ieee_inexact 0
		.amdhsa_exception_int_div_zero 0
	.end_amdhsa_kernel
	.section	.text._ZN9rocsolver6v33100L17bdsqr_lower2upperI19rocblas_complex_numIfEfPS3_S4_EEviiiPT0_lS6_lT1_iilT2_iilPiS6_lS9_,"axG",@progbits,_ZN9rocsolver6v33100L17bdsqr_lower2upperI19rocblas_complex_numIfEfPS3_S4_EEviiiPT0_lS6_lT1_iilT2_iilPiS6_lS9_,comdat
.Lfunc_end100:
	.size	_ZN9rocsolver6v33100L17bdsqr_lower2upperI19rocblas_complex_numIfEfPS3_S4_EEviiiPT0_lS6_lT1_iilT2_iilPiS6_lS9_, .Lfunc_end100-_ZN9rocsolver6v33100L17bdsqr_lower2upperI19rocblas_complex_numIfEfPS3_S4_EEviiiPT0_lS6_lT1_iilT2_iilPiS6_lS9_
                                        ; -- End function
	.section	.AMDGPU.csdata,"",@progbits
; Kernel info:
; codeLenInByte = 2276
; NumSgprs: 34
; NumVgprs: 17
; ScratchSize: 0
; MemoryBound: 0
; FloatMode: 240
; IeeeMode: 1
; LDSByteSize: 0 bytes/workgroup (compile time only)
; SGPRBlocks: 4
; VGPRBlocks: 2
; NumSGPRsForWavesPerEU: 34
; NumVGPRsForWavesPerEU: 17
; Occupancy: 16
; WaveLimiterHint : 0
; COMPUTE_PGM_RSRC2:SCRATCH_EN: 0
; COMPUTE_PGM_RSRC2:USER_SGPR: 14
; COMPUTE_PGM_RSRC2:TRAP_HANDLER: 0
; COMPUTE_PGM_RSRC2:TGID_X_EN: 1
; COMPUTE_PGM_RSRC2:TGID_Y_EN: 1
; COMPUTE_PGM_RSRC2:TGID_Z_EN: 0
; COMPUTE_PGM_RSRC2:TIDIG_COMP_CNT: 0
	.section	.text._ZN9rocsolver6v33100L13bdsqr_computeILi256E19rocblas_complex_numIfEfPS3_S4_S4_EEviiiiPT1_lS6_lT2_iilT3_iilT4_iiliS5_S5_S5_S5_PiS6_ilSA_,"axG",@progbits,_ZN9rocsolver6v33100L13bdsqr_computeILi256E19rocblas_complex_numIfEfPS3_S4_S4_EEviiiiPT1_lS6_lT2_iilT3_iilT4_iiliS5_S5_S5_S5_PiS6_ilSA_,comdat
	.globl	_ZN9rocsolver6v33100L13bdsqr_computeILi256E19rocblas_complex_numIfEfPS3_S4_S4_EEviiiiPT1_lS6_lT2_iilT3_iilT4_iiliS5_S5_S5_S5_PiS6_ilSA_ ; -- Begin function _ZN9rocsolver6v33100L13bdsqr_computeILi256E19rocblas_complex_numIfEfPS3_S4_S4_EEviiiiPT1_lS6_lT2_iilT3_iilT4_iiliS5_S5_S5_S5_PiS6_ilSA_
	.p2align	8
	.type	_ZN9rocsolver6v33100L13bdsqr_computeILi256E19rocblas_complex_numIfEfPS3_S4_S4_EEviiiiPT1_lS6_lT2_iilT3_iilT4_iiliS5_S5_S5_S5_PiS6_ilSA_,@function
_ZN9rocsolver6v33100L13bdsqr_computeILi256E19rocblas_complex_numIfEfPS3_S4_S4_EEviiiiPT1_lS6_lT2_iilT3_iilT4_iiliS5_S5_S5_S5_PiS6_ilSA_: ; @_ZN9rocsolver6v33100L13bdsqr_computeILi256E19rocblas_complex_numIfEfPS3_S4_S4_EEviiiiPT1_lS6_lT2_iilT3_iilT4_iiliS5_S5_S5_S5_PiS6_ilSA_
; %bb.0:
	s_load_b128 s[4:7], s[0:1], 0xa8
	s_mov_b32 s38, s15
	s_ashr_i32 s39, s15, 31
	s_delay_alu instid0(SALU_CYCLE_1)
	s_lshl_b64 s[2:3], s[38:39], 2
	s_waitcnt lgkmcnt(0)
	s_add_u32 s2, s6, s2
	s_addc_u32 s3, s7, s3
	s_load_b32 s2, s[2:3], 0x8
	s_waitcnt lgkmcnt(0)
	s_cmp_lg_u32 s2, 0
	s_cbranch_scc1 .LBB101_182
; %bb.1:
	s_load_b256 s[16:23], s[0:1], 0x30
	s_mov_b64 s[12:13], 0
	s_mov_b64 s[28:29], 0
	s_waitcnt lgkmcnt(0)
	s_cmp_eq_u64 s[16:17], 0
	s_cbranch_scc1 .LBB101_3
; %bb.2:
	s_mul_i32 s2, s38, s21
	s_mul_hi_u32 s3, s38, s20
	s_mul_i32 s6, s39, s20
	s_add_i32 s2, s3, s2
	s_ashr_i32 s7, s18, 31
	s_add_i32 s3, s2, s6
	s_mul_i32 s2, s38, s20
	s_mov_b32 s6, s18
	s_lshl_b64 s[2:3], s[2:3], 3
	s_delay_alu instid0(SALU_CYCLE_1) | instskip(SKIP_2) | instid1(SALU_CYCLE_1)
	s_add_u32 s8, s16, s2
	s_addc_u32 s9, s17, s3
	s_lshl_b64 s[2:3], s[6:7], 3
	s_add_u32 s28, s8, s2
	s_addc_u32 s29, s9, s3
.LBB101_3:
	s_clause 0x1
	s_load_b64 s[16:17], s[0:1], 0x50
	s_load_b128 s[8:11], s[0:1], 0x58
	s_cmp_eq_u64 s[22:23], 0
	s_cbranch_scc1 .LBB101_5
; %bb.4:
	s_waitcnt lgkmcnt(0)
	s_mul_i32 s2, s38, s9
	s_mul_hi_u32 s3, s38, s8
	s_mul_i32 s6, s39, s8
	s_add_i32 s2, s3, s2
	s_ashr_i32 s7, s16, 31
	s_add_i32 s3, s2, s6
	s_mul_i32 s2, s38, s8
	s_mov_b32 s6, s16
	s_lshl_b64 s[2:3], s[2:3], 3
	s_delay_alu instid0(SALU_CYCLE_1) | instskip(SKIP_2) | instid1(SALU_CYCLE_1)
	s_add_u32 s8, s22, s2
	s_addc_u32 s9, s23, s3
	s_lshl_b64 s[2:3], s[6:7], 3
	s_add_u32 s12, s8, s2
	s_addc_u32 s13, s9, s3
.LBB101_5:
	s_load_b64 s[30:31], s[0:1], 0x68
	s_waitcnt lgkmcnt(0)
	s_cmp_eq_u64 s[10:11], 0
	s_mov_b64 s[34:35], 0
	s_cbranch_scc1 .LBB101_7
; %bb.6:
	s_load_b64 s[2:3], s[0:1], 0x70
	s_waitcnt lgkmcnt(0)
	s_mul_i32 s3, s38, s3
	s_mul_hi_u32 s6, s38, s2
	s_mul_i32 s7, s39, s2
	s_add_i32 s3, s6, s3
	s_mul_i32 s2, s38, s2
	s_add_i32 s3, s3, s7
	s_ashr_i32 s7, s30, 31
	s_lshl_b64 s[2:3], s[2:3], 3
	s_mov_b32 s6, s30
	s_add_u32 s8, s10, s2
	s_addc_u32 s9, s11, s3
	s_lshl_b64 s[2:3], s[6:7], 3
	s_delay_alu instid0(SALU_CYCLE_1)
	s_add_u32 s34, s8, s2
	s_addc_u32 s35, s9, s3
.LBB101_7:
	s_load_b128 s[24:27], s[0:1], 0x90
	s_mul_i32 s2, s38, s5
	s_mul_hi_u32 s3, s38, s4
	s_delay_alu instid0(SALU_CYCLE_1) | instskip(SKIP_1) | instid1(SALU_CYCLE_1)
	s_add_i32 s2, s3, s2
	s_mul_i32 s3, s39, s4
	s_add_i32 s3, s2, s3
	s_mul_i32 s2, s38, s4
	s_delay_alu instid0(SALU_CYCLE_1)
	s_lshl_b64 s[42:43], s[2:3], 2
	s_waitcnt lgkmcnt(0)
	s_add_u32 s36, s26, s42
	s_addc_u32 s37, s27, s43
	s_load_b32 s2, s[36:37], 0x8
	s_waitcnt lgkmcnt(0)
	v_cvt_i32_f32_e32 v13, s2
	s_delay_alu instid0(VALU_DEP_1)
	v_cmp_ge_i32_e32 vcc_lo, s14, v13
	s_cbranch_vccnz .LBB101_182
; %bb.8:
	s_clause 0x1
	s_load_b128 s[20:23], s[0:1], 0x0
	s_load_b256 s[4:11], s[0:1], 0x10
	v_dual_mov_b32 v17, 0 :: v_dual_lshlrev_b32 v14, 2, v0
	v_mul_lo_u32 v15, v0, s19
	v_mul_lo_u32 v16, v0, s31
	v_cmp_gt_u32_e64 s2, 0x80, v0
	v_cmp_gt_u32_e64 s3, 64, v0
	v_mov_b32_e32 v24, 1
	v_add_nc_u32_e32 v18, -1, v15
	v_add_nc_u32_e32 v19, -1, v16
	s_waitcnt lgkmcnt(0)
	s_mul_i32 s15, s38, s20
	s_mul_i32 s7, s38, s7
	s_lshl_b32 s40, s15, 1
	s_mul_hi_u32 s16, s38, s6
	s_ashr_i32 s41, s40, 31
	s_mul_i32 s20, s39, s6
	s_lshl_b64 s[40:41], s[40:41], 2
	s_mul_i32 s6, s38, s6
	s_add_u32 s15, s24, s40
	s_addc_u32 s18, s25, s41
	s_add_i32 s7, s16, s7
	s_mul_i32 s11, s38, s11
	s_add_i32 s7, s7, s20
	s_mul_hi_u32 s16, s38, s10
	s_lshl_b64 s[6:7], s[6:7], 2
	s_mul_i32 s24, s39, s10
	s_add_u32 s20, s4, s6
	s_addc_u32 s30, s5, s7
	s_add_i32 s4, s16, s11
	s_mul_i32 s10, s38, s10
	s_add_i32 s11, s4, s24
	s_clause 0x3
	s_load_b64 s[24:25], s[0:1], 0x78
	s_load_b64 s[38:39], s[0:1], 0x84
	s_load_b32 s74, s[0:1], 0xa0
	s_load_b32 s75, s[0:1], 0xbc
	s_lshl_b64 s[44:45], s[10:11], 2
	v_add_co_u32 v20, s16, s20, v14
	s_add_u32 s33, s8, s44
	s_addc_u32 s72, s9, s45
	s_cmp_lg_u32 s21, 0
	v_add_co_ci_u32_e64 v21, null, s30, 0, s16
	s_cselect_b32 s73, -1, 0
	s_or_b32 s6, s23, s22
	v_add_co_u32 v22, s46, s33, v14
	s_cmp_eq_u32 s6, 0
	v_cmp_gt_u32_e64 s4, 32, v0
	s_cselect_b32 s76, -1, 0
	s_cmp_lg_u64 s[28:29], 0
	v_cmp_eq_u32_e64 s5, 0, v0
	s_cselect_b32 s6, -1, 0
	v_add_co_ci_u32_e64 v23, null, s72, 0, s46
	s_and_b32 s77, s73, s6
	s_add_u32 s40, s0, 0xb8
	s_addc_u32 s41, s1, 0
	s_cmp_lg_u64 s[12:13], 0
	v_cmp_gt_i32_e64 s0, s21, v0
	s_cselect_b32 s6, -1, 0
	s_cmp_lg_u32 s22, 0
	v_cmp_gt_i32_e64 s1, s22, v0
	s_cselect_b32 s7, -1, 0
	s_delay_alu instid0(SALU_CYCLE_1)
	s_and_b32 s78, s7, s6
	s_cmp_lg_u64 s[34:35], 0
	v_cmp_gt_i32_e64 s6, s23, v0
	s_cselect_b32 s7, -1, 0
	s_cmp_lg_u32 s23, 0
	s_cselect_b32 s16, -1, 0
	s_delay_alu instid0(SALU_CYCLE_1)
	s_and_b32 s79, s16, s7
	s_add_u32 s80, s20, -4
	s_addc_u32 s81, s30, -1
	s_add_u32 s82, s26, s42
	s_addc_u32 s83, s27, s43
	s_add_u32 s84, s82, 12
	s_addc_u32 s85, s83, 0
	s_add_u32 s86, s8, -4
	s_addc_u32 s87, s9, -1
	s_add_u32 s88, s86, s44
	s_addc_u32 s89, s87, s45
	s_branch .LBB101_11
.LBB101_9:                              ;   in Loop: Header=BB101_11 Depth=1
	s_or_b32 exec_lo, exec_lo, s56
.LBB101_10:                             ;   in Loop: Header=BB101_11 Depth=1
	s_waitcnt lgkmcnt(0)
	s_add_i32 s14, s75, s14
	s_delay_alu instid0(SALU_CYCLE_1)
	v_cmp_lt_i32_e32 vcc_lo, s14, v13
	s_cbranch_vccz .LBB101_182
.LBB101_11:                             ; =>This Loop Header: Depth=1
                                        ;     Child Loop BB101_15 Depth 2
                                        ;     Child Loop BB101_42 Depth 2
	;; [unrolled: 1-line block ×5, first 2 shown]
                                        ;       Child Loop BB101_165 Depth 3
                                        ;     Child Loop BB101_170 Depth 2
                                        ;       Child Loop BB101_172 Depth 3
                                        ;     Child Loop BB101_177 Depth 2
                                        ;       Child Loop BB101_179 Depth 3
	s_lshl_b32 s8, s14, 2
	s_delay_alu instid0(SALU_CYCLE_1) | instskip(NEXT) | instid1(SALU_CYCLE_1)
	s_ashr_i32 s9, s8, 31
	s_lshl_b64 s[8:9], s[8:9], 2
	s_delay_alu instid0(SALU_CYCLE_1)
	s_add_u32 s48, s15, s8
	s_addc_u32 s49, s18, s9
	global_load_b64 v[1:2], v17, s[48:49] offset:4
	s_waitcnt vmcnt(0)
	v_readfirstlane_b32 s42, v1
	v_readfirstlane_b32 s26, v2
	s_delay_alu instid0(VALU_DEP_1)
	s_cmp_le_i32 s26, s42
	s_cbranch_scc1 .LBB101_10
; %bb.12:                               ;   in Loop: Header=BB101_11 Depth=1
	global_load_b32 v1, v17, s[48:49] offset:12
	s_waitcnt vmcnt(0) lgkmcnt(0)
	v_cmp_le_i32_e32 vcc_lo, s24, v1
	s_cbranch_vccnz .LBB101_10
; %bb.13:                               ;   in Loop: Header=BB101_11 Depth=1
	v_mov_b32_e32 v3, 0
	s_sub_i32 s8, s26, s42
	s_ashr_i32 s43, s42, 31
	s_mov_b32 s9, exec_lo
	v_cmpx_ge_i32_e64 s8, v0
	s_cbranch_execz .LBB101_17
; %bb.14:                               ;   in Loop: Header=BB101_11 Depth=1
	s_lshl_b64 s[44:45], s[42:43], 2
	v_dual_mov_b32 v3, 0 :: v_dual_mov_b32 v4, v0
	v_add_co_u32 v1, vcc_lo, v20, s44
	v_add_co_ci_u32_e32 v2, vcc_lo, s45, v21, vcc_lo
	s_mov_b32 s16, 0
	.p2align	6
.LBB101_15:                             ;   Parent Loop BB101_11 Depth=1
                                        ; =>  This Inner Loop Header: Depth=2
	global_load_b32 v5, v[1:2], off
	v_add_nc_u32_e32 v4, 0x100, v4
	v_add_co_u32 v1, vcc_lo, 0x400, v1
	v_add_co_ci_u32_e32 v2, vcc_lo, 0, v2, vcc_lo
	s_delay_alu instid0(VALU_DEP_3) | instskip(NEXT) | instid1(VALU_DEP_1)
	v_cmp_lt_i32_e64 s7, s8, v4
	s_or_b32 s16, s7, s16
	s_waitcnt vmcnt(0)
	v_cmp_lt_f32_e64 s27, v3, |v5|
	s_delay_alu instid0(VALU_DEP_1)
	v_cndmask_b32_e64 v3, v3, |v5|, s27
	s_and_not1_b32 exec_lo, exec_lo, s16
	s_cbranch_execnz .LBB101_15
; %bb.16:                               ;   in Loop: Header=BB101_11 Depth=1
	s_or_b32 exec_lo, exec_lo, s16
.LBB101_17:                             ;   in Loop: Header=BB101_11 Depth=1
	s_delay_alu instid0(SALU_CYCLE_1)
	s_or_b32 exec_lo, exec_lo, s9
	s_cmp_lt_i32 s8, 1
	ds_store_b32 v14, v3
	s_waitcnt lgkmcnt(0)
	s_waitcnt_vscnt null, 0x0
	s_barrier
	buffer_gl0_inv
	s_cbranch_scc1 .LBB101_40
; %bb.18:                               ;   in Loop: Header=BB101_11 Depth=1
	s_and_saveexec_b32 s7, s2
	s_cbranch_execz .LBB101_22
; %bb.19:                               ;   in Loop: Header=BB101_11 Depth=1
	ds_load_b32 v1, v14 offset:512
	s_mov_b32 s9, exec_lo
	s_waitcnt lgkmcnt(0)
	v_cmpx_lt_f32_e32 v3, v1
	s_cbranch_execz .LBB101_21
; %bb.20:                               ;   in Loop: Header=BB101_11 Depth=1
	v_mov_b32_e32 v3, v1
	ds_store_b32 v14, v1
.LBB101_21:                             ;   in Loop: Header=BB101_11 Depth=1
	s_or_b32 exec_lo, exec_lo, s9
.LBB101_22:                             ;   in Loop: Header=BB101_11 Depth=1
	s_delay_alu instid0(SALU_CYCLE_1)
	s_or_b32 exec_lo, exec_lo, s7
	s_waitcnt lgkmcnt(0)
	s_barrier
	buffer_gl0_inv
	s_and_saveexec_b32 s7, s3
	s_cbranch_execz .LBB101_26
; %bb.23:                               ;   in Loop: Header=BB101_11 Depth=1
	ds_load_b32 v1, v14 offset:256
	s_mov_b32 s9, exec_lo
	s_waitcnt lgkmcnt(0)
	v_cmpx_lt_f32_e32 v3, v1
	s_cbranch_execz .LBB101_25
; %bb.24:                               ;   in Loop: Header=BB101_11 Depth=1
	v_mov_b32_e32 v3, v1
	ds_store_b32 v14, v1
.LBB101_25:                             ;   in Loop: Header=BB101_11 Depth=1
	s_or_b32 exec_lo, exec_lo, s9
.LBB101_26:                             ;   in Loop: Header=BB101_11 Depth=1
	s_delay_alu instid0(SALU_CYCLE_1)
	s_or_b32 exec_lo, exec_lo, s7
	s_waitcnt lgkmcnt(0)
	s_barrier
	buffer_gl0_inv
	s_and_saveexec_b32 s7, s4
	s_cbranch_execz .LBB101_39
; %bb.27:                               ;   in Loop: Header=BB101_11 Depth=1
	ds_load_b32 v1, v14 offset:128
	s_mov_b32 s9, exec_lo
	s_waitcnt lgkmcnt(0)
	v_cmpx_lt_f32_e32 v3, v1
	s_cbranch_execz .LBB101_29
; %bb.28:                               ;   in Loop: Header=BB101_11 Depth=1
	v_mov_b32_e32 v3, v1
	ds_store_b32 v14, v1
.LBB101_29:                             ;   in Loop: Header=BB101_11 Depth=1
	s_or_b32 exec_lo, exec_lo, s9
	ds_load_b32 v1, v14 offset:64
	s_mov_b32 s9, exec_lo
	s_waitcnt lgkmcnt(0)
	v_cmpx_lt_f32_e32 v3, v1
	s_cbranch_execz .LBB101_31
; %bb.30:                               ;   in Loop: Header=BB101_11 Depth=1
	v_mov_b32_e32 v3, v1
	ds_store_b32 v14, v1
.LBB101_31:                             ;   in Loop: Header=BB101_11 Depth=1
	s_or_b32 exec_lo, exec_lo, s9
	;; [unrolled: 10-line block ×5, first 2 shown]
	ds_load_b32 v1, v14 offset:4
	s_waitcnt lgkmcnt(0)
	v_cmp_lt_f32_e32 vcc_lo, v3, v1
	s_and_b32 exec_lo, exec_lo, vcc_lo
	s_cbranch_execz .LBB101_39
; %bb.38:                               ;   in Loop: Header=BB101_11 Depth=1
	ds_store_b32 v14, v1
.LBB101_39:                             ;   in Loop: Header=BB101_11 Depth=1
	s_or_b32 exec_lo, exec_lo, s7
.LBB101_40:                             ;   in Loop: Header=BB101_11 Depth=1
	v_mov_b32_e32 v3, 0
	s_mov_b32 s9, exec_lo
	s_waitcnt lgkmcnt(0)
	s_barrier
	buffer_gl0_inv
	v_cmpx_gt_i32_e64 s8, v0
	s_cbranch_execz .LBB101_44
; %bb.41:                               ;   in Loop: Header=BB101_11 Depth=1
	s_lshl_b64 s[44:45], s[42:43], 2
	v_dual_mov_b32 v3, 0 :: v_dual_mov_b32 v4, v0
	v_add_co_u32 v1, vcc_lo, v22, s44
	v_add_co_ci_u32_e32 v2, vcc_lo, s45, v23, vcc_lo
	s_mov_b32 s16, 0
	.p2align	6
.LBB101_42:                             ;   Parent Loop BB101_11 Depth=1
                                        ; =>  This Inner Loop Header: Depth=2
	global_load_b32 v5, v[1:2], off
	v_add_nc_u32_e32 v4, 0x100, v4
	v_add_co_u32 v1, vcc_lo, 0x400, v1
	v_add_co_ci_u32_e32 v2, vcc_lo, 0, v2, vcc_lo
	s_delay_alu instid0(VALU_DEP_3) | instskip(NEXT) | instid1(VALU_DEP_1)
	v_cmp_le_i32_e64 s7, s8, v4
	s_or_b32 s16, s7, s16
	s_waitcnt vmcnt(0)
	v_cmp_lt_f32_e64 s27, v3, |v5|
	s_delay_alu instid0(VALU_DEP_1)
	v_cndmask_b32_e64 v3, v3, |v5|, s27
	s_and_not1_b32 exec_lo, exec_lo, s16
	s_cbranch_execnz .LBB101_42
; %bb.43:                               ;   in Loop: Header=BB101_11 Depth=1
	s_or_b32 exec_lo, exec_lo, s16
.LBB101_44:                             ;   in Loop: Header=BB101_11 Depth=1
	s_delay_alu instid0(SALU_CYCLE_1)
	s_or_b32 exec_lo, exec_lo, s9
	s_cmp_lt_i32 s8, 2
	ds_store_b32 v14, v3 offset:4
	s_waitcnt lgkmcnt(0)
	s_barrier
	buffer_gl0_inv
	s_cbranch_scc1 .LBB101_67
; %bb.45:                               ;   in Loop: Header=BB101_11 Depth=1
	s_and_saveexec_b32 s7, s2
	s_cbranch_execz .LBB101_49
; %bb.46:                               ;   in Loop: Header=BB101_11 Depth=1
	ds_load_b32 v1, v14 offset:516
	s_mov_b32 s9, exec_lo
	s_waitcnt lgkmcnt(0)
	v_cmpx_lt_f32_e32 v3, v1
	s_cbranch_execz .LBB101_48
; %bb.47:                               ;   in Loop: Header=BB101_11 Depth=1
	v_mov_b32_e32 v3, v1
	ds_store_b32 v14, v1 offset:4
.LBB101_48:                             ;   in Loop: Header=BB101_11 Depth=1
	s_or_b32 exec_lo, exec_lo, s9
.LBB101_49:                             ;   in Loop: Header=BB101_11 Depth=1
	s_delay_alu instid0(SALU_CYCLE_1)
	s_or_b32 exec_lo, exec_lo, s7
	s_waitcnt lgkmcnt(0)
	s_barrier
	buffer_gl0_inv
	s_and_saveexec_b32 s7, s3
	s_cbranch_execz .LBB101_53
; %bb.50:                               ;   in Loop: Header=BB101_11 Depth=1
	ds_load_b32 v1, v14 offset:260
	s_mov_b32 s9, exec_lo
	s_waitcnt lgkmcnt(0)
	v_cmpx_lt_f32_e32 v3, v1
	s_cbranch_execz .LBB101_52
; %bb.51:                               ;   in Loop: Header=BB101_11 Depth=1
	v_mov_b32_e32 v3, v1
	ds_store_b32 v14, v1 offset:4
.LBB101_52:                             ;   in Loop: Header=BB101_11 Depth=1
	s_or_b32 exec_lo, exec_lo, s9
.LBB101_53:                             ;   in Loop: Header=BB101_11 Depth=1
	s_delay_alu instid0(SALU_CYCLE_1)
	s_or_b32 exec_lo, exec_lo, s7
	s_waitcnt lgkmcnt(0)
	s_barrier
	buffer_gl0_inv
	s_and_saveexec_b32 s7, s4
	s_cbranch_execz .LBB101_66
; %bb.54:                               ;   in Loop: Header=BB101_11 Depth=1
	ds_load_b32 v1, v14 offset:132
	s_mov_b32 s9, exec_lo
	s_waitcnt lgkmcnt(0)
	v_cmpx_lt_f32_e32 v3, v1
	s_cbranch_execz .LBB101_56
; %bb.55:                               ;   in Loop: Header=BB101_11 Depth=1
	v_mov_b32_e32 v3, v1
	ds_store_b32 v14, v1 offset:4
.LBB101_56:                             ;   in Loop: Header=BB101_11 Depth=1
	s_or_b32 exec_lo, exec_lo, s9
	ds_load_b32 v1, v14 offset:68
	s_mov_b32 s9, exec_lo
	s_waitcnt lgkmcnt(0)
	v_cmpx_lt_f32_e32 v3, v1
	s_cbranch_execz .LBB101_58
; %bb.57:                               ;   in Loop: Header=BB101_11 Depth=1
	v_mov_b32_e32 v3, v1
	ds_store_b32 v14, v1 offset:4
.LBB101_58:                             ;   in Loop: Header=BB101_11 Depth=1
	s_or_b32 exec_lo, exec_lo, s9
	;; [unrolled: 10-line block ×5, first 2 shown]
	ds_load_b32 v1, v14 offset:8
	s_waitcnt lgkmcnt(0)
	v_cmp_lt_f32_e32 vcc_lo, v3, v1
	s_and_b32 exec_lo, exec_lo, vcc_lo
	s_cbranch_execz .LBB101_66
; %bb.65:                               ;   in Loop: Header=BB101_11 Depth=1
	ds_store_b32 v14, v1 offset:4
.LBB101_66:                             ;   in Loop: Header=BB101_11 Depth=1
	s_or_b32 exec_lo, exec_lo, s7
.LBB101_67:                             ;   in Loop: Header=BB101_11 Depth=1
	s_lshl_b64 s[44:45], s[42:43], 2
	s_waitcnt lgkmcnt(0)
	s_add_u32 s16, s33, s44
	s_addc_u32 s90, s72, s45
	s_add_u32 s58, s20, s44
	s_addc_u32 s59, s30, s45
	s_barrier
	buffer_gl0_inv
	s_and_saveexec_b32 s50, s5
	s_cbranch_execz .LBB101_82
; %bb.68:                               ;   in Loop: Header=BB101_11 Depth=1
	s_ashr_i32 s27, s26, 31
	s_delay_alu instid0(SALU_CYCLE_1) | instskip(NEXT) | instid1(SALU_CYCLE_1)
	s_lshl_b64 s[46:47], s[26:27], 2
	s_add_u32 s46, s20, s46
	s_addc_u32 s47, s30, s47
	s_clause 0x1
	global_load_b32 v2, v17, s[58:59]
	global_load_b32 v3, v17, s[46:47]
	s_ashr_i32 s9, s8, 31
	s_delay_alu instid0(SALU_CYCLE_1) | instskip(NEXT) | instid1(SALU_CYCLE_1)
	s_lshl_b64 s[46:47], s[8:9], 2
	s_add_u32 s9, s58, s46
	s_addc_u32 s27, s59, s47
	s_waitcnt vmcnt(0)
	v_cmp_ge_f32_e64 s7, |v2|, |v3|
	s_delay_alu instid0(VALU_DEP_1)
	s_and_b32 s46, s7, exec_lo
	s_cselect_b32 s47, s59, s27
	s_cselect_b32 s46, s58, s9
	v_cndmask_b32_e64 v4, 0, 1, s7
	global_load_b32 v1, v17, s[46:47]
	s_cmp_lt_i32 s8, 1
	ds_store_b32 v17, v4 offset:1028
	s_waitcnt vmcnt(0)
	v_and_b32_e32 v1, 0x7fffffff, v1
	s_cbranch_scc1 .LBB101_75
; %bb.69:                               ;   in Loop: Header=BB101_11 Depth=1
	s_delay_alu instid0(VALU_DEP_1)
	v_mov_b32_e32 v4, v1
	s_not_b32 s9, s42
	s_mov_b32 s27, 0
	s_add_i32 s9, s9, s26
	s_branch .LBB101_71
.LBB101_70:                             ;   in Loop: Header=BB101_71 Depth=2
	s_add_i32 s27, s27, 1
	s_and_b32 s51, s7, exec_lo
	s_cselect_b32 s52, s27, s9
	v_add_f32_e64 v5, v4, |v5|
	s_ashr_i32 s53, s52, 31
	s_mov_b32 s51, 0
	s_lshl_b64 s[52:53], s[52:53], 2
	s_delay_alu instid0(VALU_DEP_1)
	v_div_scale_f32 v7, null, v5, v5, v4
	s_add_u32 s52, s58, s52
	s_addc_u32 s53, s59, s53
	v_div_scale_f32 v10, vcc_lo, v4, v5, v4
	global_load_b32 v6, v17, s[52:53]
	v_rcp_f32_e32 v8, v7
	s_add_i32 s9, s9, -1
	s_delay_alu instid0(SALU_CYCLE_1) | instskip(SKIP_3) | instid1(VALU_DEP_1)
	s_cmp_eq_u32 s9, -1
	s_cselect_b32 s52, -1, 0
	s_waitcnt_depctr 0xfff
	v_fma_f32 v9, -v7, v8, 1.0
	v_fmac_f32_e32 v8, v9, v8
	s_delay_alu instid0(VALU_DEP_1) | instskip(NEXT) | instid1(VALU_DEP_1)
	v_mul_f32_e32 v9, v10, v8
	v_fma_f32 v11, -v7, v9, v10
	s_delay_alu instid0(VALU_DEP_1) | instskip(NEXT) | instid1(VALU_DEP_1)
	v_fmac_f32_e32 v9, v11, v8
	v_fma_f32 v7, -v7, v9, v10
	s_delay_alu instid0(VALU_DEP_1) | instskip(NEXT) | instid1(VALU_DEP_1)
	v_div_fmas_f32 v7, v7, v8, v9
	v_div_fixup_f32 v4, v7, v5, v4
	s_waitcnt vmcnt(0)
	s_delay_alu instid0(VALU_DEP_1) | instskip(NEXT) | instid1(VALU_DEP_1)
	v_mul_f32_e64 v4, v4, |v6|
	v_cmp_lt_f32_e32 vcc_lo, v4, v1
	v_cndmask_b32_e32 v1, v1, v4, vcc_lo
	s_and_not1_b32 vcc_lo, exec_lo, s52
	s_cbranch_vccz .LBB101_73
.LBB101_71:                             ;   Parent Loop BB101_11 Depth=1
                                        ; =>  This Inner Loop Header: Depth=2
	s_and_b32 s46, s7, exec_lo
	s_cselect_b32 s46, s27, s9
	v_mul_f32_e32 v6, s38, v4
	s_ashr_i32 s47, s46, 31
	s_delay_alu instid0(SALU_CYCLE_1) | instskip(NEXT) | instid1(SALU_CYCLE_1)
	s_lshl_b64 s[46:47], s[46:47], 2
	s_add_u32 s46, s16, s46
	s_addc_u32 s47, s90, s47
	global_load_b32 v5, v17, s[46:47]
	s_waitcnt vmcnt(0)
	v_cmp_nle_f32_e64 s51, |v5|, v6
	s_delay_alu instid0(VALU_DEP_1)
	s_and_b32 vcc_lo, exec_lo, s51
	s_cbranch_vccnz .LBB101_70
; %bb.72:                               ;   in Loop: Header=BB101_11 Depth=1
	s_mov_b32 s51, -1
                                        ; implicit-def: $vgpr4
                                        ; implicit-def: $sgpr9
                                        ; implicit-def: $sgpr27
                                        ; implicit-def: $vgpr1
.LBB101_73:                             ;   in Loop: Header=BB101_11 Depth=1
	s_delay_alu instid0(SALU_CYCLE_1)
	s_and_b32 vcc_lo, exec_lo, s51
	s_cbranch_vccz .LBB101_75
; %bb.74:                               ;   in Loop: Header=BB101_11 Depth=1
	v_mov_b32_e32 v1, -1.0
	global_store_b32 v17, v17, s[46:47]
.LBB101_75:                             ;   in Loop: Header=BB101_11 Depth=1
	s_delay_alu instid0(VALU_DEP_1)
	v_cmp_nle_f32_e32 vcc_lo, 0, v1
	v_and_b32_e32 v2, 0x7fffffff, v2
	v_and_b32_e32 v3, 0x7fffffff, v3
	ds_store_b32 v17, v1 offset:1032
	ds_store_b8 v17, v17 offset:1036
	s_cbranch_vccnz .LBB101_82
; %bb.76:                               ;   in Loop: Header=BB101_11 Depth=1
	ds_load_b64 v[4:5], v17
	s_mov_b32 s9, -1
	s_waitcnt lgkmcnt(0)
	v_cmp_lt_f32_e32 vcc_lo, v4, v5
	v_cndmask_b32_e32 v4, v4, v5, vcc_lo
	s_delay_alu instid0(VALU_DEP_1) | instskip(NEXT) | instid1(VALU_DEP_1)
	v_div_scale_f32 v5, null, v4, v4, v1
	v_rcp_f32_e32 v6, v5
	s_waitcnt_depctr 0xfff
	v_fma_f32 v7, -v5, v6, 1.0
	s_delay_alu instid0(VALU_DEP_1) | instskip(SKIP_1) | instid1(VALU_DEP_1)
	v_fmac_f32_e32 v6, v7, v6
	v_div_scale_f32 v7, vcc_lo, v1, v4, v1
	v_mul_f32_e32 v8, v7, v6
	s_delay_alu instid0(VALU_DEP_1) | instskip(NEXT) | instid1(VALU_DEP_1)
	v_fma_f32 v9, -v5, v8, v7
	v_fmac_f32_e32 v8, v9, v6
	s_delay_alu instid0(VALU_DEP_1) | instskip(NEXT) | instid1(VALU_DEP_1)
	v_fma_f32 v5, -v5, v8, v7
	v_div_fmas_f32 v5, v5, v6, v8
	s_delay_alu instid0(VALU_DEP_1) | instskip(NEXT) | instid1(VALU_DEP_1)
	v_div_fixup_f32 v4, v5, v4, v1
	v_cmp_ge_f32_e32 vcc_lo, s39, v4
	s_cbranch_vccnz .LBB101_79
; %bb.77:                               ;   in Loop: Header=BB101_11 Depth=1
	v_cndmask_b32_e64 v2, v3, v2, s7
	s_mov_b32 s9, 0
	s_delay_alu instid0(VALU_DEP_1)
	v_cmp_lt_f32_e32 vcc_lo, 0, v2
	s_cbranch_vccz .LBB101_79
; %bb.78:                               ;   in Loop: Header=BB101_11 Depth=1
	v_mul_f32_e32 v1, v1, v1
	s_delay_alu instid0(VALU_DEP_1) | instskip(SKIP_1) | instid1(VALU_DEP_2)
	v_div_scale_f32 v3, null, v2, v2, v1
	v_div_scale_f32 v6, vcc_lo, v1, v2, v1
	v_rcp_f32_e32 v4, v3
	s_waitcnt_depctr 0xfff
	v_fma_f32 v5, -v3, v4, 1.0
	s_delay_alu instid0(VALU_DEP_1) | instskip(NEXT) | instid1(VALU_DEP_1)
	v_fmac_f32_e32 v4, v5, v4
	v_mul_f32_e32 v5, v6, v4
	s_delay_alu instid0(VALU_DEP_1) | instskip(NEXT) | instid1(VALU_DEP_1)
	v_fma_f32 v7, -v3, v5, v6
	v_fmac_f32_e32 v5, v7, v4
	s_delay_alu instid0(VALU_DEP_1) | instskip(NEXT) | instid1(VALU_DEP_1)
	v_fma_f32 v3, -v3, v5, v6
	v_div_fmas_f32 v3, v3, v4, v5
	s_delay_alu instid0(VALU_DEP_1) | instskip(NEXT) | instid1(VALU_DEP_1)
	v_div_fixup_f32 v1, v3, v2, v1
	v_div_scale_f32 v3, null, v2, v2, v1
	s_delay_alu instid0(VALU_DEP_1) | instskip(SKIP_2) | instid1(VALU_DEP_1)
	v_rcp_f32_e32 v4, v3
	s_waitcnt_depctr 0xfff
	v_fma_f32 v5, -v3, v4, 1.0
	v_fmac_f32_e32 v4, v5, v4
	v_div_scale_f32 v5, vcc_lo, v1, v2, v1
	s_delay_alu instid0(VALU_DEP_1) | instskip(NEXT) | instid1(VALU_DEP_1)
	v_mul_f32_e32 v6, v5, v4
	v_fma_f32 v7, -v3, v6, v5
	s_delay_alu instid0(VALU_DEP_1) | instskip(NEXT) | instid1(VALU_DEP_1)
	v_fmac_f32_e32 v6, v7, v4
	v_fma_f32 v3, -v3, v6, v5
	s_delay_alu instid0(VALU_DEP_1) | instskip(NEXT) | instid1(VALU_DEP_1)
	v_div_fmas_f32 v3, v3, v4, v6
	v_div_fixup_f32 v1, v3, v2, v1
	s_delay_alu instid0(VALU_DEP_1)
	v_cmp_gt_f32_e64 s9, s25, v1
.LBB101_79:                             ;   in Loop: Header=BB101_11 Depth=1
	s_delay_alu instid0(VALU_DEP_1)
	s_and_b32 vcc_lo, exec_lo, s9
	s_cbranch_vccz .LBB101_81
; %bb.80:                               ;   in Loop: Header=BB101_11 Depth=1
	ds_store_b32 v17, v17 offset:1032
.LBB101_81:                             ;   in Loop: Header=BB101_11 Depth=1
	ds_store_b8 v17, v24 offset:1036
.LBB101_82:                             ;   in Loop: Header=BB101_11 Depth=1
	s_or_b32 exec_lo, exec_lo, s50
	s_waitcnt lgkmcnt(0)
	s_waitcnt_vscnt null, 0x0
	s_barrier
	buffer_gl0_inv
	ds_load_u8 v1, v17 offset:1036
	s_mov_b32 s7, -1
	s_waitcnt lgkmcnt(0)
	v_cmp_eq_u32_e32 vcc_lo, 0, v1
	s_cbranch_vccz .LBB101_86
; %bb.83:                               ;   in Loop: Header=BB101_11 Depth=1
	s_and_saveexec_b32 s7, s5
	s_cbranch_execz .LBB101_85
; %bb.84:                               ;   in Loop: Header=BB101_11 Depth=1
	global_store_b32 v17, v17, s[48:49]
.LBB101_85:                             ;   in Loop: Header=BB101_11 Depth=1
	s_or_b32 exec_lo, exec_lo, s7
	s_mov_b32 s7, 0
.LBB101_86:                             ;   in Loop: Header=BB101_11 Depth=1
	s_delay_alu instid0(SALU_CYCLE_1)
	s_and_not1_b32 vcc_lo, exec_lo, s7
	s_cbranch_vccnz .LBB101_10
; %bb.87:                               ;   in Loop: Header=BB101_11 Depth=1
	ds_load_b32 v1, v17 offset:1028
	s_waitcnt lgkmcnt(0)
	v_readfirstlane_b32 s46, v1
	s_and_saveexec_b32 s7, s5
	s_cbranch_execz .LBB101_89
; %bb.88:                               ;   in Loop: Header=BB101_11 Depth=1
	s_delay_alu instid0(VALU_DEP_1) | instskip(SKIP_1) | instid1(SALU_CYCLE_1)
	s_cmp_eq_u32 s46, 0
	s_cselect_b32 s9, -1, 1
	v_mov_b32_e32 v1, s9
	global_store_b32 v17, v1, s[48:49]
.LBB101_89:                             ;   in Loop: Header=BB101_11 Depth=1
	s_or_b32 exec_lo, exec_lo, s7
	s_add_i32 s54, s8, 1
	s_mul_i32 s48, s42, s74
	s_sub_i32 s52, 1, s46
	s_ashr_i32 s49, s48, 31
	s_sub_i32 s50, s46, s52
	s_lshl_b32 s7, s54, 1
	s_and_b32 s9, s73, exec_lo
	s_cselect_b32 s9, s7, 0
	s_and_saveexec_b32 s27, s5
	s_cbranch_execz .LBB101_157
; %bb.90:                               ;   in Loop: Header=BB101_11 Depth=1
	s_cmp_lg_u32 s46, 0
	v_mov_b32_e32 v4, 0
	s_cselect_b32 s91, -1, 0
	s_delay_alu instid0(SALU_CYCLE_1) | instskip(SKIP_1) | instid1(SALU_CYCLE_1)
	s_and_b32 s7, s91, exec_lo
	s_cselect_b32 s56, 0, s8
	s_ashr_i32 s57, s56, 31
	s_delay_alu instid0(SALU_CYCLE_1) | instskip(NEXT) | instid1(SALU_CYCLE_1)
	s_lshl_b64 s[60:61], s[56:57], 2
	s_add_u32 s58, s58, s60
	s_addc_u32 s59, s59, s61
	global_load_b32 v3, v17, s[58:59]
	s_waitcnt vmcnt(0)
	v_cmp_eq_f32_e32 vcc_lo, 0, v3
	s_cbranch_vccnz .LBB101_92
; %bb.91:                               ;   in Loop: Header=BB101_11 Depth=1
	ds_load_b32 v1, v17 offset:1032
	v_cmp_lt_f32_e64 s7, 0, v3
	s_waitcnt lgkmcnt(0)
	v_div_scale_f32 v2, null, v3, v3, v1
	v_div_scale_f32 v6, vcc_lo, v1, v3, v1
	s_delay_alu instid0(VALU_DEP_2) | instskip(SKIP_2) | instid1(VALU_DEP_1)
	v_rcp_f32_e32 v4, v2
	s_waitcnt_depctr 0xfff
	v_fma_f32 v5, -v2, v4, 1.0
	v_fmac_f32_e32 v4, v5, v4
	s_delay_alu instid0(VALU_DEP_1) | instskip(NEXT) | instid1(VALU_DEP_1)
	v_mul_f32_e32 v5, v6, v4
	v_fma_f32 v7, -v2, v5, v6
	s_delay_alu instid0(VALU_DEP_1) | instskip(SKIP_2) | instid1(VALU_DEP_3)
	v_fmac_f32_e32 v5, v7, v4
	v_cndmask_b32_e64 v7, 0, 1, s7
	v_cmp_gt_f32_e64 s7, 0, v3
	v_fma_f32 v2, -v2, v5, v6
	s_delay_alu instid0(VALU_DEP_2) | instskip(NEXT) | instid1(VALU_DEP_2)
	v_subrev_co_ci_u32_e64 v6, s7, 0, v7, s7
	v_div_fmas_f32 v2, v2, v4, v5
	s_delay_alu instid0(VALU_DEP_2) | instskip(NEXT) | instid1(VALU_DEP_2)
	v_cvt_f32_i32_e32 v4, v6
	v_div_fixup_f32 v2, v2, v3, v1
	v_sub_f32_e64 v1, |v3|, v1
	s_delay_alu instid0(VALU_DEP_2) | instskip(NEXT) | instid1(VALU_DEP_1)
	v_add_f32_e32 v2, v2, v4
	v_mul_f32_e32 v4, v1, v2
.LBB101_92:                             ;   in Loop: Header=BB101_11 Depth=1
	s_cmp_gt_i32 s8, 0
	s_cbranch_scc1 .LBB101_94
; %bb.93:                               ;   in Loop: Header=BB101_11 Depth=1
	s_add_i32 s51, s8, -1
	s_cbranch_execz .LBB101_95
	s_branch .LBB101_156
.LBB101_94:                             ;   in Loop: Header=BB101_11 Depth=1
                                        ; implicit-def: $sgpr51
.LBB101_95:                             ;   in Loop: Header=BB101_11 Depth=1
	s_ashr_i32 s47, s46, 31
	s_sub_u32 s51, 0, s46
	s_subb_u32 s55, 0, s47
	s_add_u32 s60, s56, s46
	s_addc_u32 s61, s57, s47
	v_mov_b32_e32 v7, 0
	s_lshl_b64 s[62:63], s[60:61], 2
	s_delay_alu instid0(SALU_CYCLE_1)
	s_add_u32 s64, s16, s62
	s_addc_u32 s65, s90, s63
	global_load_b32 v5, v17, s[64:65] offset:-4
	s_waitcnt vmcnt(0)
	v_cmp_eq_f32_e32 vcc_lo, 0, v5
	s_cbranch_vccnz .LBB101_99
; %bb.96:                               ;   in Loop: Header=BB101_11 Depth=1
	v_cmp_eq_f32_e32 vcc_lo, 0, v4
	v_mov_b32_e32 v6, 0
	s_cbranch_vccnz .LBB101_100
; %bb.97:                               ;   in Loop: Header=BB101_11 Depth=1
	v_cmp_gt_f32_e64 s7, |v5|, |v4|
	s_delay_alu instid0(VALU_DEP_1)
	s_and_b32 vcc_lo, exec_lo, s7
	s_cbranch_vccnz .LBB101_101
; %bb.98:                               ;   in Loop: Header=BB101_11 Depth=1
	v_div_scale_f32 v1, null, v4, v4, -v5
	v_div_scale_f32 v7, vcc_lo, -v5, v4, -v5
	s_delay_alu instid0(VALU_DEP_2) | instskip(SKIP_2) | instid1(VALU_DEP_1)
	v_rcp_f32_e32 v2, v1
	s_waitcnt_depctr 0xfff
	v_fma_f32 v6, -v1, v2, 1.0
	v_fmac_f32_e32 v2, v6, v2
	s_delay_alu instid0(VALU_DEP_1) | instskip(NEXT) | instid1(VALU_DEP_1)
	v_mul_f32_e32 v6, v7, v2
	v_fma_f32 v8, -v1, v6, v7
	s_delay_alu instid0(VALU_DEP_1) | instskip(NEXT) | instid1(VALU_DEP_1)
	v_fmac_f32_e32 v6, v8, v2
	v_fma_f32 v1, -v1, v6, v7
	s_delay_alu instid0(VALU_DEP_1) | instskip(NEXT) | instid1(VALU_DEP_1)
	v_div_fmas_f32 v1, v1, v2, v6
	v_div_fixup_f32 v1, v1, v4, -v5
	s_delay_alu instid0(VALU_DEP_1) | instskip(NEXT) | instid1(VALU_DEP_1)
	v_fma_f32 v2, v1, v1, 1.0
	v_mul_f32_e32 v6, 0x4f800000, v2
	v_cmp_gt_f32_e32 vcc_lo, 0xf800000, v2
	s_delay_alu instid0(VALU_DEP_2) | instskip(NEXT) | instid1(VALU_DEP_1)
	v_cndmask_b32_e32 v2, v2, v6, vcc_lo
	v_sqrt_f32_e32 v6, v2
	s_waitcnt_depctr 0xfff
	v_add_nc_u32_e32 v7, -1, v6
	v_add_nc_u32_e32 v8, 1, v6
	s_delay_alu instid0(VALU_DEP_2) | instskip(NEXT) | instid1(VALU_DEP_2)
	v_fma_f32 v9, -v7, v6, v2
	v_fma_f32 v10, -v8, v6, v2
	s_delay_alu instid0(VALU_DEP_2) | instskip(NEXT) | instid1(VALU_DEP_1)
	v_cmp_ge_f32_e64 s7, 0, v9
	v_cndmask_b32_e64 v6, v6, v7, s7
	s_delay_alu instid0(VALU_DEP_3) | instskip(NEXT) | instid1(VALU_DEP_1)
	v_cmp_lt_f32_e64 s7, 0, v10
	v_cndmask_b32_e64 v6, v6, v8, s7
	s_mov_b32 s7, 0
	s_delay_alu instid0(VALU_DEP_1) | instskip(NEXT) | instid1(VALU_DEP_1)
	v_mul_f32_e32 v7, 0x37800000, v6
	v_cndmask_b32_e32 v6, v6, v7, vcc_lo
	v_cmp_class_f32_e64 vcc_lo, v2, 0x260
	s_delay_alu instid0(VALU_DEP_2) | instskip(NEXT) | instid1(VALU_DEP_1)
	v_cndmask_b32_e32 v2, v6, v2, vcc_lo
	v_div_scale_f32 v6, null, v2, v2, 1.0
	s_delay_alu instid0(VALU_DEP_1) | instskip(SKIP_2) | instid1(VALU_DEP_1)
	v_rcp_f32_e32 v7, v6
	s_waitcnt_depctr 0xfff
	v_fma_f32 v8, -v6, v7, 1.0
	v_fmac_f32_e32 v7, v8, v7
	v_div_scale_f32 v8, vcc_lo, 1.0, v2, 1.0
	s_delay_alu instid0(VALU_DEP_1) | instskip(NEXT) | instid1(VALU_DEP_1)
	v_mul_f32_e32 v9, v8, v7
	v_fma_f32 v10, -v6, v9, v8
	s_delay_alu instid0(VALU_DEP_1) | instskip(NEXT) | instid1(VALU_DEP_1)
	v_fmac_f32_e32 v9, v10, v7
	v_fma_f32 v6, -v6, v9, v8
	s_delay_alu instid0(VALU_DEP_1) | instskip(NEXT) | instid1(VALU_DEP_1)
	v_div_fmas_f32 v6, v6, v7, v9
	v_div_fixup_f32 v6, v6, v2, 1.0
	s_delay_alu instid0(VALU_DEP_1)
	v_mul_f32_e32 v7, v1, v6
	s_branch .LBB101_102
.LBB101_99:                             ;   in Loop: Header=BB101_11 Depth=1
	v_mov_b32_e32 v6, 1.0
	s_branch .LBB101_104
.LBB101_100:                            ;   in Loop: Header=BB101_11 Depth=1
	v_mov_b32_e32 v7, 1.0
	s_branch .LBB101_104
.LBB101_101:                            ;   in Loop: Header=BB101_11 Depth=1
	s_mov_b32 s7, -1
                                        ; implicit-def: $vgpr6
                                        ; implicit-def: $vgpr7
.LBB101_102:                            ;   in Loop: Header=BB101_11 Depth=1
	s_delay_alu instid0(SALU_CYCLE_1)
	s_and_not1_b32 vcc_lo, exec_lo, s7
	s_cbranch_vccnz .LBB101_104
; %bb.103:                              ;   in Loop: Header=BB101_11 Depth=1
	v_div_scale_f32 v1, null, v5, v5, -v4
	v_div_scale_f32 v7, vcc_lo, -v4, v5, -v4
	s_delay_alu instid0(VALU_DEP_2) | instskip(SKIP_2) | instid1(VALU_DEP_1)
	v_rcp_f32_e32 v2, v1
	s_waitcnt_depctr 0xfff
	v_fma_f32 v6, -v1, v2, 1.0
	v_fmac_f32_e32 v2, v6, v2
	s_delay_alu instid0(VALU_DEP_1) | instskip(NEXT) | instid1(VALU_DEP_1)
	v_mul_f32_e32 v6, v7, v2
	v_fma_f32 v8, -v1, v6, v7
	s_delay_alu instid0(VALU_DEP_1) | instskip(NEXT) | instid1(VALU_DEP_1)
	v_fmac_f32_e32 v6, v8, v2
	v_fma_f32 v1, -v1, v6, v7
	s_delay_alu instid0(VALU_DEP_1) | instskip(NEXT) | instid1(VALU_DEP_1)
	v_div_fmas_f32 v1, v1, v2, v6
	v_div_fixup_f32 v1, v1, v5, -v4
	s_delay_alu instid0(VALU_DEP_1) | instskip(NEXT) | instid1(VALU_DEP_1)
	v_fma_f32 v2, v1, v1, 1.0
	v_mul_f32_e32 v4, 0x4f800000, v2
	v_cmp_gt_f32_e32 vcc_lo, 0xf800000, v2
	s_delay_alu instid0(VALU_DEP_2) | instskip(NEXT) | instid1(VALU_DEP_1)
	v_cndmask_b32_e32 v2, v2, v4, vcc_lo
	v_sqrt_f32_e32 v4, v2
	s_waitcnt_depctr 0xfff
	v_add_nc_u32_e32 v7, 1, v4
	v_add_nc_u32_e32 v6, -1, v4
	s_delay_alu instid0(VALU_DEP_2) | instskip(NEXT) | instid1(VALU_DEP_2)
	v_fma_f32 v9, -v7, v4, v2
	v_fma_f32 v8, -v6, v4, v2
	s_delay_alu instid0(VALU_DEP_1) | instskip(NEXT) | instid1(VALU_DEP_1)
	v_cmp_ge_f32_e64 s7, 0, v8
	v_cndmask_b32_e64 v4, v4, v6, s7
	s_delay_alu instid0(VALU_DEP_4) | instskip(NEXT) | instid1(VALU_DEP_1)
	v_cmp_lt_f32_e64 s7, 0, v9
	v_cndmask_b32_e64 v4, v4, v7, s7
	s_delay_alu instid0(VALU_DEP_1) | instskip(NEXT) | instid1(VALU_DEP_1)
	v_mul_f32_e32 v6, 0x37800000, v4
	v_cndmask_b32_e32 v4, v4, v6, vcc_lo
	v_cmp_class_f32_e64 vcc_lo, v2, 0x260
	s_delay_alu instid0(VALU_DEP_2) | instskip(NEXT) | instid1(VALU_DEP_1)
	v_cndmask_b32_e32 v2, v4, v2, vcc_lo
	v_div_scale_f32 v4, null, v2, v2, 1.0
	s_delay_alu instid0(VALU_DEP_1) | instskip(SKIP_2) | instid1(VALU_DEP_1)
	v_rcp_f32_e32 v6, v4
	s_waitcnt_depctr 0xfff
	v_fma_f32 v7, -v4, v6, 1.0
	v_fmac_f32_e32 v6, v7, v6
	v_div_scale_f32 v7, vcc_lo, 1.0, v2, 1.0
	s_delay_alu instid0(VALU_DEP_1) | instskip(NEXT) | instid1(VALU_DEP_1)
	v_mul_f32_e32 v8, v7, v6
	v_fma_f32 v9, -v4, v8, v7
	s_delay_alu instid0(VALU_DEP_1) | instskip(NEXT) | instid1(VALU_DEP_1)
	v_fmac_f32_e32 v8, v9, v6
	v_fma_f32 v4, -v4, v8, v7
	s_delay_alu instid0(VALU_DEP_1) | instskip(NEXT) | instid1(VALU_DEP_1)
	v_div_fmas_f32 v4, v4, v6, v8
	v_div_fixup_f32 v7, v4, v2, 1.0
	s_delay_alu instid0(VALU_DEP_1)
	v_mul_f32_e32 v6, v1, v7
.LBB101_104:                            ;   in Loop: Header=BB101_11 Depth=1
	s_lshl_b64 s[66:67], s[48:49], 2
	s_and_b32 s7, s73, s91
	s_add_u32 s53, s36, s66
	s_addc_u32 s57, s37, s67
	v_mul_f32_e32 v1, v5, v6
	s_add_u32 s53, s53, 16
	s_addc_u32 s57, s57, 0
	s_sub_u32 s68, s46, s51
	s_subb_u32 s69, s47, s55
	v_fmac_f32_e32 v1, v3, v7
	s_lshl_b64 s[70:71], s[68:69], 2
	s_delay_alu instid0(SALU_CYCLE_1)
	s_add_u32 s70, s58, s70
	s_addc_u32 s71, s59, s71
	global_store_b32 v17, v1, s[64:65] offset:-4
	global_load_b32 v2, v17, s[70:71] offset:-4
	v_cndmask_b32_e64 v1, 0, 1, s7
	s_and_not1_b32 vcc_lo, exec_lo, s7
	s_waitcnt vmcnt(0)
	v_mul_f32_e32 v4, v6, v2
	global_store_b32 v17, v4, s[70:71] offset:-4
	s_cbranch_vccnz .LBB101_106
; %bb.105:                              ;   in Loop: Header=BB101_11 Depth=1
	s_add_u32 s92, s53, s62
	s_addc_u32 s93, s57, s63
	s_ashr_i32 s55, s54, 31
	s_delay_alu instid0(SALU_CYCLE_1) | instskip(NEXT) | instid1(SALU_CYCLE_1)
	s_lshl_b64 s[94:95], s[54:55], 2
	s_add_u32 s94, s92, s94
	s_addc_u32 s95, s93, s95
	s_clause 0x1
	global_store_b32 v17, v6, s[92:93] offset:-4
	global_store_b32 v17, v7, s[94:95] offset:-4
.LBB101_106:                            ;   in Loop: Header=BB101_11 Depth=1
	s_cmp_lg_u32 s46, 1
	s_cselect_b32 s93, -1, 0
	s_cmp_eq_u32 s46, 1
	s_cselect_b32 s7, -1, 0
	s_delay_alu instid0(SALU_CYCLE_1) | instskip(NEXT) | instid1(SALU_CYCLE_1)
	s_or_b32 s92, s76, s7
	s_and_b32 vcc_lo, exec_lo, s92
	s_cbranch_vccnz .LBB101_108
; %bb.107:                              ;   in Loop: Header=BB101_11 Depth=1
	s_ashr_i32 s7, s9, 31
	s_add_u32 s94, s60, s9
	s_addc_u32 s95, s61, s7
	s_delay_alu instid0(SALU_CYCLE_1) | instskip(NEXT) | instid1(SALU_CYCLE_1)
	s_lshl_b64 s[94:95], s[94:95], 2
	s_add_u32 s94, s53, s94
	s_addc_u32 s95, s57, s95
	s_ashr_i32 s55, s54, 31
	s_delay_alu instid0(SALU_CYCLE_1) | instskip(NEXT) | instid1(SALU_CYCLE_1)
	s_lshl_b64 s[96:97], s[54:55], 2
	s_add_u32 s96, s94, s96
	s_addc_u32 s97, s95, s97
	s_clause 0x1
	global_store_b32 v17, v6, s[94:95] offset:-4
	global_store_b32 v17, v7, s[96:97] offset:-4
.LBB101_108:                            ;   in Loop: Header=BB101_11 Depth=1
	v_mul_f32_e64 v2, v2, -v7
	v_dual_mul_f32 v4, v5, v7 :: v_dual_mov_b32 v5, 0
	s_delay_alu instid0(VALU_DEP_2) | instskip(NEXT) | instid1(VALU_DEP_2)
	v_cmp_eq_f32_e32 vcc_lo, 0, v2
	v_fma_f32 v3, v3, v6, -v4
	s_cbranch_vccnz .LBB101_112
; %bb.109:                              ;   in Loop: Header=BB101_11 Depth=1
	s_delay_alu instid0(VALU_DEP_1)
	v_cmp_eq_f32_e32 vcc_lo, 0, v3
	s_cbranch_vccnz .LBB101_113
; %bb.110:                              ;   in Loop: Header=BB101_11 Depth=1
	v_cmp_gt_f32_e64 s7, |v2|, |v3|
	s_delay_alu instid0(VALU_DEP_1)
	s_and_b32 vcc_lo, exec_lo, s7
	s_cbranch_vccnz .LBB101_114
; %bb.111:                              ;   in Loop: Header=BB101_11 Depth=1
	v_div_scale_f32 v4, null, v3, v3, -v2
	v_div_scale_f32 v7, vcc_lo, -v2, v3, -v2
	s_delay_alu instid0(VALU_DEP_2) | instskip(SKIP_2) | instid1(VALU_DEP_1)
	v_rcp_f32_e32 v5, v4
	s_waitcnt_depctr 0xfff
	v_fma_f32 v6, -v4, v5, 1.0
	v_fmac_f32_e32 v5, v6, v5
	s_delay_alu instid0(VALU_DEP_1) | instskip(NEXT) | instid1(VALU_DEP_1)
	v_mul_f32_e32 v6, v7, v5
	v_fma_f32 v8, -v4, v6, v7
	s_delay_alu instid0(VALU_DEP_1) | instskip(NEXT) | instid1(VALU_DEP_1)
	v_fmac_f32_e32 v6, v8, v5
	v_fma_f32 v4, -v4, v6, v7
	s_delay_alu instid0(VALU_DEP_1) | instskip(NEXT) | instid1(VALU_DEP_1)
	v_div_fmas_f32 v4, v4, v5, v6
	v_div_fixup_f32 v5, v4, v3, -v2
	s_delay_alu instid0(VALU_DEP_1) | instskip(NEXT) | instid1(VALU_DEP_1)
	v_fma_f32 v4, v5, v5, 1.0
	v_mul_f32_e32 v6, 0x4f800000, v4
	v_cmp_gt_f32_e32 vcc_lo, 0xf800000, v4
	s_delay_alu instid0(VALU_DEP_2) | instskip(NEXT) | instid1(VALU_DEP_1)
	v_cndmask_b32_e32 v4, v4, v6, vcc_lo
	v_sqrt_f32_e32 v6, v4
	s_waitcnt_depctr 0xfff
	v_add_nc_u32_e32 v7, -1, v6
	v_add_nc_u32_e32 v8, 1, v6
	s_delay_alu instid0(VALU_DEP_2) | instskip(NEXT) | instid1(VALU_DEP_2)
	v_fma_f32 v9, -v7, v6, v4
	v_fma_f32 v10, -v8, v6, v4
	s_delay_alu instid0(VALU_DEP_2) | instskip(NEXT) | instid1(VALU_DEP_1)
	v_cmp_ge_f32_e64 s7, 0, v9
	v_cndmask_b32_e64 v6, v6, v7, s7
	s_delay_alu instid0(VALU_DEP_3) | instskip(NEXT) | instid1(VALU_DEP_1)
	v_cmp_lt_f32_e64 s7, 0, v10
	v_cndmask_b32_e64 v6, v6, v8, s7
	s_mov_b32 s7, 0
	s_delay_alu instid0(VALU_DEP_1) | instskip(NEXT) | instid1(VALU_DEP_1)
	v_mul_f32_e32 v7, 0x37800000, v6
	v_cndmask_b32_e32 v6, v6, v7, vcc_lo
	v_cmp_class_f32_e64 vcc_lo, v4, 0x260
	s_delay_alu instid0(VALU_DEP_2) | instskip(NEXT) | instid1(VALU_DEP_1)
	v_cndmask_b32_e32 v4, v6, v4, vcc_lo
	v_div_scale_f32 v6, null, v4, v4, 1.0
	s_delay_alu instid0(VALU_DEP_1) | instskip(SKIP_2) | instid1(VALU_DEP_1)
	v_rcp_f32_e32 v7, v6
	s_waitcnt_depctr 0xfff
	v_fma_f32 v8, -v6, v7, 1.0
	v_fmac_f32_e32 v7, v8, v7
	v_div_scale_f32 v8, vcc_lo, 1.0, v4, 1.0
	s_delay_alu instid0(VALU_DEP_1) | instskip(NEXT) | instid1(VALU_DEP_1)
	v_mul_f32_e32 v9, v8, v7
	v_fma_f32 v10, -v6, v9, v8
	s_delay_alu instid0(VALU_DEP_1) | instskip(NEXT) | instid1(VALU_DEP_1)
	v_fmac_f32_e32 v9, v10, v7
	v_fma_f32 v6, -v6, v9, v8
	s_delay_alu instid0(VALU_DEP_1) | instskip(NEXT) | instid1(VALU_DEP_1)
	v_div_fmas_f32 v6, v6, v7, v9
	v_div_fixup_f32 v4, v6, v4, 1.0
	s_delay_alu instid0(VALU_DEP_1)
	v_mul_f32_e32 v5, v5, v4
	s_branch .LBB101_115
.LBB101_112:                            ;   in Loop: Header=BB101_11 Depth=1
	v_mov_b32_e32 v4, 1.0
	s_branch .LBB101_119
.LBB101_113:                            ;   in Loop: Header=BB101_11 Depth=1
                                        ; implicit-def: $vgpr3
                                        ; implicit-def: $vgpr4
                                        ; implicit-def: $vgpr5
	s_cbranch_execnz .LBB101_118
	s_branch .LBB101_119
.LBB101_114:                            ;   in Loop: Header=BB101_11 Depth=1
	s_mov_b32 s7, -1
                                        ; implicit-def: $vgpr4
                                        ; implicit-def: $vgpr5
.LBB101_115:                            ;   in Loop: Header=BB101_11 Depth=1
	s_delay_alu instid0(SALU_CYCLE_1)
	s_and_not1_b32 vcc_lo, exec_lo, s7
	s_cbranch_vccnz .LBB101_117
; %bb.116:                              ;   in Loop: Header=BB101_11 Depth=1
	v_div_scale_f32 v4, null, v2, v2, -v3
	v_div_scale_f32 v7, vcc_lo, -v3, v2, -v3
	s_delay_alu instid0(VALU_DEP_2) | instskip(SKIP_2) | instid1(VALU_DEP_1)
	v_rcp_f32_e32 v5, v4
	s_waitcnt_depctr 0xfff
	v_fma_f32 v6, -v4, v5, 1.0
	v_fmac_f32_e32 v5, v6, v5
	s_delay_alu instid0(VALU_DEP_1) | instskip(NEXT) | instid1(VALU_DEP_1)
	v_mul_f32_e32 v6, v7, v5
	v_fma_f32 v8, -v4, v6, v7
	s_delay_alu instid0(VALU_DEP_1) | instskip(NEXT) | instid1(VALU_DEP_1)
	v_fmac_f32_e32 v6, v8, v5
	v_fma_f32 v4, -v4, v6, v7
	s_delay_alu instid0(VALU_DEP_1) | instskip(NEXT) | instid1(VALU_DEP_1)
	v_div_fmas_f32 v4, v4, v5, v6
	v_div_fixup_f32 v4, v4, v2, -v3
	s_delay_alu instid0(VALU_DEP_1) | instskip(NEXT) | instid1(VALU_DEP_1)
	v_fma_f32 v5, v4, v4, 1.0
	v_mul_f32_e32 v6, 0x4f800000, v5
	v_cmp_gt_f32_e32 vcc_lo, 0xf800000, v5
	s_delay_alu instid0(VALU_DEP_2) | instskip(NEXT) | instid1(VALU_DEP_1)
	v_cndmask_b32_e32 v5, v5, v6, vcc_lo
	v_sqrt_f32_e32 v6, v5
	s_waitcnt_depctr 0xfff
	v_add_nc_u32_e32 v7, -1, v6
	v_add_nc_u32_e32 v8, 1, v6
	s_delay_alu instid0(VALU_DEP_2) | instskip(NEXT) | instid1(VALU_DEP_2)
	v_fma_f32 v9, -v7, v6, v5
	v_fma_f32 v10, -v8, v6, v5
	s_delay_alu instid0(VALU_DEP_2) | instskip(NEXT) | instid1(VALU_DEP_1)
	v_cmp_ge_f32_e64 s7, 0, v9
	v_cndmask_b32_e64 v6, v6, v7, s7
	s_delay_alu instid0(VALU_DEP_3) | instskip(NEXT) | instid1(VALU_DEP_1)
	v_cmp_lt_f32_e64 s7, 0, v10
	v_cndmask_b32_e64 v6, v6, v8, s7
	s_delay_alu instid0(VALU_DEP_1) | instskip(NEXT) | instid1(VALU_DEP_1)
	v_mul_f32_e32 v7, 0x37800000, v6
	v_cndmask_b32_e32 v6, v6, v7, vcc_lo
	v_cmp_class_f32_e64 vcc_lo, v5, 0x260
	s_delay_alu instid0(VALU_DEP_2) | instskip(NEXT) | instid1(VALU_DEP_1)
	v_cndmask_b32_e32 v5, v6, v5, vcc_lo
	v_div_scale_f32 v6, null, v5, v5, 1.0
	s_delay_alu instid0(VALU_DEP_1) | instskip(SKIP_2) | instid1(VALU_DEP_1)
	v_rcp_f32_e32 v7, v6
	s_waitcnt_depctr 0xfff
	v_fma_f32 v8, -v6, v7, 1.0
	v_fmac_f32_e32 v7, v8, v7
	v_div_scale_f32 v8, vcc_lo, 1.0, v5, 1.0
	s_delay_alu instid0(VALU_DEP_1) | instskip(NEXT) | instid1(VALU_DEP_1)
	v_mul_f32_e32 v9, v8, v7
	v_fma_f32 v10, -v6, v9, v8
	s_delay_alu instid0(VALU_DEP_1) | instskip(NEXT) | instid1(VALU_DEP_1)
	v_fmac_f32_e32 v9, v10, v7
	v_fma_f32 v6, -v6, v9, v8
	s_delay_alu instid0(VALU_DEP_1) | instskip(NEXT) | instid1(VALU_DEP_1)
	v_div_fmas_f32 v6, v6, v7, v9
	v_div_fixup_f32 v5, v6, v5, 1.0
	s_delay_alu instid0(VALU_DEP_1)
	v_mul_f32_e32 v4, v4, v5
.LBB101_117:                            ;   in Loop: Header=BB101_11 Depth=1
	s_delay_alu instid0(VALU_DEP_1) | instskip(NEXT) | instid1(VALU_DEP_1)
	v_mul_f32_e32 v6, v2, v5
	v_fma_f32 v3, v3, v4, -v6
	s_branch .LBB101_119
.LBB101_118:                            ;   in Loop: Header=BB101_11 Depth=1
	v_xor_b32_e32 v3, 0x80000000, v2
	v_dual_mov_b32 v4, 0 :: v_dual_mov_b32 v5, 1.0
.LBB101_119:                            ;   in Loop: Header=BB101_11 Depth=1
	global_store_b32 v17, v3, s[58:59]
	s_clause 0x1
	global_load_b32 v7, v17, s[70:71] offset:-4
	global_load_b32 v6, v17, s[64:65] offset:-4
	s_cmp_eq_u32 s54, 2
	s_waitcnt vmcnt(1)
	v_mul_f32_e32 v3, v4, v7
	s_waitcnt vmcnt(0)
	s_delay_alu instid0(VALU_DEP_1)
	v_fmac_f32_e32 v3, v5, v6
	global_store_b32 v17, v3, s[70:71] offset:-4
	s_cbranch_scc0 .LBB101_180
; %bb.120:                              ;   in Loop: Header=BB101_11 Depth=1
	s_and_b32 s7, s73, s93
	s_delay_alu instid0(SALU_CYCLE_1)
	v_cndmask_b32_e64 v3, 0, 1, s7
	s_and_not1_b32 vcc_lo, exec_lo, s7
	s_cbranch_vccz .LBB101_181
.LBB101_121:                            ;   in Loop: Header=BB101_11 Depth=1
	s_xor_b32 s7, s91, -1
	s_delay_alu instid0(SALU_CYCLE_1) | instskip(NEXT) | instid1(SALU_CYCLE_1)
	s_or_b32 s7, s76, s7
	s_and_b32 vcc_lo, exec_lo, s7
	s_cbranch_vccnz .LBB101_123
.LBB101_122:                            ;   in Loop: Header=BB101_11 Depth=1
	s_ashr_i32 s51, s9, 31
	s_add_u32 s58, s60, s9
	s_addc_u32 s59, s61, s51
	s_delay_alu instid0(SALU_CYCLE_1) | instskip(NEXT) | instid1(SALU_CYCLE_1)
	s_lshl_b64 s[58:59], s[58:59], 2
	s_add_u32 s58, s53, s58
	s_addc_u32 s59, s57, s59
	s_ashr_i32 s55, s54, 31
	s_delay_alu instid0(SALU_CYCLE_1) | instskip(NEXT) | instid1(SALU_CYCLE_1)
	s_lshl_b64 s[60:61], s[54:55], 2
	s_add_u32 s60, s58, s60
	s_addc_u32 s61, s59, s61
	s_clause 0x1
	global_store_b32 v17, v4, s[58:59] offset:-4
	global_store_b32 v17, v5, s[60:61] offset:-4
.LBB101_123:                            ;   in Loop: Header=BB101_11 Depth=1
	v_mul_f32_e32 v5, v5, v7
	s_cmp_eq_u32 s8, 1
	s_mov_b32 s51, 0
	s_delay_alu instid0(VALU_DEP_1)
	v_fma_f32 v4, v4, v6, -v5
	s_cbranch_scc1 .LBB101_156
; %bb.124:                              ;   in Loop: Header=BB101_11 Depth=1
	s_lshl_b64 s[94:95], s[46:47], 3
	s_xor_b32 s62, s92, -1
	s_xor_b32 s63, s7, -1
	s_add_i32 s58, s56, s50
	s_add_i32 s51, s8, -1
	s_sub_i32 s60, s56, s52
	s_ashr_i32 s7, s9, 31
	s_ashr_i32 s55, s54, 31
	s_add_u32 s98, s94, s44
	s_addc_u32 s99, s95, s45
	s_ashr_i32 s59, s58, 31
	s_delay_alu instid0(SALU_CYCLE_1) | instskip(NEXT) | instid1(SALU_CYCLE_1)
	s_lshl_b64 s[58:59], s[58:59], 2
	s_add_u32 s47, s98, s58
	s_addc_u32 s53, s99, s59
	s_add_u32 s47, s80, s47
	s_addc_u32 s64, s81, s53
	s_lshl_b32 s53, s46, 1
	s_delay_alu instid0(SALU_CYCLE_1) | instskip(NEXT) | instid1(SALU_CYCLE_1)
	s_add_i32 s56, s53, -2
	s_ashr_i32 s57, s56, 31
	s_delay_alu instid0(SALU_CYCLE_1) | instskip(NEXT) | instid1(SALU_CYCLE_1)
	s_lshl_b64 s[56:57], s[56:57], 2
	s_or_b32 s56, s56, 4
	s_add_u32 s53, s44, s58
	s_addc_u32 s58, s45, s59
	s_add_u32 s65, s20, s53
	s_addc_u32 s70, s30, s58
	;; [unrolled: 2-line block ×3, first 2 shown]
	s_ashr_i32 s61, s60, 31
	s_add_u32 s58, s53, s60
	s_addc_u32 s59, s7, s61
	s_delay_alu instid0(SALU_CYCLE_1) | instskip(NEXT) | instid1(SALU_CYCLE_1)
	s_lshl_b64 s[58:59], s[58:59], 2
	s_add_u32 s7, s58, s66
	s_addc_u32 s53, s59, s67
	s_lshl_b64 s[54:55], s[54:55], 2
	s_delay_alu instid0(SALU_CYCLE_1)
	s_add_u32 s58, s7, s54
	s_addc_u32 s59, s53, s55
	s_add_u32 s68, s84, s58
	s_addc_u32 s69, s85, s59
	;; [unrolled: 2-line block ×4, first 2 shown]
	s_lshl_b64 s[58:59], s[60:61], 2
	s_mov_b32 s95, 1
	s_add_u32 s7, s7, s58
	s_addc_u32 s53, s53, s59
	s_add_u32 s54, s7, s54
	s_addc_u32 s55, s53, s55
	s_add_u32 s66, s84, s54
	s_addc_u32 s67, s85, s55
	s_add_u32 s93, s84, s7
	s_addc_u32 s94, s85, s53
	s_add_u32 s7, s10, s42
	s_addc_u32 s53, s11, s43
	s_add_u32 s54, s7, s60
	s_addc_u32 s55, s53, s61
	s_mul_i32 s7, s46, 12
	s_lshl_b64 s[54:55], s[54:55], 2
	s_mul_hi_i32 s53, s46, 12
	s_add_u32 s7, s7, s54
	s_addc_u32 s54, s53, s55
	s_ashr_i32 s53, s52, 31
	s_delay_alu instid0(SALU_CYCLE_1) | instskip(NEXT) | instid1(SALU_CYCLE_1)
	s_lshl_b64 s[52:53], s[52:53], 2
	s_sub_u32 s7, s7, s52
	s_subb_u32 s52, s54, s53
	s_add_u32 s96, s86, s7
	s_addc_u32 s97, s87, s52
	s_add_u32 s7, s98, s58
	s_addc_u32 s52, s99, s59
	;; [unrolled: 2-line block ×5, first 2 shown]
	s_mov_b64 s[52:53], 0
	s_branch .LBB101_126
.LBB101_125:                            ;   in Loop: Header=BB101_126 Depth=2
	v_mul_f32_e32 v6, v6, v7
	s_add_i32 s95, s95, 1
	s_add_u32 s52, s52, s56
	s_addc_u32 s53, s53, s57
	s_cmp_eq_u32 s8, s95
	v_fma_f32 v4, v5, v4, -v6
	s_cbranch_scc1 .LBB101_156
.LBB101_126:                            ;   Parent Loop BB101_11 Depth=1
                                        ; =>  This Inner Loop Header: Depth=2
	v_cmp_eq_f32_e32 vcc_lo, 0, v2
	v_mov_b32_e32 v6, 0
	s_cbranch_vccnz .LBB101_130
; %bb.127:                              ;   in Loop: Header=BB101_126 Depth=2
	v_cmp_neq_f32_e32 vcc_lo, 0, v4
	s_cbranch_vccz .LBB101_131
; %bb.128:                              ;   in Loop: Header=BB101_126 Depth=2
	v_cmp_ngt_f32_e64 s7, |v2|, |v4|
	s_delay_alu instid0(VALU_DEP_1)
	s_and_b32 vcc_lo, exec_lo, s7
	s_cbranch_vccz .LBB101_132
; %bb.129:                              ;   in Loop: Header=BB101_126 Depth=2
	v_div_scale_f32 v5, null, v4, v4, -v2
	v_div_scale_f32 v8, vcc_lo, -v2, v4, -v2
	s_delay_alu instid0(VALU_DEP_2) | instskip(SKIP_2) | instid1(VALU_DEP_1)
	v_rcp_f32_e32 v6, v5
	s_waitcnt_depctr 0xfff
	v_fma_f32 v7, -v5, v6, 1.0
	v_fmac_f32_e32 v6, v7, v6
	s_delay_alu instid0(VALU_DEP_1) | instskip(NEXT) | instid1(VALU_DEP_1)
	v_mul_f32_e32 v7, v8, v6
	v_fma_f32 v9, -v5, v7, v8
	s_delay_alu instid0(VALU_DEP_1) | instskip(NEXT) | instid1(VALU_DEP_1)
	v_fmac_f32_e32 v7, v9, v6
	v_fma_f32 v5, -v5, v7, v8
	s_delay_alu instid0(VALU_DEP_1) | instskip(NEXT) | instid1(VALU_DEP_1)
	v_div_fmas_f32 v5, v5, v6, v7
	v_div_fixup_f32 v6, v5, v4, -v2
	s_delay_alu instid0(VALU_DEP_1) | instskip(NEXT) | instid1(VALU_DEP_1)
	v_fma_f32 v5, v6, v6, 1.0
	v_mul_f32_e32 v7, 0x4f800000, v5
	v_cmp_gt_f32_e32 vcc_lo, 0xf800000, v5
	s_delay_alu instid0(VALU_DEP_2) | instskip(NEXT) | instid1(VALU_DEP_1)
	v_cndmask_b32_e32 v5, v5, v7, vcc_lo
	v_sqrt_f32_e32 v7, v5
	s_waitcnt_depctr 0xfff
	v_add_nc_u32_e32 v8, -1, v7
	v_add_nc_u32_e32 v9, 1, v7
	s_delay_alu instid0(VALU_DEP_2) | instskip(NEXT) | instid1(VALU_DEP_2)
	v_fma_f32 v10, -v8, v7, v5
	v_fma_f32 v11, -v9, v7, v5
	s_delay_alu instid0(VALU_DEP_2) | instskip(NEXT) | instid1(VALU_DEP_1)
	v_cmp_ge_f32_e64 s7, 0, v10
	v_cndmask_b32_e64 v7, v7, v8, s7
	s_delay_alu instid0(VALU_DEP_3) | instskip(NEXT) | instid1(VALU_DEP_1)
	v_cmp_lt_f32_e64 s7, 0, v11
	v_cndmask_b32_e64 v7, v7, v9, s7
	s_delay_alu instid0(VALU_DEP_1) | instskip(NEXT) | instid1(VALU_DEP_1)
	v_mul_f32_e32 v8, 0x37800000, v7
	v_cndmask_b32_e32 v7, v7, v8, vcc_lo
	v_cmp_class_f32_e64 vcc_lo, v5, 0x260
	s_delay_alu instid0(VALU_DEP_2) | instskip(NEXT) | instid1(VALU_DEP_1)
	v_cndmask_b32_e32 v5, v7, v5, vcc_lo
	v_div_scale_f32 v7, null, v5, v5, 1.0
	s_delay_alu instid0(VALU_DEP_1) | instskip(SKIP_2) | instid1(VALU_DEP_1)
	v_rcp_f32_e32 v8, v7
	s_waitcnt_depctr 0xfff
	v_fma_f32 v9, -v7, v8, 1.0
	v_fmac_f32_e32 v8, v9, v8
	v_div_scale_f32 v9, vcc_lo, 1.0, v5, 1.0
	s_delay_alu instid0(VALU_DEP_1) | instskip(NEXT) | instid1(VALU_DEP_1)
	v_mul_f32_e32 v10, v9, v8
	v_fma_f32 v11, -v7, v10, v9
	s_delay_alu instid0(VALU_DEP_1) | instskip(NEXT) | instid1(VALU_DEP_1)
	v_fmac_f32_e32 v10, v11, v8
	v_fma_f32 v7, -v7, v10, v9
	s_delay_alu instid0(VALU_DEP_1) | instskip(NEXT) | instid1(VALU_DEP_1)
	v_div_fmas_f32 v7, v7, v8, v10
	v_div_fixup_f32 v5, v7, v5, 1.0
	s_delay_alu instid0(VALU_DEP_1)
	v_mul_f32_e32 v6, v6, v5
	s_cbranch_execz .LBB101_133
	s_branch .LBB101_134
.LBB101_130:                            ;   in Loop: Header=BB101_126 Depth=2
	v_mov_b32_e32 v5, 1.0
	s_branch .LBB101_136
.LBB101_131:                            ;   in Loop: Header=BB101_126 Depth=2
                                        ; implicit-def: $vgpr4
                                        ; implicit-def: $vgpr5
                                        ; implicit-def: $vgpr6
	s_cbranch_execnz .LBB101_135
	s_branch .LBB101_136
.LBB101_132:                            ;   in Loop: Header=BB101_126 Depth=2
                                        ; implicit-def: $vgpr5
                                        ; implicit-def: $vgpr6
.LBB101_133:                            ;   in Loop: Header=BB101_126 Depth=2
	v_div_scale_f32 v5, null, v2, v2, -v4
	v_div_scale_f32 v8, vcc_lo, -v4, v2, -v4
	s_delay_alu instid0(VALU_DEP_2) | instskip(SKIP_2) | instid1(VALU_DEP_1)
	v_rcp_f32_e32 v6, v5
	s_waitcnt_depctr 0xfff
	v_fma_f32 v7, -v5, v6, 1.0
	v_fmac_f32_e32 v6, v7, v6
	s_delay_alu instid0(VALU_DEP_1) | instskip(NEXT) | instid1(VALU_DEP_1)
	v_mul_f32_e32 v7, v8, v6
	v_fma_f32 v9, -v5, v7, v8
	s_delay_alu instid0(VALU_DEP_1) | instskip(NEXT) | instid1(VALU_DEP_1)
	v_fmac_f32_e32 v7, v9, v6
	v_fma_f32 v5, -v5, v7, v8
	s_delay_alu instid0(VALU_DEP_1) | instskip(NEXT) | instid1(VALU_DEP_1)
	v_div_fmas_f32 v5, v5, v6, v7
	v_div_fixup_f32 v5, v5, v2, -v4
	s_delay_alu instid0(VALU_DEP_1) | instskip(NEXT) | instid1(VALU_DEP_1)
	v_fma_f32 v6, v5, v5, 1.0
	v_mul_f32_e32 v7, 0x4f800000, v6
	v_cmp_gt_f32_e32 vcc_lo, 0xf800000, v6
	s_delay_alu instid0(VALU_DEP_2) | instskip(NEXT) | instid1(VALU_DEP_1)
	v_cndmask_b32_e32 v6, v6, v7, vcc_lo
	v_sqrt_f32_e32 v7, v6
	s_waitcnt_depctr 0xfff
	v_add_nc_u32_e32 v8, -1, v7
	v_add_nc_u32_e32 v9, 1, v7
	s_delay_alu instid0(VALU_DEP_2) | instskip(NEXT) | instid1(VALU_DEP_2)
	v_fma_f32 v10, -v8, v7, v6
	v_fma_f32 v11, -v9, v7, v6
	s_delay_alu instid0(VALU_DEP_2) | instskip(NEXT) | instid1(VALU_DEP_1)
	v_cmp_ge_f32_e64 s7, 0, v10
	v_cndmask_b32_e64 v7, v7, v8, s7
	s_delay_alu instid0(VALU_DEP_3) | instskip(NEXT) | instid1(VALU_DEP_1)
	v_cmp_lt_f32_e64 s7, 0, v11
	v_cndmask_b32_e64 v7, v7, v9, s7
	s_delay_alu instid0(VALU_DEP_1) | instskip(NEXT) | instid1(VALU_DEP_1)
	v_mul_f32_e32 v8, 0x37800000, v7
	v_cndmask_b32_e32 v7, v7, v8, vcc_lo
	v_cmp_class_f32_e64 vcc_lo, v6, 0x260
	s_delay_alu instid0(VALU_DEP_2) | instskip(NEXT) | instid1(VALU_DEP_1)
	v_cndmask_b32_e32 v6, v7, v6, vcc_lo
	v_div_scale_f32 v7, null, v6, v6, 1.0
	s_delay_alu instid0(VALU_DEP_1) | instskip(SKIP_2) | instid1(VALU_DEP_1)
	v_rcp_f32_e32 v8, v7
	s_waitcnt_depctr 0xfff
	v_fma_f32 v9, -v7, v8, 1.0
	v_fmac_f32_e32 v8, v9, v8
	v_div_scale_f32 v9, vcc_lo, 1.0, v6, 1.0
	s_delay_alu instid0(VALU_DEP_1) | instskip(NEXT) | instid1(VALU_DEP_1)
	v_mul_f32_e32 v10, v9, v8
	v_fma_f32 v11, -v7, v10, v9
	s_delay_alu instid0(VALU_DEP_1) | instskip(NEXT) | instid1(VALU_DEP_1)
	v_fmac_f32_e32 v10, v11, v8
	v_fma_f32 v7, -v7, v10, v9
	s_delay_alu instid0(VALU_DEP_1) | instskip(NEXT) | instid1(VALU_DEP_1)
	v_div_fmas_f32 v7, v7, v8, v10
	v_div_fixup_f32 v6, v7, v6, 1.0
	s_delay_alu instid0(VALU_DEP_1)
	v_mul_f32_e32 v5, v5, v6
.LBB101_134:                            ;   in Loop: Header=BB101_126 Depth=2
	s_delay_alu instid0(VALU_DEP_1) | instskip(NEXT) | instid1(VALU_DEP_1)
	v_mul_f32_e32 v7, v2, v6
	v_fma_f32 v4, v4, v5, -v7
	s_branch .LBB101_136
.LBB101_135:                            ;   in Loop: Header=BB101_126 Depth=2
	v_xor_b32_e32 v4, 0x80000000, v2
	v_dual_mov_b32 v5, 0 :: v_dual_mov_b32 v6, 1.0
.LBB101_136:                            ;   in Loop: Header=BB101_126 Depth=2
	s_add_u32 s60, s100, s52
	s_addc_u32 s61, s101, s53
	s_add_u32 s54, s65, s52
	s_addc_u32 s55, s70, s53
	;; [unrolled: 2-line block ×3, first 2 shown]
	global_store_b32 v17, v4, s[60:61]
	s_clause 0x1
	global_load_b32 v7, v17, s[58:59]
	global_load_b32 v4, v17, s[54:55]
	s_add_u32 s60, s47, s52
	s_addc_u32 s61, s64, s53
	v_cmp_ne_u32_e32 vcc_lo, 1, v1
	s_and_b32 vcc_lo, exec_lo, vcc_lo
	s_waitcnt vmcnt(1)
	v_mul_f32_e32 v2, v5, v7
	s_waitcnt vmcnt(0)
	s_delay_alu instid0(VALU_DEP_1)
	v_fmac_f32_e32 v2, v6, v4
	global_store_b32 v17, v2, s[58:59]
	global_load_b32 v2, v17, s[60:61]
	s_waitcnt vmcnt(0)
	v_mul_f32_e32 v8, v5, v2
	global_store_b32 v17, v8, s[60:61]
	s_cbranch_vccnz .LBB101_138
; %bb.137:                              ;   in Loop: Header=BB101_126 Depth=2
	s_add_u32 s102, s93, s52
	s_addc_u32 s103, s94, s53
	s_add_u32 vcc_lo, s66, s52
	s_addc_u32 vcc_hi, s67, s53
	s_clause 0x1
	global_store_b32 v17, v5, s[102:103]
	global_store_b32 v17, v6, vcc
.LBB101_138:                            ;   in Loop: Header=BB101_126 Depth=2
	s_and_not1_b32 vcc_lo, exec_lo, s62
	s_cbranch_vccnz .LBB101_140
; %bb.139:                              ;   in Loop: Header=BB101_126 Depth=2
	s_add_u32 s102, s71, s52
	s_addc_u32 s103, s92, s53
	s_add_u32 vcc_lo, s68, s52
	s_addc_u32 vcc_hi, s69, s53
	s_clause 0x1
	global_store_b32 v17, v5, s[102:103]
	global_store_b32 v17, v6, vcc
.LBB101_140:                            ;   in Loop: Header=BB101_126 Depth=2
	v_mul_f32_e64 v2, v2, -v6
	v_mul_f32_e32 v6, v6, v7
	s_delay_alu instid0(VALU_DEP_2) | instskip(NEXT) | instid1(VALU_DEP_2)
	v_cmp_eq_f32_e32 vcc_lo, 0, v2
	v_fma_f32 v4, v5, v4, -v6
	v_mov_b32_e32 v6, 0
	s_cbranch_vccnz .LBB101_144
; %bb.141:                              ;   in Loop: Header=BB101_126 Depth=2
	s_delay_alu instid0(VALU_DEP_2)
	v_cmp_neq_f32_e32 vcc_lo, 0, v4
	s_cbranch_vccz .LBB101_145
; %bb.142:                              ;   in Loop: Header=BB101_126 Depth=2
	v_cmp_ngt_f32_e64 s7, |v2|, |v4|
	s_delay_alu instid0(VALU_DEP_1)
	s_and_b32 vcc_lo, exec_lo, s7
	s_cbranch_vccz .LBB101_146
; %bb.143:                              ;   in Loop: Header=BB101_126 Depth=2
	v_div_scale_f32 v5, null, v4, v4, -v2
	v_div_scale_f32 v8, vcc_lo, -v2, v4, -v2
	s_delay_alu instid0(VALU_DEP_2) | instskip(SKIP_2) | instid1(VALU_DEP_1)
	v_rcp_f32_e32 v6, v5
	s_waitcnt_depctr 0xfff
	v_fma_f32 v7, -v5, v6, 1.0
	v_fmac_f32_e32 v6, v7, v6
	s_delay_alu instid0(VALU_DEP_1) | instskip(NEXT) | instid1(VALU_DEP_1)
	v_mul_f32_e32 v7, v8, v6
	v_fma_f32 v9, -v5, v7, v8
	s_delay_alu instid0(VALU_DEP_1) | instskip(NEXT) | instid1(VALU_DEP_1)
	v_fmac_f32_e32 v7, v9, v6
	v_fma_f32 v5, -v5, v7, v8
	s_delay_alu instid0(VALU_DEP_1) | instskip(NEXT) | instid1(VALU_DEP_1)
	v_div_fmas_f32 v5, v5, v6, v7
	v_div_fixup_f32 v6, v5, v4, -v2
	s_delay_alu instid0(VALU_DEP_1) | instskip(NEXT) | instid1(VALU_DEP_1)
	v_fma_f32 v5, v6, v6, 1.0
	v_mul_f32_e32 v7, 0x4f800000, v5
	v_cmp_gt_f32_e32 vcc_lo, 0xf800000, v5
	s_delay_alu instid0(VALU_DEP_2) | instskip(NEXT) | instid1(VALU_DEP_1)
	v_cndmask_b32_e32 v5, v5, v7, vcc_lo
	v_sqrt_f32_e32 v7, v5
	s_waitcnt_depctr 0xfff
	v_add_nc_u32_e32 v8, -1, v7
	v_add_nc_u32_e32 v9, 1, v7
	s_delay_alu instid0(VALU_DEP_2) | instskip(NEXT) | instid1(VALU_DEP_2)
	v_fma_f32 v10, -v8, v7, v5
	v_fma_f32 v11, -v9, v7, v5
	s_delay_alu instid0(VALU_DEP_2) | instskip(NEXT) | instid1(VALU_DEP_1)
	v_cmp_ge_f32_e64 s7, 0, v10
	v_cndmask_b32_e64 v7, v7, v8, s7
	s_delay_alu instid0(VALU_DEP_3) | instskip(NEXT) | instid1(VALU_DEP_1)
	v_cmp_lt_f32_e64 s7, 0, v11
	v_cndmask_b32_e64 v7, v7, v9, s7
	s_delay_alu instid0(VALU_DEP_1) | instskip(NEXT) | instid1(VALU_DEP_1)
	v_mul_f32_e32 v8, 0x37800000, v7
	v_cndmask_b32_e32 v7, v7, v8, vcc_lo
	v_cmp_class_f32_e64 vcc_lo, v5, 0x260
	s_delay_alu instid0(VALU_DEP_2) | instskip(NEXT) | instid1(VALU_DEP_1)
	v_cndmask_b32_e32 v5, v7, v5, vcc_lo
	v_div_scale_f32 v7, null, v5, v5, 1.0
	s_delay_alu instid0(VALU_DEP_1) | instskip(SKIP_2) | instid1(VALU_DEP_1)
	v_rcp_f32_e32 v8, v7
	s_waitcnt_depctr 0xfff
	v_fma_f32 v9, -v7, v8, 1.0
	v_fmac_f32_e32 v8, v9, v8
	v_div_scale_f32 v9, vcc_lo, 1.0, v5, 1.0
	s_delay_alu instid0(VALU_DEP_1) | instskip(NEXT) | instid1(VALU_DEP_1)
	v_mul_f32_e32 v10, v9, v8
	v_fma_f32 v11, -v7, v10, v9
	s_delay_alu instid0(VALU_DEP_1) | instskip(NEXT) | instid1(VALU_DEP_1)
	v_fmac_f32_e32 v10, v11, v8
	v_fma_f32 v7, -v7, v10, v9
	s_delay_alu instid0(VALU_DEP_1) | instskip(NEXT) | instid1(VALU_DEP_1)
	v_div_fmas_f32 v7, v7, v8, v10
	v_div_fixup_f32 v5, v7, v5, 1.0
	s_delay_alu instid0(VALU_DEP_1)
	v_mul_f32_e32 v6, v6, v5
	s_cbranch_execz .LBB101_147
	s_branch .LBB101_148
.LBB101_144:                            ;   in Loop: Header=BB101_126 Depth=2
	v_mov_b32_e32 v5, 1.0
	s_branch .LBB101_150
.LBB101_145:                            ;   in Loop: Header=BB101_126 Depth=2
                                        ; implicit-def: $vgpr4
                                        ; implicit-def: $vgpr5
                                        ; implicit-def: $vgpr6
	s_cbranch_execnz .LBB101_149
	s_branch .LBB101_150
.LBB101_146:                            ;   in Loop: Header=BB101_126 Depth=2
                                        ; implicit-def: $vgpr5
                                        ; implicit-def: $vgpr6
.LBB101_147:                            ;   in Loop: Header=BB101_126 Depth=2
	v_div_scale_f32 v5, null, v2, v2, -v4
	v_div_scale_f32 v8, vcc_lo, -v4, v2, -v4
	s_delay_alu instid0(VALU_DEP_2) | instskip(SKIP_2) | instid1(VALU_DEP_1)
	v_rcp_f32_e32 v6, v5
	s_waitcnt_depctr 0xfff
	v_fma_f32 v7, -v5, v6, 1.0
	v_fmac_f32_e32 v6, v7, v6
	s_delay_alu instid0(VALU_DEP_1) | instskip(NEXT) | instid1(VALU_DEP_1)
	v_mul_f32_e32 v7, v8, v6
	v_fma_f32 v9, -v5, v7, v8
	s_delay_alu instid0(VALU_DEP_1) | instskip(NEXT) | instid1(VALU_DEP_1)
	v_fmac_f32_e32 v7, v9, v6
	v_fma_f32 v5, -v5, v7, v8
	s_delay_alu instid0(VALU_DEP_1) | instskip(NEXT) | instid1(VALU_DEP_1)
	v_div_fmas_f32 v5, v5, v6, v7
	v_div_fixup_f32 v5, v5, v2, -v4
	s_delay_alu instid0(VALU_DEP_1) | instskip(NEXT) | instid1(VALU_DEP_1)
	v_fma_f32 v6, v5, v5, 1.0
	v_mul_f32_e32 v7, 0x4f800000, v6
	v_cmp_gt_f32_e32 vcc_lo, 0xf800000, v6
	s_delay_alu instid0(VALU_DEP_2) | instskip(NEXT) | instid1(VALU_DEP_1)
	v_cndmask_b32_e32 v6, v6, v7, vcc_lo
	v_sqrt_f32_e32 v7, v6
	s_waitcnt_depctr 0xfff
	v_add_nc_u32_e32 v8, -1, v7
	v_add_nc_u32_e32 v9, 1, v7
	s_delay_alu instid0(VALU_DEP_2) | instskip(NEXT) | instid1(VALU_DEP_2)
	v_fma_f32 v10, -v8, v7, v6
	v_fma_f32 v11, -v9, v7, v6
	s_delay_alu instid0(VALU_DEP_2) | instskip(NEXT) | instid1(VALU_DEP_1)
	v_cmp_ge_f32_e64 s7, 0, v10
	v_cndmask_b32_e64 v7, v7, v8, s7
	s_delay_alu instid0(VALU_DEP_3) | instskip(NEXT) | instid1(VALU_DEP_1)
	v_cmp_lt_f32_e64 s7, 0, v11
	v_cndmask_b32_e64 v7, v7, v9, s7
	s_delay_alu instid0(VALU_DEP_1) | instskip(NEXT) | instid1(VALU_DEP_1)
	v_mul_f32_e32 v8, 0x37800000, v7
	v_cndmask_b32_e32 v7, v7, v8, vcc_lo
	v_cmp_class_f32_e64 vcc_lo, v6, 0x260
	s_delay_alu instid0(VALU_DEP_2) | instskip(NEXT) | instid1(VALU_DEP_1)
	v_cndmask_b32_e32 v6, v7, v6, vcc_lo
	v_div_scale_f32 v7, null, v6, v6, 1.0
	s_delay_alu instid0(VALU_DEP_1) | instskip(SKIP_2) | instid1(VALU_DEP_1)
	v_rcp_f32_e32 v8, v7
	s_waitcnt_depctr 0xfff
	v_fma_f32 v9, -v7, v8, 1.0
	v_fmac_f32_e32 v8, v9, v8
	v_div_scale_f32 v9, vcc_lo, 1.0, v6, 1.0
	s_delay_alu instid0(VALU_DEP_1) | instskip(NEXT) | instid1(VALU_DEP_1)
	v_mul_f32_e32 v10, v9, v8
	v_fma_f32 v11, -v7, v10, v9
	s_delay_alu instid0(VALU_DEP_1) | instskip(NEXT) | instid1(VALU_DEP_1)
	v_fmac_f32_e32 v10, v11, v8
	v_fma_f32 v7, -v7, v10, v9
	s_delay_alu instid0(VALU_DEP_1) | instskip(NEXT) | instid1(VALU_DEP_1)
	v_div_fmas_f32 v7, v7, v8, v10
	v_div_fixup_f32 v6, v7, v6, 1.0
	s_delay_alu instid0(VALU_DEP_1)
	v_mul_f32_e32 v5, v5, v6
.LBB101_148:                            ;   in Loop: Header=BB101_126 Depth=2
	s_delay_alu instid0(VALU_DEP_1) | instskip(NEXT) | instid1(VALU_DEP_1)
	v_mul_f32_e32 v7, v2, v6
	v_fma_f32 v4, v4, v5, -v7
	s_branch .LBB101_150
.LBB101_149:                            ;   in Loop: Header=BB101_126 Depth=2
	v_xor_b32_e32 v4, 0x80000000, v2
	v_dual_mov_b32 v5, 0 :: v_dual_mov_b32 v6, 1.0
.LBB101_150:                            ;   in Loop: Header=BB101_126 Depth=2
	global_store_b32 v17, v4, s[54:55]
	s_clause 0x1
	global_load_b32 v7, v17, s[60:61]
	global_load_b32 v4, v17, s[58:59]
	s_cmp_ge_i32 s95, s51
	s_waitcnt vmcnt(1)
	v_mul_f32_e32 v8, v5, v7
	s_waitcnt vmcnt(0)
	s_delay_alu instid0(VALU_DEP_1)
	v_fmac_f32_e32 v8, v6, v4
	global_store_b32 v17, v8, s[60:61]
	s_cbranch_scc0 .LBB101_153
; %bb.151:                              ;   in Loop: Header=BB101_126 Depth=2
	v_cmp_ne_u32_e32 vcc_lo, 1, v3
	s_cbranch_vccz .LBB101_154
.LBB101_152:                            ;   in Loop: Header=BB101_126 Depth=2
	s_and_not1_b32 vcc_lo, exec_lo, s63
	s_cbranch_vccnz .LBB101_125
	s_branch .LBB101_155
.LBB101_153:                            ;   in Loop: Header=BB101_126 Depth=2
	s_add_u32 s54, s96, s52
	s_addc_u32 s55, s97, s53
	global_load_b32 v2, v17, s[54:55]
	s_waitcnt vmcnt(0)
	v_mul_f32_e32 v8, v5, v2
	v_mul_f32_e64 v2, v2, -v6
	global_store_b32 v17, v8, s[54:55]
	v_cmp_ne_u32_e32 vcc_lo, 1, v3
	s_cbranch_vccnz .LBB101_152
.LBB101_154:                            ;   in Loop: Header=BB101_126 Depth=2
	s_add_u32 s54, s93, s52
	s_addc_u32 s55, s94, s53
	s_add_u32 s58, s66, s52
	s_addc_u32 s59, s67, s53
	s_clause 0x1
	global_store_b32 v17, v5, s[54:55]
	global_store_b32 v17, v6, s[58:59]
	s_and_not1_b32 vcc_lo, exec_lo, s63
	s_cbranch_vccnz .LBB101_125
.LBB101_155:                            ;   in Loop: Header=BB101_126 Depth=2
	s_add_u32 s54, s71, s52
	s_addc_u32 s55, s92, s53
	s_add_u32 s58, s68, s52
	s_addc_u32 s59, s69, s53
	s_clause 0x1
	global_store_b32 v17, v5, s[54:55]
	global_store_b32 v17, v6, s[58:59]
	s_branch .LBB101_125
.LBB101_156:                            ;   in Loop: Header=BB101_11 Depth=1
	s_and_b32 s7, s91, exec_lo
	s_cselect_b32 s52, s51, 0
	s_delay_alu instid0(SALU_CYCLE_1) | instskip(NEXT) | instid1(SALU_CYCLE_1)
	s_ashr_i32 s53, s52, 31
	s_lshl_b64 s[52:53], s[52:53], 2
	s_delay_alu instid0(SALU_CYCLE_1)
	s_add_u32 s52, s16, s52
	s_addc_u32 s53, s90, s53
	global_store_b32 v17, v4, s[52:53]
.LBB101_157:                            ;   in Loop: Header=BB101_11 Depth=1
	s_or_b32 exec_lo, exec_lo, s27
	s_delay_alu instid0(SALU_CYCLE_1)
	s_and_not1_b32 vcc_lo, exec_lo, s77
	s_waitcnt_vscnt null, 0x0
	s_barrier
	buffer_gl0_inv
	s_cbranch_vccz .LBB101_160
; %bb.158:                              ;   in Loop: Header=BB101_11 Depth=1
	s_and_not1_b32 vcc_lo, exec_lo, s78
	s_cbranch_vccz .LBB101_167
.LBB101_159:                            ;   in Loop: Header=BB101_11 Depth=1
	s_and_not1_b32 vcc_lo, exec_lo, s79
	s_cbranch_vccnz .LBB101_10
	s_branch .LBB101_174
.LBB101_160:                            ;   in Loop: Header=BB101_11 Depth=1
	s_and_saveexec_b32 s47, s0
	s_cbranch_execz .LBB101_166
; %bb.161:                              ;   in Loop: Header=BB101_11 Depth=1
	s_load_b32 s7, s[40:41], 0xc
	s_lshl_b64 s[52:53], s[42:43], 3
	v_mov_b32_e32 v25, v0
	s_add_u32 s52, s28, s52
	s_addc_u32 s53, s29, s53
	s_add_i32 s27, s8, -1
	s_cmp_eq_u32 s46, 0
	s_mov_b32 s51, 0
	s_cselect_b32 s16, s8, 0
	s_cselect_b32 s58, s27, 0
	s_cmp_gt_i32 s8, 0
	v_add_nc_u32_e32 v1, s16, v15
	s_cselect_b32 s66, -1, 0
	s_lshl_b32 s64, s46, 1
	s_ashr_i32 s27, s26, 31
	s_add_i32 s62, s64, -2
	s_lshl_b64 s[60:61], s[26:27], 2
	s_ashr_i32 s63, s62, 31
	s_or_b32 s67, s62, 1
	s_lshl_b64 s[54:55], s[62:63], 3
	s_not_b64 s[56:57], s[62:63]
	s_or_b32 s54, s54, 8
	s_waitcnt lgkmcnt(0)
	s_and_b32 s27, s7, 0xffff
	s_sub_u32 s7, s60, s44
	s_subb_u32 s59, s61, s45
	s_add_u32 s68, s7, 20
	s_addc_u32 s69, s59, 0
	s_ashr_i32 s59, s58, 31
	s_lshl_b64 s[60:61], s[48:49], 2
	s_lshl_b64 s[58:59], s[58:59], 2
	v_add3_u32 v3, s64, s16, v18
	s_add_u32 s7, s58, s60
	s_addc_u32 s59, s59, s61
	s_add_u32 s58, s82, s7
	s_addc_u32 s59, s83, s59
	s_lshl_b64 s[60:61], s[62:63], 2
	s_mul_i32 s70, s19, s27
	s_mov_b32 s71, s63
	s_or_b32 s60, s60, 4
	s_branch .LBB101_163
.LBB101_162:                            ;   in Loop: Header=BB101_163 Depth=2
	s_set_inst_prefetch_distance 0x2
	v_lshlrev_b64 v[7:8], 3, v[7:8]
	v_add_nc_u32_e32 v25, s27, v25
	v_add_nc_u32_e32 v1, s70, v1
	;; [unrolled: 1-line block ×3, first 2 shown]
	s_delay_alu instid0(VALU_DEP_3) | instskip(SKIP_1) | instid1(VALU_DEP_1)
	v_cmp_le_i32_e32 vcc_lo, s21, v25
	v_add_co_u32 v7, s7, s52, v7
	v_add_co_ci_u32_e64 v8, s7, s53, v8, s7
	s_or_b32 s51, vcc_lo, s51
	s_waitcnt vmcnt(0) lgkmcnt(0)
	flat_store_b64 v[7:8], v[5:6]
	s_and_not1_b32 exec_lo, exec_lo, s51
	s_cbranch_execz .LBB101_166
.LBB101_163:                            ;   Parent Loop BB101_11 Depth=1
                                        ; =>  This Loop Header: Depth=2
                                        ;       Child Loop BB101_165 Depth 3
	v_mad_u64_u32 v[7:8], null, v25, s19, s[16:17]
	s_delay_alu instid0(VALU_DEP_1) | instskip(NEXT) | instid1(VALU_DEP_1)
	v_ashrrev_i32_e32 v8, 31, v7
	v_lshlrev_b64 v[4:5], 3, v[7:8]
	s_delay_alu instid0(VALU_DEP_1) | instskip(NEXT) | instid1(VALU_DEP_2)
	v_add_co_u32 v4, vcc_lo, s52, v4
	v_add_co_ci_u32_e32 v5, vcc_lo, s53, v5, vcc_lo
	s_and_not1_b32 vcc_lo, exec_lo, s66
	flat_load_b64 v[5:6], v[4:5]
	s_cbranch_vccnz .LBB101_162
; %bb.164:                              ;   in Loop: Header=BB101_163 Depth=2
	v_ashrrev_i32_e32 v2, 31, v1
	v_ashrrev_i32_e32 v4, 31, v3
	v_add_co_u32 v7, vcc_lo, s56, v3
	s_mov_b64 s[62:63], s[58:59]
	s_delay_alu instid0(VALU_DEP_3) | instskip(NEXT) | instid1(VALU_DEP_3)
	v_lshlrev_b64 v[9:10], 3, v[1:2]
	v_lshlrev_b64 v[11:12], 3, v[3:4]
	v_add_co_ci_u32_e32 v8, vcc_lo, s57, v4, vcc_lo
	s_mov_b64 s[64:65], s[52:53]
	s_mov_b32 s7, s8
	s_set_inst_prefetch_distance 0x1
	.p2align	6
.LBB101_165:                            ;   Parent Loop BB101_11 Depth=1
                                        ;     Parent Loop BB101_163 Depth=2
                                        ; =>    This Inner Loop Header: Depth=3
	s_delay_alu instid0(VALU_DEP_2)
	v_add_co_u32 v26, vcc_lo, s64, v11
	v_add_co_ci_u32_e32 v27, vcc_lo, s65, v12, vcc_lo
	s_add_u32 s90, s62, s68
	s_addc_u32 s91, s63, s69
	s_clause 0x1
	global_load_b32 v2, v17, s[62:63] offset:16
	global_load_b32 v4, v17, s[90:91]
	flat_load_b64 v[26:27], v[26:27]
	v_add_co_u32 v28, vcc_lo, s64, v9
	v_add_co_ci_u32_e32 v29, vcc_lo, s65, v10, vcc_lo
	v_add_co_u32 v7, vcc_lo, v7, s67
	s_add_i32 s7, s7, -1
	s_add_u32 s64, s64, s54
	v_add_co_ci_u32_e32 v8, vcc_lo, s71, v8, vcc_lo
	s_addc_u32 s65, s65, s55
	s_add_u32 s62, s62, s60
	s_addc_u32 s63, s63, s61
	s_cmp_eq_u32 s7, 0
	s_waitcnt vmcnt(0) lgkmcnt(0)
	v_mul_f32_e32 v30, v26, v4
	v_mul_f32_e32 v31, v27, v4
	s_delay_alu instid0(VALU_DEP_2) | instskip(NEXT) | instid1(VALU_DEP_2)
	v_fma_f32 v30, v5, v2, -v30
	v_fma_f32 v31, v6, v2, -v31
	v_mul_f32_e32 v6, v6, v4
	v_mul_f32_e32 v5, v5, v4
	flat_store_b64 v[28:29], v[30:31]
	v_fmac_f32_e32 v6, v27, v2
	v_fmac_f32_e32 v5, v26, v2
	s_cbranch_scc0 .LBB101_165
	s_branch .LBB101_162
.LBB101_166:                            ;   in Loop: Header=BB101_11 Depth=1
	s_or_b32 exec_lo, exec_lo, s47
	s_delay_alu instid0(SALU_CYCLE_1)
	s_and_not1_b32 vcc_lo, exec_lo, s78
	s_cbranch_vccnz .LBB101_159
.LBB101_167:                            ;   in Loop: Header=BB101_11 Depth=1
	s_and_saveexec_b32 s16, s1
	s_cbranch_execz .LBB101_173
; %bb.168:                              ;   in Loop: Header=BB101_11 Depth=1
	s_load_b32 s7, s[40:41], 0xc
	s_mul_i32 s52, s42, s17
	s_mul_i32 s62, s17, s50
	s_ashr_i32 s53, s52, 31
	v_mov_b32_e32 v7, v0
	s_lshl_b64 s[52:53], s[52:53], 3
	s_delay_alu instid0(SALU_CYCLE_1)
	s_add_u32 s47, s12, s52
	s_addc_u32 s56, s13, s53
	s_add_i32 s27, s8, -1
	s_cmp_eq_u32 s46, 0
	s_cselect_b32 s27, s27, 0
	s_cselect_b32 s51, s8, 0
	s_add_i32 s52, s27, s9
	s_cmp_gt_i32 s8, 0
	s_cselect_b32 s57, -1, 0
	s_ashr_i32 s53, s52, 31
	s_lshl_b64 s[54:55], s[48:49], 2
	s_lshl_b64 s[52:53], s[52:53], 2
	s_waitcnt lgkmcnt(0)
	s_and_b32 s58, s7, 0xffff
	s_add_u32 s7, s54, s52
	s_addc_u32 s27, s55, s53
	s_add_u32 s52, s82, s7
	s_addc_u32 s53, s83, s27
	s_lshl_b32 s7, s46, 1
	s_ashr_i32 s27, s26, 31
	s_add_i32 s54, s7, -2
	s_lshl_b64 s[60:61], s[26:27], 2
	s_ashr_i32 s55, s54, 31
	s_delay_alu instid0(SALU_CYCLE_1) | instskip(NEXT) | instid1(SALU_CYCLE_1)
	s_lshl_b64 s[54:55], s[54:55], 2
	s_or_b32 s54, s54, 4
	s_sub_u32 s27, s60, s44
	s_subb_u32 s59, s61, s45
	s_add_u32 s27, s27, 20
	s_addc_u32 s59, s59, 0
	s_add_i32 s7, s51, s7
	s_mul_i32 s60, s51, s17
	s_add_i32 s7, s7, -1
	v_add_nc_u32_e32 v6, s60, v0
	v_mad_u64_u32 v[1:2], null, s17, s7, v[0:1]
	s_mov_b32 s61, 0
	s_branch .LBB101_170
.LBB101_169:                            ;   in Loop: Header=BB101_170 Depth=2
	s_set_inst_prefetch_distance 0x2
	v_lshlrev_b64 v[4:5], 3, v[4:5]
	v_add_nc_u32_e32 v7, s58, v7
	v_add_nc_u32_e32 v6, s58, v6
	;; [unrolled: 1-line block ×3, first 2 shown]
	s_delay_alu instid0(VALU_DEP_3) | instskip(SKIP_1) | instid1(VALU_DEP_1)
	v_cmp_le_i32_e32 vcc_lo, s22, v7
	v_add_co_u32 v4, s7, s47, v4
	v_add_co_ci_u32_e64 v5, s7, s56, v5, s7
	s_or_b32 s61, vcc_lo, s61
	s_waitcnt vmcnt(0) lgkmcnt(0)
	flat_store_b64 v[4:5], v[2:3]
	s_and_not1_b32 exec_lo, exec_lo, s61
	s_cbranch_execz .LBB101_173
.LBB101_170:                            ;   Parent Loop BB101_11 Depth=1
                                        ; =>  This Loop Header: Depth=2
                                        ;       Child Loop BB101_172 Depth 3
	v_add_nc_u32_e32 v4, s60, v7
	s_delay_alu instid0(VALU_DEP_1) | instskip(NEXT) | instid1(VALU_DEP_1)
	v_ashrrev_i32_e32 v5, 31, v4
	v_lshlrev_b64 v[2:3], 3, v[4:5]
	s_delay_alu instid0(VALU_DEP_1) | instskip(NEXT) | instid1(VALU_DEP_2)
	v_add_co_u32 v2, vcc_lo, s47, v2
	v_add_co_ci_u32_e32 v3, vcc_lo, s56, v3, vcc_lo
	s_and_not1_b32 vcc_lo, exec_lo, s57
	flat_load_b64 v[2:3], v[2:3]
	s_cbranch_vccnz .LBB101_169
; %bb.171:                              ;   in Loop: Header=BB101_170 Depth=2
	s_mov_b32 s7, 0
	s_mov_b64 s[50:51], s[52:53]
	s_mov_b32 s63, s8
	s_set_inst_prefetch_distance 0x1
	.p2align	6
.LBB101_172:                            ;   Parent Loop BB101_11 Depth=1
                                        ;     Parent Loop BB101_170 Depth=2
                                        ; =>    This Inner Loop Header: Depth=3
	s_add_u32 s64, s50, s27
	s_addc_u32 s65, s51, s59
	s_clause 0x1
	global_load_b32 v12, v17, s[50:51] offset:16
	global_load_b32 v27, v17, s[64:65]
	v_add_nc_u32_e32 v4, s7, v1
	v_add_nc_u32_e32 v10, s7, v6
	s_add_i32 s63, s63, -1
	s_add_u32 s50, s50, s54
	s_addc_u32 s51, s51, s55
	v_ashrrev_i32_e32 v5, 31, v4
	s_add_i32 s7, s7, s62
	s_cmp_eq_u32 s63, 0
	s_delay_alu instid0(VALU_DEP_1) | instskip(NEXT) | instid1(VALU_DEP_1)
	v_lshlrev_b64 v[8:9], 3, v[4:5]
	v_add_co_u32 v8, vcc_lo, s47, v8
	s_delay_alu instid0(VALU_DEP_2) | instskip(SKIP_4) | instid1(VALU_DEP_2)
	v_add_co_ci_u32_e32 v9, vcc_lo, s56, v9, vcc_lo
	flat_load_b64 v[8:9], v[8:9]
	s_waitcnt vmcnt(0) lgkmcnt(0)
	v_mul_f32_e32 v26, v9, v27
	v_mul_f32_e32 v25, v8, v27
	v_fma_f32 v26, v3, v12, -v26
	v_mul_f32_e32 v3, v3, v27
	v_ashrrev_i32_e32 v11, 31, v10
	s_delay_alu instid0(VALU_DEP_4) | instskip(NEXT) | instid1(VALU_DEP_3)
	v_fma_f32 v25, v2, v12, -v25
	v_dual_mul_f32 v2, v2, v27 :: v_dual_fmac_f32 v3, v9, v12
	s_delay_alu instid0(VALU_DEP_3) | instskip(NEXT) | instid1(VALU_DEP_2)
	v_lshlrev_b64 v[10:11], 3, v[10:11]
	v_fmac_f32_e32 v2, v8, v12
	s_delay_alu instid0(VALU_DEP_2) | instskip(NEXT) | instid1(VALU_DEP_3)
	v_add_co_u32 v10, vcc_lo, s47, v10
	v_add_co_ci_u32_e32 v11, vcc_lo, s56, v11, vcc_lo
	flat_store_b64 v[10:11], v[25:26]
	s_cbranch_scc0 .LBB101_172
	s_branch .LBB101_169
.LBB101_173:                            ;   in Loop: Header=BB101_11 Depth=1
	s_or_b32 exec_lo, exec_lo, s16
	s_delay_alu instid0(SALU_CYCLE_1)
	s_and_not1_b32 vcc_lo, exec_lo, s79
	s_cbranch_vccnz .LBB101_10
.LBB101_174:                            ;   in Loop: Header=BB101_11 Depth=1
	s_and_saveexec_b32 s56, s6
	s_cbranch_execz .LBB101_9
; %bb.175:                              ;   in Loop: Header=BB101_11 Depth=1
	s_load_b32 s7, s[40:41], 0xc
	s_lshl_b64 s[42:43], s[42:43], 3
	v_mov_b32_e32 v25, v0
	s_add_u32 s42, s34, s42
	s_addc_u32 s43, s35, s43
	s_add_i32 s16, s8, -1
	s_cmp_eq_u32 s46, 0
	s_mov_b32 s57, 0
	s_cselect_b32 s27, s16, 0
	s_cselect_b32 s16, s8, 0
	s_add_i32 s50, s27, s9
	s_cmp_gt_i32 s8, 0
	v_add_nc_u32_e32 v1, s16, v16
	s_cselect_b32 s9, -1, 0
	s_ashr_i32 s51, s50, 31
	s_lshl_b64 s[48:49], s[48:49], 2
	s_lshl_b64 s[50:51], s[50:51], 2
	s_waitcnt lgkmcnt(0)
	s_and_b32 s58, s7, 0xffff
	s_add_u32 s7, s48, s50
	s_addc_u32 s27, s49, s51
	s_add_u32 s48, s82, s7
	s_addc_u32 s49, s83, s27
	s_lshl_b32 s7, s46, 1
	s_ashr_i32 s27, s26, 31
	s_add_i32 s46, s7, -2
	s_lshl_b64 s[50:51], s[26:27], 2
	s_ashr_i32 s47, s46, 31
	v_add3_u32 v3, s7, s16, v19
	s_lshl_b64 s[26:27], s[46:47], 2
	s_mul_i32 s59, s31, s58
	s_or_b32 s26, s26, 4
	s_sub_u32 s7, s50, s44
	s_subb_u32 s44, s51, s45
	s_add_u32 s60, s7, 20
	s_addc_u32 s61, s44, 0
	s_lshl_b64 s[44:45], s[46:47], 3
	s_not_b64 s[50:51], s[46:47]
	s_or_b32 s44, s44, 8
	s_or_b32 s46, s46, 1
	s_branch .LBB101_177
.LBB101_176:                            ;   in Loop: Header=BB101_177 Depth=2
	s_set_inst_prefetch_distance 0x2
	v_lshlrev_b64 v[7:8], 3, v[7:8]
	v_add_nc_u32_e32 v25, s58, v25
	v_add_nc_u32_e32 v3, s59, v3
	v_add_nc_u32_e32 v1, s59, v1
	s_delay_alu instid0(VALU_DEP_3) | instskip(SKIP_1) | instid1(VALU_DEP_1)
	v_cmp_le_i32_e32 vcc_lo, s23, v25
	v_add_co_u32 v7, s7, s42, v7
	v_add_co_ci_u32_e64 v8, s7, s43, v8, s7
	s_or_b32 s57, vcc_lo, s57
	s_waitcnt vmcnt(0) lgkmcnt(0)
	flat_store_b64 v[7:8], v[5:6]
	s_and_not1_b32 exec_lo, exec_lo, s57
	s_cbranch_execz .LBB101_9
.LBB101_177:                            ;   Parent Loop BB101_11 Depth=1
                                        ; =>  This Loop Header: Depth=2
                                        ;       Child Loop BB101_179 Depth 3
	v_mad_u64_u32 v[7:8], null, v25, s31, s[16:17]
	s_delay_alu instid0(VALU_DEP_1) | instskip(NEXT) | instid1(VALU_DEP_1)
	v_ashrrev_i32_e32 v8, 31, v7
	v_lshlrev_b64 v[4:5], 3, v[7:8]
	s_delay_alu instid0(VALU_DEP_1) | instskip(NEXT) | instid1(VALU_DEP_2)
	v_add_co_u32 v4, vcc_lo, s42, v4
	v_add_co_ci_u32_e32 v5, vcc_lo, s43, v5, vcc_lo
	s_and_not1_b32 vcc_lo, exec_lo, s9
	flat_load_b64 v[5:6], v[4:5]
	s_cbranch_vccnz .LBB101_176
; %bb.178:                              ;   in Loop: Header=BB101_177 Depth=2
	v_ashrrev_i32_e32 v4, 31, v3
	v_ashrrev_i32_e32 v2, 31, v1
	v_add_co_u32 v7, vcc_lo, s50, v3
	s_mov_b64 s[52:53], s[42:43]
	s_delay_alu instid0(VALU_DEP_3) | instskip(NEXT) | instid1(VALU_DEP_3)
	v_lshlrev_b64 v[9:10], 3, v[3:4]
	v_lshlrev_b64 v[11:12], 3, v[1:2]
	v_add_co_ci_u32_e32 v8, vcc_lo, s51, v4, vcc_lo
	s_mov_b64 s[54:55], s[48:49]
	s_mov_b32 s7, s8
	s_set_inst_prefetch_distance 0x1
	.p2align	6
.LBB101_179:                            ;   Parent Loop BB101_11 Depth=1
                                        ;     Parent Loop BB101_177 Depth=2
                                        ; =>    This Inner Loop Header: Depth=3
	v_add_co_u32 v26, vcc_lo, s52, v9
	v_add_co_ci_u32_e32 v27, vcc_lo, s53, v10, vcc_lo
	s_add_u32 s62, s54, s60
	s_addc_u32 s63, s55, s61
	s_clause 0x1
	global_load_b32 v2, v17, s[54:55] offset:16
	global_load_b32 v4, v17, s[62:63]
	flat_load_b64 v[26:27], v[26:27]
	v_add_co_u32 v28, vcc_lo, s52, v11
	v_add_co_ci_u32_e32 v29, vcc_lo, s53, v12, vcc_lo
	v_add_co_u32 v7, vcc_lo, v7, s46
	s_add_i32 s7, s7, -1
	s_add_u32 s54, s54, s26
	v_add_co_ci_u32_e32 v8, vcc_lo, s47, v8, vcc_lo
	s_addc_u32 s55, s55, s27
	s_add_u32 s52, s52, s44
	s_addc_u32 s53, s53, s45
	s_cmp_eq_u32 s7, 0
	s_waitcnt vmcnt(0) lgkmcnt(0)
	v_mul_f32_e32 v30, v26, v4
	v_mul_f32_e32 v31, v27, v4
	s_delay_alu instid0(VALU_DEP_2) | instskip(NEXT) | instid1(VALU_DEP_2)
	v_fma_f32 v30, v5, v2, -v30
	v_fma_f32 v31, v6, v2, -v31
	v_mul_f32_e32 v6, v6, v4
	v_mul_f32_e32 v5, v5, v4
	flat_store_b64 v[28:29], v[30:31]
	v_fmac_f32_e32 v6, v27, v2
	v_fmac_f32_e32 v5, v26, v2
	s_cbranch_scc0 .LBB101_179
	s_branch .LBB101_176
.LBB101_180:                            ;   in Loop: Header=BB101_11 Depth=1
	s_ashr_i32 s51, s50, 31
	s_delay_alu instid0(SALU_CYCLE_1) | instskip(NEXT) | instid1(SALU_CYCLE_1)
	s_lshl_b64 s[58:59], s[50:51], 2
	s_add_u32 s58, s64, s58
	s_addc_u32 s59, s65, s59
	global_load_b32 v2, v17, s[58:59] offset:-4
	s_waitcnt vmcnt(0)
	v_mul_f32_e32 v3, v4, v2
	v_mul_f32_e64 v2, v2, -v5
	global_store_b32 v17, v3, s[58:59] offset:-4
	s_and_b32 s7, s73, s93
	s_delay_alu instid0(SALU_CYCLE_1)
	v_cndmask_b32_e64 v3, 0, 1, s7
	s_and_not1_b32 vcc_lo, exec_lo, s7
	s_cbranch_vccnz .LBB101_121
.LBB101_181:                            ;   in Loop: Header=BB101_11 Depth=1
	s_add_u32 s58, s53, s62
	s_addc_u32 s59, s57, s63
	s_ashr_i32 s55, s54, 31
	s_delay_alu instid0(SALU_CYCLE_1) | instskip(NEXT) | instid1(SALU_CYCLE_1)
	s_lshl_b64 s[62:63], s[54:55], 2
	s_add_u32 s62, s58, s62
	s_addc_u32 s63, s59, s63
	s_clause 0x1
	global_store_b32 v17, v4, s[58:59] offset:-4
	global_store_b32 v17, v5, s[62:63] offset:-4
	s_xor_b32 s7, s91, -1
	s_delay_alu instid0(SALU_CYCLE_1) | instskip(NEXT) | instid1(SALU_CYCLE_1)
	s_or_b32 s7, s76, s7
	s_and_b32 vcc_lo, exec_lo, s7
	s_cbranch_vccz .LBB101_122
	s_branch .LBB101_123
.LBB101_182:
	s_endpgm
	.section	.rodata,"a",@progbits
	.p2align	6, 0x0
	.amdhsa_kernel _ZN9rocsolver6v33100L13bdsqr_computeILi256E19rocblas_complex_numIfEfPS3_S4_S4_EEviiiiPT1_lS6_lT2_iilT3_iilT4_iiliS5_S5_S5_S5_PiS6_ilSA_
		.amdhsa_group_segment_fixed_size 1040
		.amdhsa_private_segment_fixed_size 0
		.amdhsa_kernarg_size 440
		.amdhsa_user_sgpr_count 13
		.amdhsa_user_sgpr_dispatch_ptr 0
		.amdhsa_user_sgpr_queue_ptr 0
		.amdhsa_user_sgpr_kernarg_segment_ptr 1
		.amdhsa_user_sgpr_dispatch_id 0
		.amdhsa_user_sgpr_private_segment_size 0
		.amdhsa_wavefront_size32 1
		.amdhsa_uses_dynamic_stack 0
		.amdhsa_enable_private_segment 0
		.amdhsa_system_sgpr_workgroup_id_x 1
		.amdhsa_system_sgpr_workgroup_id_y 1
		.amdhsa_system_sgpr_workgroup_id_z 1
		.amdhsa_system_sgpr_workgroup_info 0
		.amdhsa_system_vgpr_workitem_id 0
		.amdhsa_next_free_vgpr 32
		.amdhsa_next_free_sgpr 104
		.amdhsa_reserve_vcc 1
		.amdhsa_float_round_mode_32 0
		.amdhsa_float_round_mode_16_64 0
		.amdhsa_float_denorm_mode_32 3
		.amdhsa_float_denorm_mode_16_64 3
		.amdhsa_dx10_clamp 1
		.amdhsa_ieee_mode 1
		.amdhsa_fp16_overflow 0
		.amdhsa_workgroup_processor_mode 1
		.amdhsa_memory_ordered 1
		.amdhsa_forward_progress 0
		.amdhsa_shared_vgpr_count 0
		.amdhsa_exception_fp_ieee_invalid_op 0
		.amdhsa_exception_fp_denorm_src 0
		.amdhsa_exception_fp_ieee_div_zero 0
		.amdhsa_exception_fp_ieee_overflow 0
		.amdhsa_exception_fp_ieee_underflow 0
		.amdhsa_exception_fp_ieee_inexact 0
		.amdhsa_exception_int_div_zero 0
	.end_amdhsa_kernel
	.section	.text._ZN9rocsolver6v33100L13bdsqr_computeILi256E19rocblas_complex_numIfEfPS3_S4_S4_EEviiiiPT1_lS6_lT2_iilT3_iilT4_iiliS5_S5_S5_S5_PiS6_ilSA_,"axG",@progbits,_ZN9rocsolver6v33100L13bdsqr_computeILi256E19rocblas_complex_numIfEfPS3_S4_S4_EEviiiiPT1_lS6_lT2_iilT3_iilT4_iiliS5_S5_S5_S5_PiS6_ilSA_,comdat
.Lfunc_end101:
	.size	_ZN9rocsolver6v33100L13bdsqr_computeILi256E19rocblas_complex_numIfEfPS3_S4_S4_EEviiiiPT1_lS6_lT2_iilT3_iilT4_iiliS5_S5_S5_S5_PiS6_ilSA_, .Lfunc_end101-_ZN9rocsolver6v33100L13bdsqr_computeILi256E19rocblas_complex_numIfEfPS3_S4_S4_EEviiiiPT1_lS6_lT2_iilT3_iilT4_iiliS5_S5_S5_S5_PiS6_ilSA_
                                        ; -- End function
	.section	.AMDGPU.csdata,"",@progbits
; Kernel info:
; codeLenInByte = 9748
; NumSgprs: 106
; NumVgprs: 32
; ScratchSize: 0
; MemoryBound: 0
; FloatMode: 240
; IeeeMode: 1
; LDSByteSize: 1040 bytes/workgroup (compile time only)
; SGPRBlocks: 13
; VGPRBlocks: 3
; NumSGPRsForWavesPerEU: 106
; NumVGPRsForWavesPerEU: 32
; Occupancy: 16
; WaveLimiterHint : 1
; COMPUTE_PGM_RSRC2:SCRATCH_EN: 0
; COMPUTE_PGM_RSRC2:USER_SGPR: 13
; COMPUTE_PGM_RSRC2:TRAP_HANDLER: 0
; COMPUTE_PGM_RSRC2:TGID_X_EN: 1
; COMPUTE_PGM_RSRC2:TGID_Y_EN: 1
; COMPUTE_PGM_RSRC2:TGID_Z_EN: 1
; COMPUTE_PGM_RSRC2:TIDIG_COMP_CNT: 0
	.section	.text._ZN9rocsolver6v33100L12bdsqr_rotateI19rocblas_complex_numIfEfPS3_S4_S4_EEviiiiT1_iilT2_iilT3_iiliPiPT0_ilS8_,"axG",@progbits,_ZN9rocsolver6v33100L12bdsqr_rotateI19rocblas_complex_numIfEfPS3_S4_S4_EEviiiiT1_iilT2_iilT3_iiliPiPT0_ilS8_,comdat
	.globl	_ZN9rocsolver6v33100L12bdsqr_rotateI19rocblas_complex_numIfEfPS3_S4_S4_EEviiiiT1_iilT2_iilT3_iiliPiPT0_ilS8_ ; -- Begin function _ZN9rocsolver6v33100L12bdsqr_rotateI19rocblas_complex_numIfEfPS3_S4_S4_EEviiiiT1_iilT2_iilT3_iiliPiPT0_ilS8_
	.p2align	8
	.type	_ZN9rocsolver6v33100L12bdsqr_rotateI19rocblas_complex_numIfEfPS3_S4_S4_EEviiiiT1_iilT2_iilT3_iiliPiPT0_ilS8_,@function
_ZN9rocsolver6v33100L12bdsqr_rotateI19rocblas_complex_numIfEfPS3_S4_S4_EEviiiiT1_iilT2_iilT3_iiliPiPT0_ilS8_: ; @_ZN9rocsolver6v33100L12bdsqr_rotateI19rocblas_complex_numIfEfPS3_S4_S4_EEviiiiT1_iilT2_iilT3_iiliPiPT0_ilS8_
; %bb.0:
	s_load_b128 s[16:19], s[0:1], 0x78
	s_mov_b32 s26, s15
	s_ashr_i32 s27, s15, 31
	s_delay_alu instid0(SALU_CYCLE_1)
	s_lshl_b64 s[2:3], s[26:27], 2
	s_waitcnt lgkmcnt(0)
	s_add_u32 s2, s18, s2
	s_addc_u32 s3, s19, s3
	s_load_b32 s2, s[2:3], 0x8
	s_waitcnt lgkmcnt(0)
	s_cmp_lg_u32 s2, 0
	s_cbranch_scc1 .LBB102_25
; %bb.1:
	s_load_b256 s[4:11], s[0:1], 0x10
	s_add_u32 s24, s0, 0x88
	s_addc_u32 s25, s1, 0
	s_mov_b64 s[2:3], 0
	s_mov_b64 s[18:19], 0
	s_waitcnt lgkmcnt(0)
	s_cmp_eq_u64 s[4:5], 0
	s_cbranch_scc1 .LBB102_3
; %bb.2:
	s_mul_i32 s9, s26, s9
	s_mul_hi_u32 s12, s26, s8
	s_mul_i32 s15, s27, s8
	s_add_i32 s9, s12, s9
	s_mul_i32 s8, s26, s8
	s_add_i32 s9, s9, s15
	s_ashr_i32 s19, s6, 31
	s_lshl_b64 s[8:9], s[8:9], 3
	s_mov_b32 s18, s6
	s_add_u32 s6, s4, s8
	s_addc_u32 s8, s5, s9
	s_lshl_b64 s[4:5], s[18:19], 3
	s_delay_alu instid0(SALU_CYCLE_1)
	s_add_u32 s18, s6, s4
	s_addc_u32 s19, s8, s5
.LBB102_3:
	s_clause 0x1
	s_load_b64 s[4:5], s[0:1], 0x30
	s_load_b128 s[20:23], s[0:1], 0x38
	s_cmp_eq_u64 s[10:11], 0
	s_cbranch_scc1 .LBB102_5
; %bb.4:
	s_waitcnt lgkmcnt(0)
	s_mul_i32 s2, s26, s21
	s_mul_hi_u32 s3, s26, s20
	s_mul_i32 s6, s27, s20
	s_add_i32 s2, s3, s2
	s_ashr_i32 s9, s4, 31
	s_add_i32 s3, s2, s6
	s_mul_i32 s2, s26, s20
	s_mov_b32 s8, s4
	s_lshl_b64 s[2:3], s[2:3], 3
	s_delay_alu instid0(SALU_CYCLE_1) | instskip(SKIP_2) | instid1(SALU_CYCLE_1)
	s_add_u32 s4, s10, s2
	s_addc_u32 s6, s11, s3
	s_lshl_b64 s[2:3], s[8:9], 3
	s_add_u32 s2, s4, s2
	s_addc_u32 s3, s6, s3
.LBB102_5:
	s_load_b64 s[28:29], s[0:1], 0x48
	s_waitcnt lgkmcnt(0)
	s_cmp_eq_u64 s[22:23], 0
	s_mov_b64 s[20:21], 0
	s_cbranch_scc1 .LBB102_7
; %bb.6:
	s_load_b64 s[8:9], s[0:1], 0x50
	s_ashr_i32 s11, s28, 31
	s_mov_b32 s10, s28
	s_waitcnt lgkmcnt(0)
	s_mul_i32 s4, s26, s9
	s_mul_hi_u32 s6, s26, s8
	s_mul_i32 s9, s27, s8
	s_add_i32 s4, s6, s4
	s_mul_i32 s8, s26, s8
	s_add_i32 s9, s4, s9
	s_delay_alu instid0(SALU_CYCLE_1) | instskip(NEXT) | instid1(SALU_CYCLE_1)
	s_lshl_b64 s[8:9], s[8:9], 3
	s_add_u32 s4, s22, s8
	s_addc_u32 s6, s23, s9
	s_lshl_b64 s[8:9], s[10:11], 3
	s_delay_alu instid0(SALU_CYCLE_1)
	s_add_u32 s20, s4, s8
	s_addc_u32 s21, s6, s9
.LBB102_7:
	s_load_b128 s[8:11], s[0:1], 0x60
	s_mul_i32 s4, s26, s17
	s_mul_hi_u32 s6, s26, s16
	s_delay_alu instid0(SALU_CYCLE_1) | instskip(SKIP_3) | instid1(SALU_CYCLE_1)
	s_add_i32 s4, s6, s4
	s_mul_i32 s6, s27, s16
	s_mul_i32 s16, s26, s16
	s_add_i32 s17, s4, s6
	s_lshl_b64 s[16:17], s[16:17], 2
	s_waitcnt lgkmcnt(0)
	s_add_u32 s22, s10, s16
	s_addc_u32 s23, s11, s17
	s_load_b32 s4, s[22:23], 0x8
	s_waitcnt lgkmcnt(0)
	v_cvt_i32_f32_e32 v8, s4
	s_delay_alu instid0(VALU_DEP_1)
	v_cmp_ge_i32_e32 vcc_lo, s14, v8
	s_cbranch_vccnz .LBB102_25
; %bb.8:
	s_clause 0x3
	s_load_b128 s[36:39], s[0:1], 0x0
	s_load_b32 s6, s[0:1], 0x94
	s_load_b32 s4, s[0:1], 0x58
	;; [unrolled: 1-line block ×4, first 2 shown]
	v_mov_b32_e32 v10, 0
	s_waitcnt lgkmcnt(0)
	s_mul_i32 s0, s26, s36
	s_delay_alu instid0(SALU_CYCLE_1) | instskip(NEXT) | instid1(SALU_CYCLE_1)
	s_lshl_b32 s0, s0, 1
	s_ashr_i32 s1, s0, 31
	s_delay_alu instid0(SALU_CYCLE_1) | instskip(NEXT) | instid1(SALU_CYCLE_1)
	s_lshl_b64 s[0:1], s[0:1], 2
	s_add_u32 s26, s8, s0
	s_addc_u32 s27, s9, s1
	s_and_b32 s0, 0xffff, s6
	s_cmp_eq_u32 s37, 0
	v_mad_u64_u32 v[1:2], null, s13, s0, v[0:1]
	s_cselect_b32 s30, -1, 0
	s_cmp_lg_u64 s[18:19], 0
	s_cselect_b32 s1, -1, 0
	s_delay_alu instid0(VALU_DEP_1)
	v_cmp_gt_i32_e32 vcc_lo, s37, v1
	v_cmp_gt_i32_e64 s0, s38, v1
	v_mul_lo_u32 v0, v1, s7
	v_mul_lo_u32 v9, v1, s29
	s_and_b32 s31, vcc_lo, s1
	s_cmp_lg_u64 s[2:3], 0
	v_cmp_gt_i32_e32 vcc_lo, s39, v1
	s_cselect_b32 s1, -1, 0
	s_delay_alu instid0(SALU_CYCLE_1) | instskip(SKIP_2) | instid1(SALU_CYCLE_1)
	s_and_b32 s33, s0, s1
	s_cmp_lg_u64 s[20:21], 0
	s_cselect_b32 s0, -1, 0
	s_and_b32 s29, vcc_lo, s0
	s_add_u32 s34, s10, s16
	s_addc_u32 s35, s11, s17
	s_branch .LBB102_12
.LBB102_9:                              ;   in Loop: Header=BB102_12 Depth=1
	s_set_inst_prefetch_distance 0x2
	v_sub_co_u32 v4, vcc_lo, v6, s12
	v_subrev_co_ci_u32_e32 v5, vcc_lo, s13, v7, vcc_lo
	s_delay_alu instid0(VALU_DEP_2) | instskip(NEXT) | instid1(VALU_DEP_2)
	v_add_co_u32 v4, vcc_lo, s6, v4
	v_add_co_ci_u32_e32 v5, vcc_lo, s7, v5, vcc_lo
	flat_store_b64 v[4:5], v[2:3]
.LBB102_10:                             ;   in Loop: Header=BB102_12 Depth=1
	s_or_b32 exec_lo, exec_lo, s16
.LBB102_11:                             ;   in Loop: Header=BB102_12 Depth=1
	s_add_i32 s14, s28, s14
	s_delay_alu instid0(SALU_CYCLE_1)
	v_cmp_lt_i32_e32 vcc_lo, s14, v8
	s_cbranch_vccz .LBB102_25
.LBB102_12:                             ; =>This Loop Header: Depth=1
                                        ;     Child Loop BB102_16 Depth 2
                                        ;     Child Loop BB102_20 Depth 2
	;; [unrolled: 1-line block ×3, first 2 shown]
	s_lshl_b32 s0, s14, 2
	s_delay_alu instid0(SALU_CYCLE_1) | instskip(NEXT) | instid1(SALU_CYCLE_1)
	s_ashr_i32 s1, s0, 31
	s_lshl_b64 s[0:1], s[0:1], 2
	s_delay_alu instid0(SALU_CYCLE_1)
	s_add_u32 s0, s26, s0
	s_addc_u32 s1, s27, s1
	s_clause 0x1
	s_load_b64 s[6:7], s[0:1], 0x0
	s_load_b32 s10, s[0:1], 0x8
	s_waitcnt lgkmcnt(0)
	s_cmp_le_i32 s10, s7
	s_cbranch_scc1 .LBB102_11
; %bb.13:                               ;   in Loop: Header=BB102_12 Depth=1
	s_load_b32 s0, s[0:1], 0xc
	s_waitcnt lgkmcnt(0)
	s_cmp_lt_i32 s0, s4
	s_cselect_b32 s0, -1, 0
	s_cmp_lg_u32 s6, 0
	s_cselect_b32 s1, -1, 0
	s_delay_alu instid0(SALU_CYCLE_1) | instskip(NEXT) | instid1(SALU_CYCLE_1)
	s_and_b32 s0, s0, s1
	s_and_not1_b32 vcc_lo, exec_lo, s0
	s_cbranch_vccnz .LBB102_11
; %bb.14:                               ;   in Loop: Header=BB102_12 Depth=1
	s_mul_i32 s8, s7, s15
	s_delay_alu instid0(SALU_CYCLE_1)
	s_ashr_i32 s9, s8, 31
	s_cmp_gt_i32 s6, 0
	s_cselect_b32 s36, -1, 0
	s_sub_i32 s0, s10, s7
	s_and_saveexec_b32 s1, s31
	s_cbranch_execz .LBB102_18
; %bb.15:                               ;   in Loop: Header=BB102_12 Depth=1
	s_and_b32 s11, s36, exec_lo
	s_cselect_b32 s11, s7, s10
	s_mov_b32 s22, s6
	v_add_nc_u32_e32 v6, s11, v0
	s_add_i32 s11, s0, -1
	s_and_b32 s12, s36, exec_lo
	s_cselect_b32 s12, 0, s11
	s_ashr_i32 s23, s6, 31
	v_ashrrev_i32_e32 v7, 31, v6
	s_ashr_i32 s13, s12, 31
	s_lshl_b64 s[24:25], s[8:9], 2
	s_lshl_b64 s[16:17], s[12:13], 2
	;; [unrolled: 1-line block ×3, first 2 shown]
	v_lshlrev_b64 v[4:5], 3, v[6:7]
	v_add_nc_u32_e32 v6, s6, v6
	s_add_u32 s11, s16, s24
	s_addc_u32 s17, s17, s25
	s_add_u32 s16, s34, s11
	s_addc_u32 s17, s35, s17
	v_add_co_u32 v2, vcc_lo, s18, v4
	v_add_co_ci_u32_e32 v3, vcc_lo, s19, v5, vcc_lo
	v_ashrrev_i32_e32 v7, 31, v6
	s_ashr_i32 s11, s10, 31
	s_ashr_i32 s25, s7, 31
	flat_load_b64 v[2:3], v[2:3]
	s_mov_b32 s24, s7
	s_lshl_b64 s[38:39], s[10:11], 2
	s_lshl_b64 s[24:25], s[24:25], 2
	v_lshlrev_b64 v[6:7], 3, v[6:7]
	s_lshl_b64 s[22:23], s[22:23], 2
	s_sub_u32 s11, s38, s24
	s_subb_u32 s24, s39, s25
	s_add_u32 s11, s11, 20
	s_addc_u32 s37, s24, 0
	s_mov_b32 s38, s0
	s_mov_b64 s[24:25], s[18:19]
	s_set_inst_prefetch_distance 0x1
	.p2align	6
.LBB102_16:                             ;   Parent Loop BB102_12 Depth=1
                                        ; =>  This Inner Loop Header: Depth=2
	v_add_co_u32 v11, vcc_lo, s24, v6
	v_add_co_ci_u32_e32 v12, vcc_lo, s25, v7, vcc_lo
	s_add_u32 s40, s16, s11
	s_addc_u32 s41, s17, s37
	s_clause 0x1
	global_load_b32 v17, v10, s[16:17] offset:16
	global_load_b32 v18, v10, s[40:41]
	flat_load_b64 v[11:12], v[11:12]
	v_add_co_u32 v13, vcc_lo, s24, v4
	s_add_u32 s24, s24, s12
	v_add_co_ci_u32_e32 v14, vcc_lo, s25, v5, vcc_lo
	s_addc_u32 s25, s25, s13
	s_add_u32 s16, s16, s22
	s_addc_u32 s17, s17, s23
	s_add_i32 s38, s38, -1
	s_delay_alu instid0(SALU_CYCLE_1) | instskip(SKIP_3) | instid1(VALU_DEP_2)
	s_cmp_eq_u32 s38, 0
	s_waitcnt vmcnt(0) lgkmcnt(0)
	v_mul_f32_e32 v15, v11, v18
	v_mul_f32_e32 v16, v12, v18
	v_fma_f32 v15, v2, v17, -v15
	s_delay_alu instid0(VALU_DEP_2)
	v_fma_f32 v16, v3, v17, -v16
	v_mul_f32_e32 v3, v3, v18
	v_mul_f32_e32 v2, v2, v18
	flat_store_b64 v[13:14], v[15:16]
	v_fmac_f32_e32 v3, v12, v17
	v_fmac_f32_e32 v2, v11, v17
	s_cbranch_scc0 .LBB102_16
; %bb.17:                               ;   in Loop: Header=BB102_12 Depth=1
	s_set_inst_prefetch_distance 0x2
	v_sub_co_u32 v4, vcc_lo, v6, s12
	v_subrev_co_ci_u32_e32 v5, vcc_lo, s13, v7, vcc_lo
	s_delay_alu instid0(VALU_DEP_2) | instskip(NEXT) | instid1(VALU_DEP_2)
	v_add_co_u32 v4, vcc_lo, s24, v4
	v_add_co_ci_u32_e32 v5, vcc_lo, s25, v5, vcc_lo
	flat_store_b64 v[4:5], v[2:3]
.LBB102_18:                             ;   in Loop: Header=BB102_12 Depth=1
	s_or_b32 exec_lo, exec_lo, s1
	s_lshl_b32 s1, s0, 1
	s_delay_alu instid0(SALU_CYCLE_1)
	s_add_i32 s1, s1, 2
	s_and_b32 s11, s30, exec_lo
	s_cselect_b32 s11, 0, s1
	s_and_saveexec_b32 s22, s33
	s_cbranch_execz .LBB102_22
; %bb.19:                               ;   in Loop: Header=BB102_12 Depth=1
	s_and_b32 s1, s36, exec_lo
	s_cselect_b32 s13, s7, s10
	s_add_i32 s1, s0, -1
	s_mul_i32 s23, s13, s5
	s_and_b32 s12, s36, exec_lo
	v_add_nc_u32_e32 v2, s23, v1
	s_cselect_b32 s1, 0, s1
	s_add_i32 s24, s13, s6
	s_add_i32 s12, s11, s1
	s_lshl_b64 s[16:17], s[8:9], 2
	v_ashrrev_i32_e32 v3, 31, v2
	s_ashr_i32 s13, s12, 31
	s_ashr_i32 s1, s0, 31
	s_lshl_b64 s[12:13], s[12:13], 2
	v_mov_b32_e32 v6, v1
	v_lshlrev_b64 v[2:3], 3, v[2:3]
	s_add_u32 s12, s16, s12
	s_addc_u32 s13, s17, s13
	s_add_u32 s12, s34, s12
	s_addc_u32 s13, s35, s13
	s_ashr_i32 s17, s6, 31
	v_add_co_u32 v2, vcc_lo, s2, v2
	v_add_co_ci_u32_e32 v3, vcc_lo, s3, v3, vcc_lo
	s_mov_b32 s16, s6
	s_lshl_b64 s[38:39], s[0:1], 2
	s_lshl_b64 s[16:17], s[16:17], 2
	flat_load_b64 v[2:3], v[2:3]
	s_add_u32 s1, s38, 20
	s_mul_i32 s24, s5, s24
	s_mul_i32 s25, s5, s6
	s_addc_u32 s37, s39, 0
	s_mov_b32 s38, s0
	s_set_inst_prefetch_distance 0x1
	.p2align	6
.LBB102_20:                             ;   Parent Loop BB102_12 Depth=1
                                        ; =>  This Inner Loop Header: Depth=2
	s_add_u32 s40, s12, s1
	s_addc_u32 s41, s13, s37
	s_clause 0x1
	global_load_b32 v7, v10, s[12:13] offset:16
	global_load_b32 v17, v10, s[40:41]
	v_add_nc_u32_e32 v4, s24, v6
	s_add_u32 s12, s12, s16
	s_addc_u32 s13, s13, s17
	s_add_i32 s38, s38, -1
	s_delay_alu instid0(VALU_DEP_1) | instskip(SKIP_1) | instid1(VALU_DEP_1)
	v_ashrrev_i32_e32 v5, 31, v4
	s_cmp_eq_u32 s38, 0
	v_lshlrev_b64 v[4:5], 3, v[4:5]
	s_delay_alu instid0(VALU_DEP_1) | instskip(NEXT) | instid1(VALU_DEP_2)
	v_add_co_u32 v4, vcc_lo, s2, v4
	v_add_co_ci_u32_e32 v5, vcc_lo, s3, v5, vcc_lo
	flat_load_b64 v[11:12], v[4:5]
	v_add_nc_u32_e32 v13, s23, v6
	v_add_nc_u32_e32 v6, s25, v6
	s_waitcnt vmcnt(0) lgkmcnt(0)
	v_mul_f32_e32 v16, v12, v17
	s_delay_alu instid0(VALU_DEP_3) | instskip(SKIP_1) | instid1(VALU_DEP_3)
	v_ashrrev_i32_e32 v14, 31, v13
	v_mul_f32_e32 v15, v11, v17
	v_fma_f32 v16, v3, v7, -v16
	v_mul_f32_e32 v3, v3, v17
	s_delay_alu instid0(VALU_DEP_4) | instskip(NEXT) | instid1(VALU_DEP_4)
	v_lshlrev_b64 v[13:14], 3, v[13:14]
	v_fma_f32 v15, v2, v7, -v15
	s_delay_alu instid0(VALU_DEP_3) | instskip(NEXT) | instid1(VALU_DEP_3)
	v_dual_mul_f32 v2, v2, v17 :: v_dual_fmac_f32 v3, v12, v7
	v_add_co_u32 v13, vcc_lo, s2, v13
	s_delay_alu instid0(VALU_DEP_4) | instskip(NEXT) | instid1(VALU_DEP_3)
	v_add_co_ci_u32_e32 v14, vcc_lo, s3, v14, vcc_lo
	v_fmac_f32_e32 v2, v11, v7
	flat_store_b64 v[13:14], v[15:16]
	s_cbranch_scc0 .LBB102_20
; %bb.21:                               ;   in Loop: Header=BB102_12 Depth=1
	s_set_inst_prefetch_distance 0x2
	flat_store_b64 v[4:5], v[2:3]
.LBB102_22:                             ;   in Loop: Header=BB102_12 Depth=1
	s_or_b32 exec_lo, exec_lo, s22
	s_and_saveexec_b32 s16, s29
	s_cbranch_execz .LBB102_10
; %bb.23:                               ;   in Loop: Header=BB102_12 Depth=1
	s_and_b32 s1, s36, exec_lo
	s_cselect_b32 s1, s7, s10
	s_delay_alu instid0(SALU_CYCLE_1)
	v_add_nc_u32_e32 v6, s1, v9
	s_add_i32 s1, s0, -1
	s_and_b32 s7, s36, exec_lo
	s_cselect_b32 s1, 0, s1
	s_lshl_b64 s[8:9], s[8:9], 2
	v_ashrrev_i32_e32 v7, 31, v6
	s_add_i32 s10, s11, s1
	s_ashr_i32 s1, s0, 31
	s_ashr_i32 s11, s10, 31
	s_delay_alu instid0(SALU_CYCLE_1)
	s_lshl_b64 s[10:11], s[10:11], 2
	v_lshlrev_b64 v[4:5], 3, v[6:7]
	v_add_nc_u32_e32 v6, s6, v6
	s_add_u32 s7, s8, s10
	s_addc_u32 s9, s9, s11
	s_add_u32 s8, s34, s7
	s_addc_u32 s9, s35, s9
	v_add_co_u32 v2, vcc_lo, s20, v4
	v_add_co_ci_u32_e32 v3, vcc_lo, s21, v5, vcc_lo
	v_ashrrev_i32_e32 v7, 31, v6
	s_ashr_i32 s7, s6, 31
	s_lshl_b64 s[12:13], s[0:1], 2
	flat_load_b64 v[2:3], v[2:3]
	s_lshl_b64 s[10:11], s[6:7], 2
	v_lshlrev_b64 v[6:7], 3, v[6:7]
	s_add_u32 s1, s12, 20
	s_addc_u32 s17, s13, 0
	s_lshl_b64 s[12:13], s[6:7], 3
	s_mov_b64 s[6:7], s[20:21]
	s_set_inst_prefetch_distance 0x1
	.p2align	6
.LBB102_24:                             ;   Parent Loop BB102_12 Depth=1
                                        ; =>  This Inner Loop Header: Depth=2
	v_add_co_u32 v11, vcc_lo, s6, v6
	v_add_co_ci_u32_e32 v12, vcc_lo, s7, v7, vcc_lo
	s_add_u32 s22, s8, s1
	s_addc_u32 s23, s9, s17
	s_clause 0x1
	global_load_b32 v17, v10, s[8:9] offset:16
	global_load_b32 v18, v10, s[22:23]
	flat_load_b64 v[11:12], v[11:12]
	v_add_co_u32 v13, vcc_lo, s6, v4
	s_add_i32 s0, s0, -1
	s_add_u32 s8, s8, s10
	v_add_co_ci_u32_e32 v14, vcc_lo, s7, v5, vcc_lo
	s_addc_u32 s9, s9, s11
	s_add_u32 s6, s6, s12
	s_addc_u32 s7, s7, s13
	s_cmp_eq_u32 s0, 0
	s_waitcnt vmcnt(0) lgkmcnt(0)
	v_mul_f32_e32 v15, v11, v18
	v_mul_f32_e32 v16, v12, v18
	s_delay_alu instid0(VALU_DEP_2) | instskip(NEXT) | instid1(VALU_DEP_2)
	v_fma_f32 v15, v2, v17, -v15
	v_fma_f32 v16, v3, v17, -v16
	v_mul_f32_e32 v3, v3, v18
	v_mul_f32_e32 v2, v2, v18
	flat_store_b64 v[13:14], v[15:16]
	v_fmac_f32_e32 v3, v12, v17
	v_fmac_f32_e32 v2, v11, v17
	s_cbranch_scc0 .LBB102_24
	s_branch .LBB102_9
.LBB102_25:
	s_endpgm
	.section	.rodata,"a",@progbits
	.p2align	6, 0x0
	.amdhsa_kernel _ZN9rocsolver6v33100L12bdsqr_rotateI19rocblas_complex_numIfEfPS3_S4_S4_EEviiiiT1_iilT2_iilT3_iiliPiPT0_ilS8_
		.amdhsa_group_segment_fixed_size 0
		.amdhsa_private_segment_fixed_size 0
		.amdhsa_kernarg_size 392
		.amdhsa_user_sgpr_count 13
		.amdhsa_user_sgpr_dispatch_ptr 0
		.amdhsa_user_sgpr_queue_ptr 0
		.amdhsa_user_sgpr_kernarg_segment_ptr 1
		.amdhsa_user_sgpr_dispatch_id 0
		.amdhsa_user_sgpr_private_segment_size 0
		.amdhsa_wavefront_size32 1
		.amdhsa_uses_dynamic_stack 0
		.amdhsa_enable_private_segment 0
		.amdhsa_system_sgpr_workgroup_id_x 1
		.amdhsa_system_sgpr_workgroup_id_y 1
		.amdhsa_system_sgpr_workgroup_id_z 1
		.amdhsa_system_sgpr_workgroup_info 0
		.amdhsa_system_vgpr_workitem_id 0
		.amdhsa_next_free_vgpr 19
		.amdhsa_next_free_sgpr 42
		.amdhsa_reserve_vcc 1
		.amdhsa_float_round_mode_32 0
		.amdhsa_float_round_mode_16_64 0
		.amdhsa_float_denorm_mode_32 3
		.amdhsa_float_denorm_mode_16_64 3
		.amdhsa_dx10_clamp 1
		.amdhsa_ieee_mode 1
		.amdhsa_fp16_overflow 0
		.amdhsa_workgroup_processor_mode 1
		.amdhsa_memory_ordered 1
		.amdhsa_forward_progress 0
		.amdhsa_shared_vgpr_count 0
		.amdhsa_exception_fp_ieee_invalid_op 0
		.amdhsa_exception_fp_denorm_src 0
		.amdhsa_exception_fp_ieee_div_zero 0
		.amdhsa_exception_fp_ieee_overflow 0
		.amdhsa_exception_fp_ieee_underflow 0
		.amdhsa_exception_fp_ieee_inexact 0
		.amdhsa_exception_int_div_zero 0
	.end_amdhsa_kernel
	.section	.text._ZN9rocsolver6v33100L12bdsqr_rotateI19rocblas_complex_numIfEfPS3_S4_S4_EEviiiiT1_iilT2_iilT3_iiliPiPT0_ilS8_,"axG",@progbits,_ZN9rocsolver6v33100L12bdsqr_rotateI19rocblas_complex_numIfEfPS3_S4_S4_EEviiiiT1_iilT2_iilT3_iiliPiPT0_ilS8_,comdat
.Lfunc_end102:
	.size	_ZN9rocsolver6v33100L12bdsqr_rotateI19rocblas_complex_numIfEfPS3_S4_S4_EEviiiiT1_iilT2_iilT3_iiliPiPT0_ilS8_, .Lfunc_end102-_ZN9rocsolver6v33100L12bdsqr_rotateI19rocblas_complex_numIfEfPS3_S4_S4_EEviiiiT1_iilT2_iilT3_iiliPiPT0_ilS8_
                                        ; -- End function
	.section	.AMDGPU.csdata,"",@progbits
; Kernel info:
; codeLenInByte = 1864
; NumSgprs: 44
; NumVgprs: 19
; ScratchSize: 0
; MemoryBound: 0
; FloatMode: 240
; IeeeMode: 1
; LDSByteSize: 0 bytes/workgroup (compile time only)
; SGPRBlocks: 5
; VGPRBlocks: 2
; NumSGPRsForWavesPerEU: 44
; NumVGPRsForWavesPerEU: 19
; Occupancy: 16
; WaveLimiterHint : 1
; COMPUTE_PGM_RSRC2:SCRATCH_EN: 0
; COMPUTE_PGM_RSRC2:USER_SGPR: 13
; COMPUTE_PGM_RSRC2:TRAP_HANDLER: 0
; COMPUTE_PGM_RSRC2:TGID_X_EN: 1
; COMPUTE_PGM_RSRC2:TGID_Y_EN: 1
; COMPUTE_PGM_RSRC2:TGID_Z_EN: 1
; COMPUTE_PGM_RSRC2:TIDIG_COMP_CNT: 0
	.section	.text._ZN9rocsolver6v33100L22bdsqr_update_endpointsI19rocblas_complex_numIfEfEEviPT0_lPiS5_lS6_,"axG",@progbits,_ZN9rocsolver6v33100L22bdsqr_update_endpointsI19rocblas_complex_numIfEfEEviPT0_lPiS5_lS6_,comdat
	.globl	_ZN9rocsolver6v33100L22bdsqr_update_endpointsI19rocblas_complex_numIfEfEEviPT0_lPiS5_lS6_ ; -- Begin function _ZN9rocsolver6v33100L22bdsqr_update_endpointsI19rocblas_complex_numIfEfEEviPT0_lPiS5_lS6_
	.p2align	8
	.type	_ZN9rocsolver6v33100L22bdsqr_update_endpointsI19rocblas_complex_numIfEfEEviPT0_lPiS5_lS6_,@function
_ZN9rocsolver6v33100L22bdsqr_update_endpointsI19rocblas_complex_numIfEfEEviPT0_lPiS5_lS6_: ; @_ZN9rocsolver6v33100L22bdsqr_update_endpointsI19rocblas_complex_numIfEfEEviPT0_lPiS5_lS6_
; %bb.0:
	s_load_b128 s[16:19], s[0:1], 0x28
	s_mov_b32 s12, s15
	s_ashr_i32 s13, s15, 31
	s_delay_alu instid0(SALU_CYCLE_1)
	s_lshl_b64 s[2:3], s[12:13], 2
	s_waitcnt lgkmcnt(0)
	s_add_u32 s2, s18, s2
	s_addc_u32 s3, s19, s3
	s_load_b32 s2, s[2:3], 0x8
	s_waitcnt lgkmcnt(0)
	s_cmp_lg_u32 s2, 0
	s_cbranch_scc1 .LBB103_32
; %bb.1:
	s_load_b256 s[4:11], s[0:1], 0x8
	s_mul_i32 s2, s12, s17
	s_mul_hi_u32 s3, s12, s16
	s_delay_alu instid0(SALU_CYCLE_1) | instskip(SKIP_1) | instid1(SALU_CYCLE_1)
	s_add_i32 s2, s3, s2
	s_mul_i32 s3, s13, s16
	s_add_i32 s3, s2, s3
	s_mul_i32 s2, s12, s16
	s_delay_alu instid0(SALU_CYCLE_1)
	s_lshl_b64 s[2:3], s[2:3], 2
	s_waitcnt lgkmcnt(0)
	s_add_u32 s2, s10, s2
	s_addc_u32 s3, s11, s3
	s_load_b64 s[10:11], s[2:3], 0x4
	s_waitcnt lgkmcnt(0)
	v_cvt_i32_f32_e32 v4, s11
	s_delay_alu instid0(VALU_DEP_1)
	v_cmp_ge_i32_e32 vcc_lo, s14, v4
	s_cbranch_vccnz .LBB103_32
; %bb.2:
	s_load_b32 s16, s[0:1], 0x0
	s_mul_i32 s7, s12, s7
	s_mul_hi_u32 s11, s12, s6
	s_mul_i32 s13, s13, s6
	s_add_i32 s7, s11, s7
	s_load_b32 s11, s[0:1], 0x3c
	s_mul_i32 s6, s12, s6
	s_add_i32 s7, s7, s13
	v_cvt_f32_i32_e32 v5, v4
	s_lshl_b64 s[0:1], s[6:7], 2
	v_mov_b32_e32 v6, 0
	s_add_u32 s15, s4, s0
	s_addc_u32 s18, s5, s1
	s_waitcnt lgkmcnt(0)
	s_mul_i32 s0, s12, s16
	s_delay_alu instid0(SALU_CYCLE_1) | instskip(NEXT) | instid1(SALU_CYCLE_1)
	s_lshl_b32 s0, s0, 1
	s_ashr_i32 s1, s0, 31
	s_delay_alu instid0(SALU_CYCLE_1) | instskip(NEXT) | instid1(SALU_CYCLE_1)
	s_lshl_b64 s[0:1], s[0:1], 2
	s_add_u32 s19, s8, s0
	s_addc_u32 s20, s9, s1
	s_add_u32 s21, s15, -4
	s_addc_u32 s22, s18, -1
	s_branch .LBB103_5
.LBB103_3:                              ;   in Loop: Header=BB103_5 Depth=1
	s_mov_b32 s6, s8
.LBB103_4:                              ;   in Loop: Header=BB103_5 Depth=1
	s_add_i32 s14, s11, s14
	v_dual_mov_b32 v0, s6 :: v_dual_mov_b32 v1, s9
	v_cmp_lt_i32_e32 vcc_lo, s14, v4
	global_store_b64 v6, v[0:1], s[4:5] offset:4
	s_cbranch_vccz .LBB103_32
.LBB103_5:                              ; =>This Loop Header: Depth=1
                                        ;     Child Loop BB103_10 Depth 2
                                        ;     Child Loop BB103_15 Depth 2
	;; [unrolled: 1-line block ×3, first 2 shown]
                                        ;       Child Loop BB103_27 Depth 3
	s_lshl_b32 s0, s14, 2
	s_delay_alu instid0(SALU_CYCLE_1) | instskip(NEXT) | instid1(SALU_CYCLE_1)
	s_ashr_i32 s1, s0, 31
	s_lshl_b64 s[0:1], s[0:1], 2
	s_delay_alu instid0(SALU_CYCLE_1)
	s_add_u32 s4, s19, s0
	s_addc_u32 s5, s20, s1
	global_load_b128 v[0:3], v6, s[4:5]
	s_waitcnt vmcnt(0)
	v_cmp_eq_u32_e64 s0, 0, v0
	v_readfirstlane_b32 s12, v1
	v_readfirstlane_b32 s8, v2
	s_delay_alu instid0(VALU_DEP_3)
	s_and_b32 vcc_lo, exec_lo, s0
	s_cbranch_vccnz .LBB103_7
; %bb.6:                                ;   in Loop: Header=BB103_5 Depth=1
	s_delay_alu instid0(VALU_DEP_1) | instskip(NEXT) | instid1(SALU_CYCLE_1)
	s_sub_i32 s1, s8, s12
	v_add_nc_u32_e32 v3, s1, v3
	global_store_b32 v6, v3, s[4:5] offset:12
.LBB103_7:                              ;   in Loop: Header=BB103_5 Depth=1
	s_delay_alu instid0(VALU_DEP_1)
	s_cmp_le_i32 s8, s12
	s_cbranch_scc1 .LBB103_17
; %bb.8:                                ;   in Loop: Header=BB103_5 Depth=1
	s_ashr_i32 s13, s12, 31
	s_delay_alu instid0(SALU_CYCLE_1) | instskip(NEXT) | instid1(SALU_CYCLE_1)
	s_lshl_b64 s[6:7], s[12:13], 2
	s_add_u32 s16, s15, s6
	s_addc_u32 s17, s18, s7
	s_branch .LBB103_10
	.p2align	6
.LBB103_9:                              ;   in Loop: Header=BB103_10 Depth=2
	s_add_i32 s12, s12, 1
	global_store_b32 v6, v6, s[16:17]
	s_add_u32 s16, s16, 4
	s_addc_u32 s17, s17, 0
	s_cmp_ge_i32 s12, s8
	s_mov_b32 s6, s8
	s_cselect_b32 s1, -1, 0
	s_delay_alu instid0(SALU_CYCLE_1)
	s_and_not1_b32 vcc_lo, exec_lo, s1
	s_cbranch_vccz .LBB103_12
.LBB103_10:                             ;   Parent Loop BB103_5 Depth=1
                                        ; =>  This Inner Loop Header: Depth=2
	global_load_b32 v0, v6, s[16:17]
	s_waitcnt vmcnt(0)
	v_cmp_nlt_f32_e64 s1, |v0|, s10
	s_delay_alu instid0(VALU_DEP_1)
	s_and_b32 vcc_lo, exec_lo, s1
	s_mov_b32 s1, -1
	s_cbranch_vccz .LBB103_9
; %bb.11:                               ;   in Loop: Header=BB103_10 Depth=2
	s_mov_b32 s6, s12
                                        ; implicit-def: $sgpr12
                                        ; implicit-def: $sgpr16_sgpr17
	s_and_not1_b32 vcc_lo, exec_lo, s1
	s_cbranch_vccnz .LBB103_10
.LBB103_12:                             ;   in Loop: Header=BB103_5 Depth=1
	s_cmp_le_i32 s8, s6
	s_cbranch_scc1 .LBB103_18
.LBB103_13:                             ;   in Loop: Header=BB103_5 Depth=1
	s_ashr_i32 s9, s8, 31
	s_delay_alu instid0(SALU_CYCLE_1) | instskip(NEXT) | instid1(SALU_CYCLE_1)
	s_lshl_b64 s[12:13], s[8:9], 2
	s_add_u32 s12, s21, s12
	s_addc_u32 s13, s22, s13
	s_branch .LBB103_15
	.p2align	6
.LBB103_14:                             ;   in Loop: Header=BB103_15 Depth=2
	s_add_i32 s8, s8, -1
	global_store_b32 v6, v6, s[12:13]
	s_add_u32 s12, s12, -4
	s_addc_u32 s13, s13, -1
	s_cmp_le_i32 s8, s6
	s_mov_b32 s9, s6
	s_cselect_b32 s1, -1, 0
	s_delay_alu instid0(SALU_CYCLE_1)
	s_and_not1_b32 vcc_lo, exec_lo, s1
	s_cbranch_vccz .LBB103_19
.LBB103_15:                             ;   Parent Loop BB103_5 Depth=1
                                        ; =>  This Inner Loop Header: Depth=2
	global_load_b32 v0, v6, s[12:13]
	s_waitcnt vmcnt(0)
	v_cmp_nlt_f32_e64 s1, |v0|, s10
	s_delay_alu instid0(VALU_DEP_1)
	s_and_b32 vcc_lo, exec_lo, s1
	s_mov_b32 s1, -1
	s_cbranch_vccz .LBB103_14
; %bb.16:                               ;   in Loop: Header=BB103_15 Depth=2
	s_mov_b32 s9, s8
                                        ; implicit-def: $sgpr8
                                        ; implicit-def: $sgpr12_sgpr13
	s_and_not1_b32 vcc_lo, exec_lo, s1
	s_cbranch_vccnz .LBB103_15
	s_branch .LBB103_19
.LBB103_17:                             ;   in Loop: Header=BB103_5 Depth=1
	s_mov_b32 s6, s12
	s_delay_alu instid0(SALU_CYCLE_1)
	s_cmp_le_i32 s8, s6
	s_cbranch_scc0 .LBB103_13
.LBB103_18:                             ;   in Loop: Header=BB103_5 Depth=1
	s_mov_b32 s9, s8
.LBB103_19:                             ;   in Loop: Header=BB103_5 Depth=1
	s_delay_alu instid0(SALU_CYCLE_1) | instskip(SKIP_2) | instid1(SALU_CYCLE_1)
	s_cmp_lt_i32 s6, s9
	s_mov_b32 s8, s6
	s_cselect_b32 s1, -1, 0
	s_and_b32 s0, s0, s1
	s_delay_alu instid0(SALU_CYCLE_1)
	s_and_not1_b32 vcc_lo, exec_lo, s0
	s_cbranch_vccnz .LBB103_4
.LBB103_20:                             ;   Parent Loop BB103_5 Depth=1
                                        ; =>  This Loop Header: Depth=2
                                        ;       Child Loop BB103_27 Depth 3
	s_ashr_i32 s7, s6, 31
	s_mov_b32 s12, -1
	s_lshl_b64 s[0:1], s[6:7], 2
	s_delay_alu instid0(SALU_CYCLE_1) | instskip(SKIP_4) | instid1(VALU_DEP_1)
	s_add_u32 s0, s15, s0
	s_addc_u32 s1, s18, s1
	global_load_b32 v0, v6, s[0:1]
	s_waitcnt vmcnt(0)
	v_cmp_lt_f32_e64 s7, |v0|, s10
	s_and_b32 vcc_lo, exec_lo, s7
                                        ; implicit-def: $sgpr7
	s_cbranch_vccz .LBB103_23
; %bb.21:                               ;   in Loop: Header=BB103_20 Depth=2
	s_and_not1_b32 vcc_lo, exec_lo, s12
	s_cbranch_vccz .LBB103_24
.LBB103_22:                             ;   in Loop: Header=BB103_20 Depth=2
	s_cmp_lt_i32 s7, s9
	s_cbranch_scc1 .LBB103_31
	s_branch .LBB103_3
.LBB103_23:                             ;   in Loop: Header=BB103_20 Depth=2
	s_add_i32 s7, s6, 1
	s_cbranch_execnz .LBB103_22
.LBB103_24:                             ;   in Loop: Header=BB103_20 Depth=2
	s_cmp_ge_i32 s8, s6
	global_store_b32 v6, v6, s[0:1]
	s_cbranch_scc1 .LBB103_30
; %bb.25:                               ;   in Loop: Header=BB103_20 Depth=2
	s_mov_b32 s0, exec_lo
                                        ; implicit-def: $vgpr1
	s_delay_alu instid0(SALU_CYCLE_1) | instskip(NEXT) | instid1(VALU_DEP_1)
	v_mbcnt_lo_u32_b32 v0, s0, 0
	v_cmp_eq_u32_e32 vcc_lo, 0, v0
	s_and_saveexec_b32 s1, vcc_lo
	s_cbranch_execz .LBB103_29
; %bb.26:                               ;   in Loop: Header=BB103_20 Depth=2
	global_load_b32 v1, v6, s[2:3] offset:12
	s_bcnt1_i32_b32 s0, s0
	s_mov_b32 s7, 0
	v_cvt_f32_ubyte0_e32 v2, s0
.LBB103_27:                             ;   Parent Loop BB103_5 Depth=1
                                        ;     Parent Loop BB103_20 Depth=2
                                        ; =>    This Inner Loop Header: Depth=3
	s_waitcnt vmcnt(0)
	v_mov_b32_e32 v8, v1
	s_delay_alu instid0(VALU_DEP_1) | instskip(SKIP_3) | instid1(VALU_DEP_1)
	v_add_f32_e32 v7, v8, v2
	global_atomic_cmpswap_b32 v1, v6, v[7:8], s[2:3] offset:12 glc
	s_waitcnt vmcnt(0)
	v_cmp_eq_u32_e64 s0, v1, v8
	s_or_b32 s7, s0, s7
	s_delay_alu instid0(SALU_CYCLE_1)
	s_and_not1_b32 exec_lo, exec_lo, s7
	s_cbranch_execnz .LBB103_27
; %bb.28:                               ;   in Loop: Header=BB103_20 Depth=2
	s_or_b32 exec_lo, exec_lo, s7
.LBB103_29:                             ;   in Loop: Header=BB103_20 Depth=2
	s_delay_alu instid0(SALU_CYCLE_1) | instskip(SKIP_3) | instid1(VALU_DEP_2)
	s_or_b32 exec_lo, exec_lo, s1
	v_readfirstlane_b32 s0, v1
	v_cvt_f32_ubyte0_e32 v0, v0
	v_mov_b32_e32 v2, s6
	v_add_f32_e32 v0, s0, v0
	s_delay_alu instid0(VALU_DEP_1) | instskip(NEXT) | instid1(VALU_DEP_1)
	v_cndmask_b32_e64 v0, v0, s0, vcc_lo
	v_add_f32_e32 v0, v0, v5
	s_delay_alu instid0(VALU_DEP_1) | instskip(NEXT) | instid1(VALU_DEP_1)
	v_cvt_i32_f32_e32 v0, v0
	v_lshlrev_b32_e32 v0, 2, v0
	s_delay_alu instid0(VALU_DEP_1) | instskip(NEXT) | instid1(VALU_DEP_1)
	v_ashrrev_i32_e32 v1, 31, v0
	v_lshlrev_b64 v[7:8], 2, v[0:1]
	v_mov_b32_e32 v1, s8
	s_delay_alu instid0(VALU_DEP_2) | instskip(NEXT) | instid1(VALU_DEP_3)
	v_add_co_u32 v7, vcc_lo, s19, v7
	v_add_co_ci_u32_e32 v8, vcc_lo, s20, v8, vcc_lo
	global_store_b96 v[7:8], v[1:3], off offset:4
.LBB103_30:                             ;   in Loop: Header=BB103_20 Depth=2
	s_add_i32 s8, s6, 1
	s_delay_alu instid0(SALU_CYCLE_1) | instskip(NEXT) | instid1(SALU_CYCLE_1)
	s_mov_b32 s7, s8
	s_cmp_lt_i32 s7, s9
	s_cbranch_scc0 .LBB103_3
.LBB103_31:                             ;   in Loop: Header=BB103_20 Depth=2
	s_mov_b32 s6, s7
	s_branch .LBB103_20
.LBB103_32:
	s_nop 0
	s_sendmsg sendmsg(MSG_DEALLOC_VGPRS)
	s_endpgm
	.section	.rodata,"a",@progbits
	.p2align	6, 0x0
	.amdhsa_kernel _ZN9rocsolver6v33100L22bdsqr_update_endpointsI19rocblas_complex_numIfEfEEviPT0_lPiS5_lS6_
		.amdhsa_group_segment_fixed_size 0
		.amdhsa_private_segment_fixed_size 0
		.amdhsa_kernarg_size 312
		.amdhsa_user_sgpr_count 13
		.amdhsa_user_sgpr_dispatch_ptr 0
		.amdhsa_user_sgpr_queue_ptr 0
		.amdhsa_user_sgpr_kernarg_segment_ptr 1
		.amdhsa_user_sgpr_dispatch_id 0
		.amdhsa_user_sgpr_private_segment_size 0
		.amdhsa_wavefront_size32 1
		.amdhsa_uses_dynamic_stack 0
		.amdhsa_enable_private_segment 0
		.amdhsa_system_sgpr_workgroup_id_x 1
		.amdhsa_system_sgpr_workgroup_id_y 1
		.amdhsa_system_sgpr_workgroup_id_z 1
		.amdhsa_system_sgpr_workgroup_info 0
		.amdhsa_system_vgpr_workitem_id 0
		.amdhsa_next_free_vgpr 9
		.amdhsa_next_free_sgpr 23
		.amdhsa_reserve_vcc 1
		.amdhsa_float_round_mode_32 0
		.amdhsa_float_round_mode_16_64 0
		.amdhsa_float_denorm_mode_32 3
		.amdhsa_float_denorm_mode_16_64 3
		.amdhsa_dx10_clamp 1
		.amdhsa_ieee_mode 1
		.amdhsa_fp16_overflow 0
		.amdhsa_workgroup_processor_mode 1
		.amdhsa_memory_ordered 1
		.amdhsa_forward_progress 0
		.amdhsa_shared_vgpr_count 0
		.amdhsa_exception_fp_ieee_invalid_op 0
		.amdhsa_exception_fp_denorm_src 0
		.amdhsa_exception_fp_ieee_div_zero 0
		.amdhsa_exception_fp_ieee_overflow 0
		.amdhsa_exception_fp_ieee_underflow 0
		.amdhsa_exception_fp_ieee_inexact 0
		.amdhsa_exception_int_div_zero 0
	.end_amdhsa_kernel
	.section	.text._ZN9rocsolver6v33100L22bdsqr_update_endpointsI19rocblas_complex_numIfEfEEviPT0_lPiS5_lS6_,"axG",@progbits,_ZN9rocsolver6v33100L22bdsqr_update_endpointsI19rocblas_complex_numIfEfEEviPT0_lPiS5_lS6_,comdat
.Lfunc_end103:
	.size	_ZN9rocsolver6v33100L22bdsqr_update_endpointsI19rocblas_complex_numIfEfEEviPT0_lPiS5_lS6_, .Lfunc_end103-_ZN9rocsolver6v33100L22bdsqr_update_endpointsI19rocblas_complex_numIfEfEEviPT0_lPiS5_lS6_
                                        ; -- End function
	.section	.AMDGPU.csdata,"",@progbits
; Kernel info:
; codeLenInByte = 1012
; NumSgprs: 25
; NumVgprs: 9
; ScratchSize: 0
; MemoryBound: 0
; FloatMode: 240
; IeeeMode: 1
; LDSByteSize: 0 bytes/workgroup (compile time only)
; SGPRBlocks: 3
; VGPRBlocks: 1
; NumSGPRsForWavesPerEU: 25
; NumVGPRsForWavesPerEU: 9
; Occupancy: 16
; WaveLimiterHint : 1
; COMPUTE_PGM_RSRC2:SCRATCH_EN: 0
; COMPUTE_PGM_RSRC2:USER_SGPR: 13
; COMPUTE_PGM_RSRC2:TRAP_HANDLER: 0
; COMPUTE_PGM_RSRC2:TGID_X_EN: 1
; COMPUTE_PGM_RSRC2:TGID_Y_EN: 1
; COMPUTE_PGM_RSRC2:TGID_Z_EN: 1
; COMPUTE_PGM_RSRC2:TIDIG_COMP_CNT: 0
	.section	.text._ZN9rocsolver6v33100L19bdsqr_chk_completedI19rocblas_complex_numIfEfEEviiPiPT0_lS4_,"axG",@progbits,_ZN9rocsolver6v33100L19bdsqr_chk_completedI19rocblas_complex_numIfEfEEviiPiPT0_lS4_,comdat
	.globl	_ZN9rocsolver6v33100L19bdsqr_chk_completedI19rocblas_complex_numIfEfEEviiPiPT0_lS4_ ; -- Begin function _ZN9rocsolver6v33100L19bdsqr_chk_completedI19rocblas_complex_numIfEfEEviiPiPT0_lS4_
	.p2align	8
	.type	_ZN9rocsolver6v33100L19bdsqr_chk_completedI19rocblas_complex_numIfEfEEviiPiPT0_lS4_,@function
_ZN9rocsolver6v33100L19bdsqr_chk_completedI19rocblas_complex_numIfEfEEviiPiPT0_lS4_: ; @_ZN9rocsolver6v33100L19bdsqr_chk_completedI19rocblas_complex_numIfEfEEviiPiPT0_lS4_
; %bb.0:
	s_load_b256 s[4:11], s[0:1], 0x8
	s_mov_b32 s12, s15
	s_ashr_i32 s13, s15, 31
	s_delay_alu instid0(SALU_CYCLE_1)
	s_lshl_b64 s[2:3], s[12:13], 2
	s_waitcnt lgkmcnt(0)
	s_add_u32 s2, s10, s2
	s_addc_u32 s3, s11, s3
	s_load_b32 s14, s[2:3], 0x8
	s_waitcnt lgkmcnt(0)
	s_cmp_lg_u32 s14, 0
	s_cbranch_scc0 .LBB104_2
.LBB104_1:
	s_nop 0
	s_sendmsg sendmsg(MSG_DEALLOC_VGPRS)
	s_endpgm
.LBB104_2:
	s_mul_i32 s9, s12, s9
	s_mul_hi_u32 s14, s12, s8
	s_mul_i32 s13, s13, s8
	s_add_i32 s9, s14, s9
	s_mul_i32 s8, s12, s8
	s_add_i32 s9, s9, s13
	v_mov_b32_e32 v2, 0
	s_lshl_b64 s[8:9], s[8:9], 2
	s_delay_alu instid0(SALU_CYCLE_1)
	s_add_u32 s8, s6, s8
	s_addc_u32 s9, s7, s9
	s_load_b64 s[14:15], s[8:9], 0x8
	s_load_b32 s6, s[10:11], 0x4
	s_waitcnt lgkmcnt(0)
	v_add_f32_e64 v0, s14, s15
	s_delay_alu instid0(VALU_DEP_1) | instskip(NEXT) | instid1(VALU_DEP_1)
	v_cvt_i32_f32_e32 v0, v0
	v_cmp_ge_i32_e32 vcc_lo, s6, v0
	v_cvt_f32_i32_e32 v1, v0
	global_store_b64 v2, v[1:2], s[8:9] offset:8
	s_cbranch_vccnz .LBB104_6
; %bb.3:
	v_mov_b32_e32 v1, s6
	s_mov_b32 s6, 0
.LBB104_4:                              ; =>This Inner Loop Header: Depth=1
	global_atomic_cmpswap_b32 v1, v2, v[0:1], s[10:11] offset:4 glc
	s_waitcnt vmcnt(0)
	v_cmp_ge_i32_e32 vcc_lo, v1, v0
	s_or_b32 s6, vcc_lo, s6
	s_delay_alu instid0(SALU_CYCLE_1)
	s_and_not1_b32 exec_lo, exec_lo, s6
	s_cbranch_execnz .LBB104_4
; %bb.5:
	s_or_b32 exec_lo, exec_lo, s6
.LBB104_6:
	v_cmp_gt_i32_e32 vcc_lo, 1, v0
	s_cbranch_vccnz .LBB104_14
; %bb.7:
	s_load_b64 s[0:1], s[0:1], 0x0
	v_mov_b32_e32 v1, 0
	s_waitcnt lgkmcnt(0)
	s_mul_i32 s0, s12, s0
	s_delay_alu instid0(SALU_CYCLE_1) | instskip(NEXT) | instid1(SALU_CYCLE_1)
	s_lshl_b32 s6, s0, 1
	s_ashr_i32 s7, s6, 31
	s_delay_alu instid0(SALU_CYCLE_1) | instskip(NEXT) | instid1(SALU_CYCLE_1)
	s_lshl_b64 s[6:7], s[6:7], 2
	s_add_u32 s0, s6, s4
	s_addc_u32 s5, s7, s5
	s_add_u32 s4, s0, 12
	s_addc_u32 s5, s5, 0
	s_branch .LBB104_9
	.p2align	6
.LBB104_8:                              ;   in Loop: Header=BB104_9 Depth=1
	v_add_nc_u32_e32 v0, -1, v0
	s_add_u32 s4, s4, 16
	s_addc_u32 s5, s5, 0
	s_mov_b32 s0, 0
	s_delay_alu instid0(VALU_DEP_1) | instskip(NEXT) | instid1(VALU_DEP_1)
	v_cmp_eq_u32_e64 s6, 0, v0
	s_and_not1_b32 vcc_lo, exec_lo, s6
	s_cbranch_vccz .LBB104_13
.LBB104_9:                              ; =>This Inner Loop Header: Depth=1
	global_load_b64 v[2:3], v1, s[4:5] offset:-8
	s_mov_b32 s6, -1
                                        ; implicit-def: $sgpr0
	s_waitcnt vmcnt(0)
	v_cmp_ge_i32_e32 vcc_lo, v2, v3
	s_cbranch_vccnz .LBB104_11
; %bb.10:                               ;   in Loop: Header=BB104_9 Depth=1
	global_load_b32 v2, v1, s[4:5]
	s_mov_b32 s0, -1
	s_waitcnt vmcnt(0)
	v_cmp_le_i32_e64 s6, s1, v2
.LBB104_11:                             ;   in Loop: Header=BB104_9 Depth=1
	s_delay_alu instid0(VALU_DEP_1)
	s_and_not1_b32 vcc_lo, exec_lo, s6
	s_cbranch_vccz .LBB104_8
; %bb.12:
                                        ; implicit-def: $vgpr0
                                        ; implicit-def: $sgpr4_sgpr5
.LBB104_13:
	s_xor_b32 s0, s0, -1
	s_delay_alu instid0(SALU_CYCLE_1)
	s_and_b32 vcc_lo, exec_lo, s0
	s_cbranch_vccz .LBB104_1
	s_branch .LBB104_15
.LBB104_14:
	s_cbranch_execz .LBB104_1
.LBB104_15:
	s_mov_b32 s0, exec_lo
	v_mov_b32_e32 v0, 0
	v_mbcnt_lo_u32_b32 v1, s0, 0
	v_mov_b32_e32 v2, 1
	s_mov_b32 s1, exec_lo
	global_store_b32 v0, v2, s[2:3] offset:8
	v_cmpx_eq_u32_e32 0, v1
	s_cbranch_execz .LBB104_1
; %bb.16:
	s_bcnt1_i32_b32 s0, s0
	s_delay_alu instid0(SALU_CYCLE_1)
	v_mov_b32_e32 v1, s0
	global_atomic_add_u32 v0, v1, s[10:11]
	s_nop 0
	s_sendmsg sendmsg(MSG_DEALLOC_VGPRS)
	s_endpgm
	.section	.rodata,"a",@progbits
	.p2align	6, 0x0
	.amdhsa_kernel _ZN9rocsolver6v33100L19bdsqr_chk_completedI19rocblas_complex_numIfEfEEviiPiPT0_lS4_
		.amdhsa_group_segment_fixed_size 0
		.amdhsa_private_segment_fixed_size 0
		.amdhsa_kernarg_size 40
		.amdhsa_user_sgpr_count 14
		.amdhsa_user_sgpr_dispatch_ptr 0
		.amdhsa_user_sgpr_queue_ptr 0
		.amdhsa_user_sgpr_kernarg_segment_ptr 1
		.amdhsa_user_sgpr_dispatch_id 0
		.amdhsa_user_sgpr_private_segment_size 0
		.amdhsa_wavefront_size32 1
		.amdhsa_uses_dynamic_stack 0
		.amdhsa_enable_private_segment 0
		.amdhsa_system_sgpr_workgroup_id_x 1
		.amdhsa_system_sgpr_workgroup_id_y 1
		.amdhsa_system_sgpr_workgroup_id_z 0
		.amdhsa_system_sgpr_workgroup_info 0
		.amdhsa_system_vgpr_workitem_id 0
		.amdhsa_next_free_vgpr 4
		.amdhsa_next_free_sgpr 16
		.amdhsa_reserve_vcc 1
		.amdhsa_float_round_mode_32 0
		.amdhsa_float_round_mode_16_64 0
		.amdhsa_float_denorm_mode_32 3
		.amdhsa_float_denorm_mode_16_64 3
		.amdhsa_dx10_clamp 1
		.amdhsa_ieee_mode 1
		.amdhsa_fp16_overflow 0
		.amdhsa_workgroup_processor_mode 1
		.amdhsa_memory_ordered 1
		.amdhsa_forward_progress 0
		.amdhsa_shared_vgpr_count 0
		.amdhsa_exception_fp_ieee_invalid_op 0
		.amdhsa_exception_fp_denorm_src 0
		.amdhsa_exception_fp_ieee_div_zero 0
		.amdhsa_exception_fp_ieee_overflow 0
		.amdhsa_exception_fp_ieee_underflow 0
		.amdhsa_exception_fp_ieee_inexact 0
		.amdhsa_exception_int_div_zero 0
	.end_amdhsa_kernel
	.section	.text._ZN9rocsolver6v33100L19bdsqr_chk_completedI19rocblas_complex_numIfEfEEviiPiPT0_lS4_,"axG",@progbits,_ZN9rocsolver6v33100L19bdsqr_chk_completedI19rocblas_complex_numIfEfEEviiPiPT0_lS4_,comdat
.Lfunc_end104:
	.size	_ZN9rocsolver6v33100L19bdsqr_chk_completedI19rocblas_complex_numIfEfEEviiPiPT0_lS4_, .Lfunc_end104-_ZN9rocsolver6v33100L19bdsqr_chk_completedI19rocblas_complex_numIfEfEEviiPiPT0_lS4_
                                        ; -- End function
	.section	.AMDGPU.csdata,"",@progbits
; Kernel info:
; codeLenInByte = 472
; NumSgprs: 18
; NumVgprs: 4
; ScratchSize: 0
; MemoryBound: 0
; FloatMode: 240
; IeeeMode: 1
; LDSByteSize: 0 bytes/workgroup (compile time only)
; SGPRBlocks: 2
; VGPRBlocks: 0
; NumSGPRsForWavesPerEU: 18
; NumVGPRsForWavesPerEU: 4
; Occupancy: 16
; WaveLimiterHint : 0
; COMPUTE_PGM_RSRC2:SCRATCH_EN: 0
; COMPUTE_PGM_RSRC2:USER_SGPR: 14
; COMPUTE_PGM_RSRC2:TRAP_HANDLER: 0
; COMPUTE_PGM_RSRC2:TGID_X_EN: 1
; COMPUTE_PGM_RSRC2:TGID_Y_EN: 1
; COMPUTE_PGM_RSRC2:TGID_Z_EN: 0
; COMPUTE_PGM_RSRC2:TIDIG_COMP_CNT: 0
	.section	.text._ZN9rocsolver6v33100L14bdsqr_finalizeI19rocblas_complex_numIfEfPS3_S4_S4_EEviiiiPT0_lS6_lT1_iilT2_iilT3_iilPiSA_SA_,"axG",@progbits,_ZN9rocsolver6v33100L14bdsqr_finalizeI19rocblas_complex_numIfEfPS3_S4_S4_EEviiiiPT0_lS6_lT1_iilT2_iilT3_iilPiSA_SA_,comdat
	.globl	_ZN9rocsolver6v33100L14bdsqr_finalizeI19rocblas_complex_numIfEfPS3_S4_S4_EEviiiiPT0_lS6_lT1_iilT2_iilT3_iilPiSA_SA_ ; -- Begin function _ZN9rocsolver6v33100L14bdsqr_finalizeI19rocblas_complex_numIfEfPS3_S4_S4_EEviiiiPT0_lS6_lT1_iilT2_iilT3_iilPiSA_SA_
	.p2align	8
	.type	_ZN9rocsolver6v33100L14bdsqr_finalizeI19rocblas_complex_numIfEfPS3_S4_S4_EEviiiiPT0_lS6_lT1_iilT2_iilT3_iilPiSA_SA_,@function
_ZN9rocsolver6v33100L14bdsqr_finalizeI19rocblas_complex_numIfEfPS3_S4_S4_EEviiiiPT0_lS6_lT1_iilT2_iilT3_iilPiSA_SA_: ; @_ZN9rocsolver6v33100L14bdsqr_finalizeI19rocblas_complex_numIfEfPS3_S4_S4_EEviiiiPT0_lS6_lT1_iilT2_iilT3_iilPiSA_SA_
; %bb.0:
	s_load_b256 s[36:43], s[0:1], 0x70
	s_mov_b32 s8, s15
	s_ashr_i32 s9, s15, 31
	s_mov_b32 s32, 0
	s_lshl_b64 s[22:23], s[8:9], 2
	s_waitcnt lgkmcnt(0)
	s_add_u32 s2, s42, s22
	s_addc_u32 s3, s43, s23
	s_load_b32 s2, s[2:3], 0x8
	s_waitcnt lgkmcnt(0)
	s_cmp_gt_i32 s2, 1
	s_cbranch_scc1 .LBB105_264
; %bb.1:
	s_clause 0x2
	s_load_b64 s[2:3], s[0:1], 0x9c
	s_load_b256 s[44:51], s[0:1], 0x30
	s_load_b256 s[52:59], s[0:1], 0x10
	s_mov_b64 s[28:29], 0
	s_mov_b64 s[34:35], 0
	s_waitcnt lgkmcnt(0)
	s_and_b32 s3, s3, 0xffff
	s_cmp_eq_u64 s[44:45], 0
	s_cbranch_scc1 .LBB105_3
; %bb.2:
	s_mul_i32 s4, s8, s49
	s_mul_hi_u32 s5, s8, s48
	s_mul_i32 s6, s9, s48
	s_add_i32 s4, s5, s4
	s_ashr_i32 s7, s46, 31
	s_add_i32 s5, s4, s6
	s_mul_i32 s4, s8, s48
	s_mov_b32 s6, s46
	s_lshl_b64 s[4:5], s[4:5], 3
	s_delay_alu instid0(SALU_CYCLE_1) | instskip(SKIP_2) | instid1(SALU_CYCLE_1)
	s_add_u32 s10, s44, s4
	s_addc_u32 s11, s45, s5
	s_lshl_b64 s[4:5], s[6:7], 3
	s_add_u32 s34, s10, s4
	s_addc_u32 s35, s11, s5
.LBB105_3:
	s_clause 0x1
	s_load_b64 s[42:43], s[0:1], 0x50
	s_load_b128 s[4:7], s[0:1], 0x58
	s_cmp_eq_u64 s[50:51], 0
	s_cbranch_scc1 .LBB105_5
; %bb.4:
	s_waitcnt lgkmcnt(0)
	s_mul_i32 s5, s8, s5
	s_mul_hi_u32 s10, s8, s4
	s_mul_i32 s11, s9, s4
	s_add_i32 s5, s10, s5
	s_mul_i32 s4, s8, s4
	s_add_i32 s5, s5, s11
	s_ashr_i32 s11, s42, 31
	s_lshl_b64 s[4:5], s[4:5], 3
	s_mov_b32 s10, s42
	s_add_u32 s12, s50, s4
	s_addc_u32 s13, s51, s5
	s_lshl_b64 s[4:5], s[10:11], 3
	s_delay_alu instid0(SALU_CYCLE_1)
	s_add_u32 s28, s12, s4
	s_addc_u32 s29, s13, s5
.LBB105_5:
	s_load_b64 s[48:49], s[0:1], 0x68
	s_waitcnt lgkmcnt(0)
	s_cmp_eq_u64 s[6:7], 0
	s_mov_b64 s[44:45], 0
	s_cbranch_scc1 .LBB105_7
; %bb.6:
	s_mul_i32 s4, s8, s37
	s_mul_hi_u32 s5, s8, s36
	s_mul_i32 s10, s9, s36
	s_add_i32 s4, s5, s4
	s_ashr_i32 s11, s48, 31
	s_add_i32 s5, s4, s10
	s_mul_i32 s4, s8, s36
	s_mov_b32 s10, s48
	s_lshl_b64 s[4:5], s[4:5], 3
	s_delay_alu instid0(SALU_CYCLE_1) | instskip(SKIP_2) | instid1(SALU_CYCLE_1)
	s_add_u32 s6, s6, s4
	s_addc_u32 s7, s7, s5
	s_lshl_b64 s[4:5], s[10:11], 3
	s_add_u32 s44, s6, s4
	s_addc_u32 s45, s7, s5
.LBB105_7:
	s_mul_i32 s4, s8, s55
	s_mul_hi_u32 s5, s8, s54
	s_mul_i32 s6, s9, s54
	s_add_i32 s5, s5, s4
	s_mul_i32 s4, s8, s54
	s_add_i32 s5, s5, s6
	v_bfe_u32 v42, v0, 20, 10
	s_lshl_b64 s[50:51], s[4:5], 2
	s_load_b128 s[24:27], s[0:1], 0x0
	s_add_u32 s36, s52, s50
	s_addc_u32 s37, s53, s51
	s_lshr_b32 s4, s2, 16
	s_and_b32 s21, s2, 0xffff
	v_bfe_u32 v43, v0, 10, 10
	s_mul_i32 s46, s4, s21
	v_and_b32_e32 v44, 0x3ff, v0
	v_mul_lo_u32 v1, s46, v42
	s_and_b32 s3, s3, 0xffff
	v_mul_u32_u24_e32 v0, s21, v43
	s_mul_i32 s46, s46, s3
	s_delay_alu instid0(VALU_DEP_1) | instskip(SKIP_2) | instid1(VALU_DEP_1)
	v_add3_u32 v41, v0, v44, v1
	s_waitcnt lgkmcnt(0)
	s_cmp_lt_i32 s24, 1
	v_cmp_eq_u32_e64 s2, 0, v41
	s_cbranch_scc1 .LBB105_22
; %bb.8:
	s_mul_i32 s3, s8, s59
	s_mul_hi_u32 s4, s8, s58
	s_mul_i32 s5, s9, s58
	s_add_i32 s3, s4, s3
	s_mul_i32 s4, s8, s58
	s_add_i32 s5, s3, s5
	v_cmp_gt_u32_e64 s3, s25, v41
	s_lshl_b64 s[4:5], s[4:5], 2
	v_mov_b32_e32 v0, 0
	s_add_u32 s9, s56, s4
	s_addc_u32 s10, s57, s5
	s_add_i32 s11, s24, -1
	s_mov_b32 s5, 0
	s_cmp_lg_u32 s25, 0
	s_mov_b32 s14, s47
	s_cselect_b32 s12, -1, 0
	s_ashr_i32 s13, s47, 31
	s_mov_b32 s4, s5
	s_mov_b32 s42, s5
	s_branch .LBB105_11
.LBB105_9:                              ;   in Loop: Header=BB105_11 Depth=1
	s_or_b32 exec_lo, exec_lo, s15
.LBB105_10:                             ;   in Loop: Header=BB105_11 Depth=1
	s_add_i32 s4, s4, 1
	s_delay_alu instid0(SALU_CYCLE_1)
	s_cmp_eq_u32 s4, s24
	s_cbranch_scc1 .LBB105_23
.LBB105_11:                             ; =>This Loop Header: Depth=1
                                        ;     Child Loop BB105_18 Depth 2
	s_cmp_ge_i32 s4, s11
	s_cbranch_scc1 .LBB105_14
; %bb.12:                               ;   in Loop: Header=BB105_11 Depth=1
	s_lshl_b64 s[6:7], s[4:5], 2
	s_delay_alu instid0(SALU_CYCLE_1)
	s_add_u32 s6, s9, s6
	s_addc_u32 s7, s10, s7
	global_load_b32 v1, v0, s[6:7]
	s_waitcnt vmcnt(0)
	v_cmp_eq_f32_e32 vcc_lo, 0, v1
	s_cbranch_vccnz .LBB105_14
; %bb.13:                               ;   in Loop: Header=BB105_11 Depth=1
	s_add_i32 s42, s42, 1
.LBB105_14:                             ;   in Loop: Header=BB105_11 Depth=1
	s_lshl_b64 s[6:7], s[4:5], 2
	s_delay_alu instid0(SALU_CYCLE_1)
	s_add_u32 s6, s36, s6
	s_addc_u32 s7, s37, s7
	global_load_b32 v1, v0, s[6:7]
	s_waitcnt vmcnt(0)
	v_cmp_ngt_f32_e32 vcc_lo, 0, v1
	s_cbranch_vccnz .LBB105_10
; %bb.15:                               ;   in Loop: Header=BB105_11 Depth=1
	s_and_not1_b32 vcc_lo, exec_lo, s12
	s_cbranch_vccnz .LBB105_20
; %bb.16:                               ;   in Loop: Header=BB105_11 Depth=1
	s_and_saveexec_b32 s15, s3
	s_cbranch_execz .LBB105_19
; %bb.17:                               ;   in Loop: Header=BB105_11 Depth=1
	v_mov_b32_e32 v1, v41
	s_mov_b32 s16, 0
	.p2align	6
.LBB105_18:                             ;   Parent Loop BB105_11 Depth=1
                                        ; =>  This Inner Loop Header: Depth=2
	s_delay_alu instid0(VALU_DEP_1) | instskip(NEXT) | instid1(VALU_DEP_1)
	v_mad_u64_u32 v[2:3], null, v1, s14, s[4:5]
	v_mad_u64_u32 v[4:5], null, v1, s13, v[3:4]
	v_add_nc_u32_e32 v1, s46, v1
	s_delay_alu instid0(VALU_DEP_2) | instskip(NEXT) | instid1(VALU_DEP_1)
	v_mov_b32_e32 v3, v4
	v_lshlrev_b64 v[2:3], 3, v[2:3]
	s_delay_alu instid0(VALU_DEP_1) | instskip(NEXT) | instid1(VALU_DEP_2)
	v_add_co_u32 v2, vcc_lo, s34, v2
	v_add_co_ci_u32_e32 v3, vcc_lo, s35, v3, vcc_lo
	v_cmp_le_u32_e32 vcc_lo, s25, v1
	flat_load_b64 v[4:5], v[2:3]
	s_or_b32 s16, vcc_lo, s16
	s_waitcnt vmcnt(0) lgkmcnt(0)
	v_xor_b32_e32 v4, 0x80000000, v4
	v_xor_b32_e32 v5, 0x80000000, v5
	flat_store_b64 v[2:3], v[4:5]
	s_and_not1_b32 exec_lo, exec_lo, s16
	s_cbranch_execnz .LBB105_18
.LBB105_19:                             ;   in Loop: Header=BB105_11 Depth=1
	s_or_b32 exec_lo, exec_lo, s15
	s_waitcnt lgkmcnt(0)
	s_waitcnt_vscnt null, 0x0
	s_barrier
	buffer_gl0_inv
.LBB105_20:                             ;   in Loop: Header=BB105_11 Depth=1
	s_and_saveexec_b32 s15, s2
	s_cbranch_execz .LBB105_9
; %bb.21:                               ;   in Loop: Header=BB105_11 Depth=1
	global_load_b32 v1, v0, s[6:7]
	s_waitcnt vmcnt(0)
	v_xor_b32_e32 v1, 0x80000000, v1
	global_store_b32 v0, v1, s[6:7]
	s_branch .LBB105_9
.LBB105_22:
	s_mov_b32 s42, 0
.LBB105_23:
	s_delay_alu instid0(SALU_CYCLE_1)
	s_cmp_lt_i32 s42, 1
	s_mov_b32 s2, -1
	s_cbranch_scc0 .LBB105_261
; %bb.24:
	s_mul_i32 s2, s8, s24
	s_mov_b32 s54, 0
	s_lshl_b32 s2, s2, 1
	s_waitcnt_vscnt null, 0x0
	s_ashr_i32 s3, s2, 31
	s_barrier
	s_lshl_b64 s[2:3], s[2:3], 2
	buffer_gl0_inv
	s_add_u32 s2, s40, s2
	s_addc_u32 s3, s41, s3
	s_cmp_lg_u64 s[40:41], 0
	s_cselect_b32 s41, s3, 0
	s_cselect_b32 s40, s2, 0
	s_delay_alu instid0(SALU_CYCLE_1)
	s_cmp_lg_u64 s[40:41], 0
	s_cbranch_scc0 .LBB105_40
; %bb.25:
	s_or_b32 s2, s26, s25
	s_delay_alu instid0(SALU_CYCLE_1) | instskip(SKIP_4) | instid1(SALU_CYCLE_1)
	s_or_b32 s2, s2, s27
	s_cmp_gt_i32 s24, 0
	s_cselect_b32 s57, -1, 0
	s_cmp_lg_u64 s[52:53], 0
	s_cselect_b32 s3, -1, 0
	s_and_b32 s48, s57, s3
	s_cmp_eq_u32 s2, 0
	s_cbranch_scc1 .LBB105_41
; %bb.26:
	s_mov_b32 s58, -1
	s_mov_b32 s56, 0
	s_and_b32 vcc_lo, exec_lo, s48
	s_cbranch_vccz .LBB105_119
; %bb.27:
	s_mov_b32 s2, exec_lo
	s_barrier
	buffer_gl0_inv
	v_cmpx_gt_u32_e64 s24, v41
	s_cbranch_execz .LBB105_30
; %bb.28:
	v_dual_mov_b32 v1, 0 :: v_dual_mov_b32 v0, v41
	s_mov_b32 s3, 0
.LBB105_29:                             ; =>This Inner Loop Header: Depth=1
	s_delay_alu instid0(VALU_DEP_1) | instskip(NEXT) | instid1(VALU_DEP_1)
	v_lshlrev_b64 v[2:3], 2, v[0:1]
	v_add_co_u32 v2, vcc_lo, s40, v2
	s_delay_alu instid0(VALU_DEP_2) | instskip(SKIP_2) | instid1(VALU_DEP_1)
	v_add_co_ci_u32_e32 v3, vcc_lo, s41, v3, vcc_lo
	global_store_b32 v[2:3], v0, off
	v_add_nc_u32_e32 v0, s46, v0
	v_cmp_le_u32_e32 vcc_lo, s24, v0
	s_or_b32 s3, vcc_lo, s3
	s_delay_alu instid0(SALU_CYCLE_1)
	s_and_not1_b32 exec_lo, exec_lo, s3
	s_cbranch_execnz .LBB105_29
.LBB105_30:
	s_or_b32 exec_lo, exec_lo, s2
	v_or3_b32 v0, v43, v42, v44
	s_mov_b32 s18, exec_lo
	s_waitcnt_vscnt null, 0x0
	s_barrier
	buffer_gl0_inv
	v_cmpx_eq_u32_e32 0, v0
	s_cbranch_execz .LBB105_103
; %bb.31:
	s_cmpk_lt_i32 s24, 0x2be
	s_cbranch_scc1 .LBB105_42
; %bb.32:
	v_mov_b32_e32 v0, 0
	s_add_u32 s4, s40, 0xaf4
	s_mov_b64 s[2:3], 0x2bd
	s_addc_u32 s5, s41, 0
	s_mov_b64 s[6:7], s[36:37]
	s_branch .LBB105_34
.LBB105_33:                             ;   in Loop: Header=BB105_34 Depth=1
	s_lshl_b64 s[8:9], s[8:9], 2
	s_delay_alu instid0(SALU_CYCLE_1)
	s_add_u32 s10, s36, s8
	s_addc_u32 s11, s37, s9
	s_add_u32 s8, s40, s8
	s_addc_u32 s9, s41, s9
	;; [unrolled: 2-line block ×5, first 2 shown]
	s_cmp_eq_u32 s2, s24
	s_clause 0x1
	global_store_b32 v0, v1, s[10:11]
	global_store_b32 v0, v2, s[8:9]
	s_cbranch_scc1 .LBB105_42
.LBB105_34:                             ; =>This Loop Header: Depth=1
                                        ;     Child Loop BB105_36 Depth 2
	s_lshl_b64 s[8:9], s[2:3], 2
	s_mov_b64 s[12:13], s[4:5]
	s_and_b32 s9, s9, 3
	s_add_u32 s10, s36, s8
	s_addc_u32 s11, s37, s9
	s_add_u32 s8, s40, s8
	s_addc_u32 s9, s41, s9
	s_clause 0x1
	global_load_b32 v1, v0, s[10:11]
	global_load_b32 v2, v0, s[8:9]
	s_mov_b64 s[10:11], s[6:7]
	s_mov_b64 s[8:9], s[2:3]
	s_branch .LBB105_36
	.p2align	6
.LBB105_35:                             ;   in Loop: Header=BB105_36 Depth=2
	global_load_b32 v4, v0, s[12:13] offset:-2804
	s_add_u32 s30, s12, 0xfffff50c
	s_addc_u32 s31, s13, -1
	s_add_u32 s14, s8, 0xfffffd43
	s_addc_u32 s15, s9, -1
	global_store_b32 v0, v3, s[10:11] offset:2804
	s_add_u32 s10, s10, 0xfffff50c
	s_addc_u32 s11, s11, -1
	s_cmpk_lt_i32 s8, 0x57a
	s_mov_b32 s16, 0
	s_mov_b64 s[8:9], s[14:15]
	s_cselect_b32 s17, -1, 0
	s_waitcnt vmcnt(0)
	global_store_b32 v0, v4, s[12:13]
	s_mov_b64 s[12:13], s[30:31]
	s_and_not1_b32 vcc_lo, exec_lo, s17
	s_cbranch_vccz .LBB105_38
.LBB105_36:                             ;   Parent Loop BB105_34 Depth=1
                                        ; =>  This Inner Loop Header: Depth=2
	global_load_b32 v3, v0, s[10:11]
	s_mov_b32 s16, -1
	s_waitcnt vmcnt(0)
	v_cmp_nlt_f32_e32 vcc_lo, v3, v1
	s_cbranch_vccz .LBB105_35
; %bb.37:                               ;   in Loop: Header=BB105_34 Depth=1
                                        ; implicit-def: $sgpr12_sgpr13
                                        ; implicit-def: $sgpr10_sgpr11
                                        ; implicit-def: $sgpr14_sgpr15
.LBB105_38:                             ;   in Loop: Header=BB105_34 Depth=1
	s_and_not1_b32 vcc_lo, exec_lo, s16
	s_cbranch_vccz .LBB105_33
; %bb.39:                               ;   in Loop: Header=BB105_34 Depth=1
	s_bfe_i64 s[8:9], s[14:15], 0x200000
	s_branch .LBB105_33
.LBB105_40:
	s_branch .LBB105_237
.LBB105_41:
	s_mov_b32 s56, 0
	s_cbranch_execnz .LBB105_144
	s_branch .LBB105_232
.LBB105_42:
	s_cmpk_lt_i32 s24, 0x12e
	s_cbranch_scc1 .LBB105_51
; %bb.43:
	v_mov_b32_e32 v0, 0
	s_add_u32 s4, s40, 0x4b4
	s_mov_b64 s[2:3], 0x12d
	s_addc_u32 s5, s41, 0
	s_mov_b64 s[6:7], s[36:37]
	s_branch .LBB105_45
.LBB105_44:                             ;   in Loop: Header=BB105_45 Depth=1
	s_lshl_b64 s[8:9], s[8:9], 2
	s_delay_alu instid0(SALU_CYCLE_1)
	s_add_u32 s10, s36, s8
	s_addc_u32 s11, s37, s9
	s_add_u32 s8, s40, s8
	s_addc_u32 s9, s41, s9
	s_add_u32 s2, s2, 1
	s_addc_u32 s3, s3, 0
	s_add_u32 s4, s4, 4
	s_addc_u32 s5, s5, 0
	s_add_u32 s6, s6, 4
	s_addc_u32 s7, s7, 0
	s_cmp_lg_u32 s2, s24
	s_clause 0x1
	global_store_b32 v0, v1, s[10:11]
	global_store_b32 v0, v2, s[8:9]
	s_cbranch_scc0 .LBB105_51
.LBB105_45:                             ; =>This Loop Header: Depth=1
                                        ;     Child Loop BB105_47 Depth 2
	s_lshl_b64 s[8:9], s[2:3], 2
	s_mov_b64 s[12:13], s[4:5]
	s_and_b32 s9, s9, 3
	s_add_u32 s10, s36, s8
	s_addc_u32 s11, s37, s9
	s_add_u32 s8, s40, s8
	s_addc_u32 s9, s41, s9
	s_clause 0x1
	global_load_b32 v1, v0, s[10:11]
	global_load_b32 v2, v0, s[8:9]
	s_mov_b64 s[10:11], s[6:7]
	s_mov_b64 s[8:9], s[2:3]
	s_branch .LBB105_47
	.p2align	6
.LBB105_46:                             ;   in Loop: Header=BB105_47 Depth=2
	global_load_b32 v4, v0, s[12:13] offset:-1204
	s_add_u32 s30, s12, 0xfffffb4c
	s_addc_u32 s31, s13, -1
	s_add_u32 s14, s8, 0xfffffed3
	s_addc_u32 s15, s9, -1
	global_store_b32 v0, v3, s[10:11] offset:1204
	s_add_u32 s10, s10, 0xfffffb4c
	s_addc_u32 s11, s11, -1
	s_cmpk_lt_i32 s8, 0x25a
	s_mov_b32 s16, 0
	s_mov_b64 s[8:9], s[14:15]
	s_cselect_b32 s17, -1, 0
	s_waitcnt vmcnt(0)
	global_store_b32 v0, v4, s[12:13]
	s_mov_b64 s[12:13], s[30:31]
	s_and_not1_b32 vcc_lo, exec_lo, s17
	s_cbranch_vccz .LBB105_49
.LBB105_47:                             ;   Parent Loop BB105_45 Depth=1
                                        ; =>  This Inner Loop Header: Depth=2
	global_load_b32 v3, v0, s[10:11]
	s_mov_b32 s16, -1
	s_waitcnt vmcnt(0)
	v_cmp_nlt_f32_e32 vcc_lo, v3, v1
	s_cbranch_vccz .LBB105_46
; %bb.48:                               ;   in Loop: Header=BB105_45 Depth=1
                                        ; implicit-def: $sgpr12_sgpr13
                                        ; implicit-def: $sgpr10_sgpr11
                                        ; implicit-def: $sgpr14_sgpr15
.LBB105_49:                             ;   in Loop: Header=BB105_45 Depth=1
	s_and_not1_b32 vcc_lo, exec_lo, s16
	s_cbranch_vccz .LBB105_44
; %bb.50:                               ;   in Loop: Header=BB105_45 Depth=1
	s_bfe_i64 s[8:9], s[14:15], 0x200000
	s_branch .LBB105_44
.LBB105_51:
	s_cmpk_lt_i32 s24, 0x85
	s_cbranch_scc1 .LBB105_60
; %bb.52:
	v_mov_b32_e32 v0, 0
	s_add_u32 s4, s40, 0x210
	s_mov_b64 s[2:3], 0x84
	s_addc_u32 s5, s41, 0
	s_mov_b64 s[6:7], s[36:37]
	s_branch .LBB105_54
.LBB105_53:                             ;   in Loop: Header=BB105_54 Depth=1
	s_lshl_b64 s[8:9], s[8:9], 2
	s_delay_alu instid0(SALU_CYCLE_1)
	s_add_u32 s10, s36, s8
	s_addc_u32 s11, s37, s9
	s_add_u32 s8, s40, s8
	s_addc_u32 s9, s41, s9
	s_add_u32 s2, s2, 1
	s_addc_u32 s3, s3, 0
	s_add_u32 s4, s4, 4
	s_addc_u32 s5, s5, 0
	s_add_u32 s6, s6, 4
	s_addc_u32 s7, s7, 0
	s_cmp_lg_u32 s2, s24
	s_clause 0x1
	global_store_b32 v0, v1, s[10:11]
	global_store_b32 v0, v2, s[8:9]
	s_cbranch_scc0 .LBB105_60
.LBB105_54:                             ; =>This Loop Header: Depth=1
                                        ;     Child Loop BB105_56 Depth 2
	s_lshl_b64 s[8:9], s[2:3], 2
	s_mov_b64 s[12:13], s[4:5]
	s_and_b32 s9, s9, 3
	s_add_u32 s10, s36, s8
	s_addc_u32 s11, s37, s9
	s_add_u32 s8, s40, s8
	s_addc_u32 s9, s41, s9
	s_clause 0x1
	global_load_b32 v1, v0, s[10:11]
	global_load_b32 v2, v0, s[8:9]
	s_mov_b64 s[10:11], s[6:7]
	s_mov_b64 s[8:9], s[2:3]
	s_branch .LBB105_56
	.p2align	6
.LBB105_55:                             ;   in Loop: Header=BB105_56 Depth=2
	global_load_b32 v4, v0, s[12:13] offset:-528
	s_add_u32 s30, s12, 0xfffffdf0
	s_addc_u32 s31, s13, -1
	s_add_u32 s14, s8, 0xffffff7c
	s_addc_u32 s15, s9, -1
	global_store_b32 v0, v3, s[10:11] offset:528
	s_add_u32 s10, s10, 0xfffffdf0
	s_addc_u32 s11, s11, -1
	s_cmpk_lt_i32 s8, 0x108
	s_mov_b32 s16, 0
	s_mov_b64 s[8:9], s[14:15]
	s_cselect_b32 s17, -1, 0
	s_waitcnt vmcnt(0)
	global_store_b32 v0, v4, s[12:13]
	s_mov_b64 s[12:13], s[30:31]
	s_and_not1_b32 vcc_lo, exec_lo, s17
	s_cbranch_vccz .LBB105_58
.LBB105_56:                             ;   Parent Loop BB105_54 Depth=1
                                        ; =>  This Inner Loop Header: Depth=2
	global_load_b32 v3, v0, s[10:11]
	s_mov_b32 s16, -1
	s_waitcnt vmcnt(0)
	v_cmp_nlt_f32_e32 vcc_lo, v3, v1
	s_cbranch_vccz .LBB105_55
; %bb.57:                               ;   in Loop: Header=BB105_54 Depth=1
                                        ; implicit-def: $sgpr12_sgpr13
                                        ; implicit-def: $sgpr10_sgpr11
                                        ; implicit-def: $sgpr14_sgpr15
.LBB105_58:                             ;   in Loop: Header=BB105_54 Depth=1
	s_and_not1_b32 vcc_lo, exec_lo, s16
	s_cbranch_vccz .LBB105_53
; %bb.59:                               ;   in Loop: Header=BB105_54 Depth=1
	s_bfe_i64 s[8:9], s[14:15], 0x200000
	s_branch .LBB105_53
.LBB105_60:
	s_cmp_lt_i32 s24, 58
	s_cbranch_scc1 .LBB105_69
; %bb.61:
	v_mov_b32_e32 v0, 0
	s_add_u32 s2, s40, 0xe4
	s_addc_u32 s3, s41, 0
	s_mov_b64 s[4:5], 57
	s_mov_b64 s[6:7], s[36:37]
	s_branch .LBB105_63
.LBB105_62:                             ;   in Loop: Header=BB105_63 Depth=1
	s_lshl_b64 s[8:9], s[8:9], 2
	s_delay_alu instid0(SALU_CYCLE_1)
	s_add_u32 s10, s36, s8
	s_addc_u32 s11, s37, s9
	s_add_u32 s8, s40, s8
	s_addc_u32 s9, s41, s9
	;; [unrolled: 2-line block ×5, first 2 shown]
	s_cmp_lg_u32 s4, s24
	s_clause 0x1
	global_store_b32 v0, v1, s[10:11]
	global_store_b32 v0, v2, s[8:9]
	s_cbranch_scc0 .LBB105_69
.LBB105_63:                             ; =>This Loop Header: Depth=1
                                        ;     Child Loop BB105_65 Depth 2
	s_lshl_b64 s[8:9], s[4:5], 2
	s_mov_b64 s[12:13], s[2:3]
	s_and_b32 s9, s9, 3
	s_add_u32 s10, s36, s8
	s_addc_u32 s11, s37, s9
	s_add_u32 s8, s40, s8
	s_addc_u32 s9, s41, s9
	s_clause 0x1
	global_load_b32 v1, v0, s[10:11]
	global_load_b32 v2, v0, s[8:9]
	s_mov_b64 s[10:11], s[6:7]
	s_mov_b64 s[8:9], s[4:5]
	s_branch .LBB105_65
	.p2align	6
.LBB105_64:                             ;   in Loop: Header=BB105_65 Depth=2
	global_load_b32 v4, v0, s[12:13] offset:-228
	s_add_u32 s30, s12, 0xffffff1c
	s_addc_u32 s31, s13, -1
	s_add_u32 s14, s8, 0xffffffc7
	s_addc_u32 s15, s9, -1
	global_store_b32 v0, v3, s[10:11] offset:228
	s_add_u32 s10, s10, 0xffffff1c
	s_addc_u32 s11, s11, -1
	s_cmpk_lt_i32 s8, 0x72
	s_mov_b32 s16, 0
	s_mov_b64 s[8:9], s[14:15]
	s_cselect_b32 s17, -1, 0
	s_waitcnt vmcnt(0)
	global_store_b32 v0, v4, s[12:13]
	s_mov_b64 s[12:13], s[30:31]
	s_and_not1_b32 vcc_lo, exec_lo, s17
	s_cbranch_vccz .LBB105_67
.LBB105_65:                             ;   Parent Loop BB105_63 Depth=1
                                        ; =>  This Inner Loop Header: Depth=2
	global_load_b32 v3, v0, s[10:11]
	s_mov_b32 s16, -1
	s_waitcnt vmcnt(0)
	v_cmp_nlt_f32_e32 vcc_lo, v3, v1
	s_cbranch_vccz .LBB105_64
; %bb.66:                               ;   in Loop: Header=BB105_63 Depth=1
                                        ; implicit-def: $sgpr12_sgpr13
                                        ; implicit-def: $sgpr10_sgpr11
                                        ; implicit-def: $sgpr14_sgpr15
.LBB105_67:                             ;   in Loop: Header=BB105_63 Depth=1
	s_and_not1_b32 vcc_lo, exec_lo, s16
	s_cbranch_vccz .LBB105_62
; %bb.68:                               ;   in Loop: Header=BB105_63 Depth=1
	s_bfe_i64 s[8:9], s[14:15], 0x200000
	s_branch .LBB105_62
.LBB105_69:
	s_cmp_lt_i32 s24, 24
	s_cbranch_scc1 .LBB105_78
; %bb.70:
	v_mov_b32_e32 v0, 0
	s_add_u32 s2, s40, 0x5c
	s_addc_u32 s3, s41, 0
	s_mov_b64 s[4:5], 23
	s_mov_b64 s[6:7], s[36:37]
	s_branch .LBB105_72
.LBB105_71:                             ;   in Loop: Header=BB105_72 Depth=1
	s_lshl_b64 s[8:9], s[8:9], 2
	s_delay_alu instid0(SALU_CYCLE_1)
	s_add_u32 s10, s36, s8
	s_addc_u32 s11, s37, s9
	s_add_u32 s8, s40, s8
	s_addc_u32 s9, s41, s9
	;; [unrolled: 2-line block ×5, first 2 shown]
	s_cmp_lg_u32 s4, s24
	s_clause 0x1
	global_store_b32 v0, v1, s[10:11]
	global_store_b32 v0, v2, s[8:9]
	s_cbranch_scc0 .LBB105_78
.LBB105_72:                             ; =>This Loop Header: Depth=1
                                        ;     Child Loop BB105_74 Depth 2
	s_lshl_b64 s[8:9], s[4:5], 2
	s_mov_b64 s[12:13], s[2:3]
	s_and_b32 s9, s9, 3
	s_add_u32 s10, s36, s8
	s_addc_u32 s11, s37, s9
	s_add_u32 s8, s40, s8
	s_addc_u32 s9, s41, s9
	s_clause 0x1
	global_load_b32 v1, v0, s[10:11]
	global_load_b32 v2, v0, s[8:9]
	s_mov_b64 s[10:11], s[6:7]
	s_mov_b64 s[8:9], s[4:5]
	s_branch .LBB105_74
	.p2align	6
.LBB105_73:                             ;   in Loop: Header=BB105_74 Depth=2
	global_load_b32 v4, v0, s[12:13] offset:-92
	s_add_u32 s30, s12, 0xffffffa4
	s_addc_u32 s31, s13, -1
	s_add_u32 s14, s8, 0xffffffe9
	s_addc_u32 s15, s9, -1
	global_store_b32 v0, v3, s[10:11] offset:92
	s_add_u32 s10, s10, 0xffffffa4
	s_addc_u32 s11, s11, -1
	s_cmp_lt_i32 s8, 46
	s_mov_b32 s16, 0
	s_mov_b64 s[8:9], s[14:15]
	s_cselect_b32 s17, -1, 0
	s_waitcnt vmcnt(0)
	global_store_b32 v0, v4, s[12:13]
	s_mov_b64 s[12:13], s[30:31]
	s_and_not1_b32 vcc_lo, exec_lo, s17
	s_cbranch_vccz .LBB105_76
.LBB105_74:                             ;   Parent Loop BB105_72 Depth=1
                                        ; =>  This Inner Loop Header: Depth=2
	global_load_b32 v3, v0, s[10:11]
	s_mov_b32 s16, -1
	s_waitcnt vmcnt(0)
	v_cmp_nlt_f32_e32 vcc_lo, v3, v1
	s_cbranch_vccz .LBB105_73
; %bb.75:                               ;   in Loop: Header=BB105_72 Depth=1
                                        ; implicit-def: $sgpr12_sgpr13
                                        ; implicit-def: $sgpr10_sgpr11
                                        ; implicit-def: $sgpr14_sgpr15
.LBB105_76:                             ;   in Loop: Header=BB105_72 Depth=1
	s_and_not1_b32 vcc_lo, exec_lo, s16
	s_cbranch_vccz .LBB105_71
; %bb.77:                               ;   in Loop: Header=BB105_72 Depth=1
	s_bfe_i64 s[8:9], s[14:15], 0x200000
	s_branch .LBB105_71
.LBB105_78:
	s_cmp_lt_i32 s24, 11
	s_cbranch_scc1 .LBB105_87
; %bb.79:
	v_mov_b32_e32 v0, 0
	s_add_u32 s2, s40, 40
	s_addc_u32 s3, s41, 0
	s_mov_b64 s[4:5], 10
	s_mov_b64 s[6:7], s[36:37]
	s_branch .LBB105_81
.LBB105_80:                             ;   in Loop: Header=BB105_81 Depth=1
	s_lshl_b64 s[8:9], s[8:9], 2
	s_delay_alu instid0(SALU_CYCLE_1)
	s_add_u32 s10, s36, s8
	s_addc_u32 s11, s37, s9
	s_add_u32 s8, s40, s8
	s_addc_u32 s9, s41, s9
	;; [unrolled: 2-line block ×5, first 2 shown]
	s_cmp_lg_u32 s4, s24
	s_clause 0x1
	global_store_b32 v0, v1, s[10:11]
	global_store_b32 v0, v2, s[8:9]
	s_cbranch_scc0 .LBB105_87
.LBB105_81:                             ; =>This Loop Header: Depth=1
                                        ;     Child Loop BB105_83 Depth 2
	s_lshl_b64 s[8:9], s[4:5], 2
	s_mov_b64 s[12:13], s[2:3]
	s_and_b32 s9, s9, 3
	s_add_u32 s10, s36, s8
	s_addc_u32 s11, s37, s9
	s_add_u32 s8, s40, s8
	s_addc_u32 s9, s41, s9
	s_clause 0x1
	global_load_b32 v1, v0, s[10:11]
	global_load_b32 v2, v0, s[8:9]
	s_mov_b64 s[10:11], s[6:7]
	s_mov_b64 s[8:9], s[4:5]
	s_branch .LBB105_83
	.p2align	6
.LBB105_82:                             ;   in Loop: Header=BB105_83 Depth=2
	global_load_b32 v4, v0, s[12:13] offset:-40
	s_add_u32 s30, s12, 0xffffffd8
	s_addc_u32 s31, s13, -1
	s_add_u32 s14, s8, -10
	s_addc_u32 s15, s9, -1
	global_store_b32 v0, v3, s[10:11] offset:40
	s_add_u32 s10, s10, 0xffffffd8
	s_addc_u32 s11, s11, -1
	s_cmp_lt_i32 s8, 20
	s_mov_b32 s16, 0
	s_mov_b64 s[8:9], s[14:15]
	s_cselect_b32 s17, -1, 0
	s_waitcnt vmcnt(0)
	global_store_b32 v0, v4, s[12:13]
	s_mov_b64 s[12:13], s[30:31]
	s_and_not1_b32 vcc_lo, exec_lo, s17
	s_cbranch_vccz .LBB105_85
.LBB105_83:                             ;   Parent Loop BB105_81 Depth=1
                                        ; =>  This Inner Loop Header: Depth=2
	global_load_b32 v3, v0, s[10:11]
	s_mov_b32 s16, -1
	s_waitcnt vmcnt(0)
	v_cmp_nlt_f32_e32 vcc_lo, v3, v1
	s_cbranch_vccz .LBB105_82
; %bb.84:                               ;   in Loop: Header=BB105_81 Depth=1
                                        ; implicit-def: $sgpr12_sgpr13
                                        ; implicit-def: $sgpr10_sgpr11
                                        ; implicit-def: $sgpr14_sgpr15
.LBB105_85:                             ;   in Loop: Header=BB105_81 Depth=1
	s_and_not1_b32 vcc_lo, exec_lo, s16
	s_cbranch_vccz .LBB105_80
; %bb.86:                               ;   in Loop: Header=BB105_81 Depth=1
	s_bfe_i64 s[8:9], s[14:15], 0x200000
	s_branch .LBB105_80
.LBB105_87:
	s_cmp_lt_i32 s24, 5
	s_cbranch_scc1 .LBB105_96
; %bb.88:
	s_add_u32 s2, s40, 16
	s_addc_u32 s3, s41, 0
	s_add_u32 s4, s50, s52
	v_mov_b32_e32 v0, 0
	s_addc_u32 s5, s51, s53
	s_add_u32 s4, s4, 16
	s_addc_u32 s5, s5, 0
	s_mov_b64 s[6:7], 4
	s_branch .LBB105_90
.LBB105_89:                             ;   in Loop: Header=BB105_90 Depth=1
	s_lshl_b64 s[8:9], s[8:9], 2
	s_delay_alu instid0(SALU_CYCLE_1)
	s_add_u32 s10, s36, s8
	s_addc_u32 s11, s37, s9
	s_add_u32 s8, s40, s8
	s_addc_u32 s9, s41, s9
	s_add_u32 s6, s6, 1
	s_addc_u32 s7, s7, 0
	s_add_u32 s2, s2, 4
	s_addc_u32 s3, s3, 0
	s_add_u32 s4, s4, 4
	s_addc_u32 s5, s5, 0
	s_cmp_lg_u32 s6, s24
	s_clause 0x1
	global_store_b32 v0, v1, s[10:11]
	global_store_b32 v0, v2, s[8:9]
	s_cbranch_scc0 .LBB105_96
.LBB105_90:                             ; =>This Loop Header: Depth=1
                                        ;     Child Loop BB105_92 Depth 2
	s_lshl_b64 s[8:9], s[6:7], 2
	s_mov_b64 s[12:13], s[4:5]
	s_and_b32 s9, s9, 3
	s_add_u32 s10, s36, s8
	s_addc_u32 s11, s37, s9
	s_add_u32 s8, s40, s8
	s_addc_u32 s9, s41, s9
	s_clause 0x1
	global_load_b32 v1, v0, s[10:11]
	global_load_b32 v2, v0, s[8:9]
	s_mov_b64 s[10:11], s[2:3]
	s_mov_b64 s[8:9], s[6:7]
	s_branch .LBB105_92
	.p2align	6
.LBB105_91:                             ;   in Loop: Header=BB105_92 Depth=2
	global_load_b32 v4, v0, s[10:11] offset:-16
	s_add_u32 s30, s10, -16
	s_addc_u32 s31, s11, -1
	s_add_u32 s14, s8, -4
	s_addc_u32 s15, s9, -1
	s_cmp_lt_i32 s8, 8
	s_mov_b32 s19, 0
	s_mov_b64 s[8:9], s[14:15]
	s_cselect_b32 s20, -1, 0
	global_store_b32 v0, v3, s[12:13]
	s_waitcnt vmcnt(0)
	global_store_b32 v0, v4, s[10:11]
	s_mov_b64 s[10:11], s[30:31]
	s_mov_b64 s[12:13], s[16:17]
	s_and_not1_b32 vcc_lo, exec_lo, s20
	s_cbranch_vccz .LBB105_94
.LBB105_92:                             ;   Parent Loop BB105_90 Depth=1
                                        ; =>  This Inner Loop Header: Depth=2
	global_load_b32 v3, v0, s[12:13] offset:-16
	s_add_u32 s16, s12, -16
	s_addc_u32 s17, s13, -1
	s_mov_b32 s19, -1
	s_waitcnt vmcnt(0)
	v_cmp_nlt_f32_e32 vcc_lo, v3, v1
	s_cbranch_vccz .LBB105_91
; %bb.93:                               ;   in Loop: Header=BB105_90 Depth=1
                                        ; implicit-def: $sgpr10_sgpr11
                                        ; implicit-def: $sgpr12_sgpr13
                                        ; implicit-def: $sgpr14_sgpr15
.LBB105_94:                             ;   in Loop: Header=BB105_90 Depth=1
	s_and_not1_b32 vcc_lo, exec_lo, s19
	s_cbranch_vccz .LBB105_89
; %bb.95:                               ;   in Loop: Header=BB105_90 Depth=1
	s_bfe_i64 s[8:9], s[14:15], 0x200000
	s_branch .LBB105_89
.LBB105_96:
	s_cmp_lt_i32 s24, 2
	s_cbranch_scc1 .LBB105_103
; %bb.97:
	s_add_u32 s2, s40, 4
	s_addc_u32 s3, s41, 0
	s_add_u32 s4, s50, s52
	v_mov_b32_e32 v0, 0
	s_addc_u32 s5, s51, s53
	s_add_u32 s4, s4, 4
	s_addc_u32 s5, s5, 0
	s_mov_b64 s[6:7], 1
	s_branch .LBB105_99
.LBB105_98:                             ;   in Loop: Header=BB105_99 Depth=1
	s_lshl_b64 s[8:9], s[14:15], 2
	s_delay_alu instid0(SALU_CYCLE_1)
	s_add_u32 s10, s36, s8
	s_addc_u32 s11, s37, s9
	s_add_u32 s8, s40, s8
	s_addc_u32 s9, s41, s9
	;; [unrolled: 2-line block ×5, first 2 shown]
	s_cmp_eq_u32 s6, s24
	s_clause 0x1
	global_store_b32 v0, v1, s[10:11]
	global_store_b32 v0, v2, s[8:9]
	s_cbranch_scc1 .LBB105_103
.LBB105_99:                             ; =>This Loop Header: Depth=1
                                        ;     Child Loop BB105_101 Depth 2
	s_lshl_b64 s[8:9], s[6:7], 2
	s_mov_b64 s[12:13], s[4:5]
	s_and_b32 s9, s9, 3
	s_add_u32 s10, s36, s8
	s_addc_u32 s11, s37, s9
	s_add_u32 s8, s40, s8
	s_addc_u32 s9, s41, s9
	s_clause 0x1
	global_load_b32 v1, v0, s[10:11]
	global_load_b32 v2, v0, s[8:9]
	s_mov_b64 s[10:11], s[2:3]
	s_mov_b64 s[8:9], s[6:7]
	s_branch .LBB105_101
	.p2align	6
.LBB105_100:                            ;   in Loop: Header=BB105_101 Depth=2
	global_load_b32 v4, v0, s[10:11] offset:-4
	s_add_u32 s30, s10, -4
	s_addc_u32 s31, s11, -1
	s_add_u32 s54, s8, -1
	s_addc_u32 s55, s9, -1
	s_cmp_lt_i32 s8, 2
	s_mov_b64 s[14:15], 0
	s_mov_b64 s[8:9], s[54:55]
	s_cselect_b32 s19, -1, 0
	global_store_b32 v0, v3, s[12:13]
	s_waitcnt vmcnt(0)
	global_store_b32 v0, v4, s[10:11]
	s_mov_b64 s[10:11], s[30:31]
	s_mov_b64 s[12:13], s[16:17]
	s_and_not1_b32 vcc_lo, exec_lo, s19
	s_cbranch_vccz .LBB105_98
.LBB105_101:                            ;   Parent Loop BB105_99 Depth=1
                                        ; =>  This Inner Loop Header: Depth=2
	global_load_b32 v3, v0, s[12:13] offset:-4
	s_add_u32 s16, s12, -4
	s_addc_u32 s17, s13, -1
	s_mov_b32 s19, -1
	s_waitcnt vmcnt(0)
	v_cmp_nlt_f32_e32 vcc_lo, v3, v1
	s_cbranch_vccz .LBB105_100
; %bb.102:                              ;   in Loop: Header=BB105_101 Depth=2
	s_mov_b64 s[14:15], s[8:9]
                                        ; implicit-def: $sgpr10_sgpr11
                                        ; implicit-def: $sgpr12_sgpr13
	s_and_not1_b32 vcc_lo, exec_lo, s19
	s_cbranch_vccnz .LBB105_101
	s_branch .LBB105_98
.LBB105_103:
	s_or_b32 exec_lo, exec_lo, s18
	s_cmp_lt_i32 s24, 2
	s_mov_b32 s58, 0
	s_cselect_b32 s5, -1, 0
	s_waitcnt_vscnt null, 0x0
	s_and_b32 vcc_lo, exec_lo, s5
	s_barrier
	buffer_gl0_inv
	s_cbranch_vccnz .LBB105_111
; %bb.104:
	s_add_i32 s4, s24, -1
	s_mov_b32 s5, -1
	s_mov_b32 s2, 0
	s_mov_b32 s3, exec_lo
	v_cmpx_gt_u32_e64 s4, v41
	s_cbranch_execz .LBB105_113
; %bb.105:
	v_dual_mov_b32 v1, 0 :: v_dual_mov_b32 v0, v41
	s_add_u32 s5, s36, 4
	s_addc_u32 s8, s37, 0
	s_mov_b32 s6, 0
                                        ; implicit-def: $sgpr7
	s_set_inst_prefetch_distance 0x1
	s_branch .LBB105_107
	.p2align	6
.LBB105_106:                            ;   in Loop: Header=BB105_107 Depth=1
	s_or_b32 exec_lo, exec_lo, s11
	s_xor_b32 s2, s2, -1
	s_and_b32 s9, exec_lo, s10
	s_delay_alu instid0(SALU_CYCLE_1) | instskip(SKIP_2) | instid1(SALU_CYCLE_1)
	s_or_b32 s6, s9, s6
	s_and_not1_b32 s7, s7, exec_lo
	s_and_b32 s2, s2, exec_lo
	s_or_b32 s7, s7, s2
	s_and_not1_b32 exec_lo, exec_lo, s6
	s_cbranch_execz .LBB105_112
.LBB105_107:                            ; =>This Inner Loop Header: Depth=1
	v_lshlrev_b64 v[2:3], 2, v[0:1]
	s_mov_b32 s10, exec_lo
                                        ; implicit-def: $sgpr2
	s_delay_alu instid0(VALU_DEP_1) | instskip(NEXT) | instid1(VALU_DEP_2)
	v_add_co_u32 v2, vcc_lo, s36, v2
	v_add_co_ci_u32_e32 v3, vcc_lo, s37, v3, vcc_lo
	global_load_b32 v2, v[2:3], off
	s_waitcnt vmcnt(0)
	v_cmp_u_f32_e64 s9, v2, v2
	v_cmpx_o_f32_e32 v2, v2
	s_cbranch_execz .LBB105_109
; %bb.108:                              ;   in Loop: Header=BB105_107 Depth=1
	v_ashrrev_i32_e32 v4, 31, v0
	v_mov_b32_e32 v3, v0
	s_and_not1_b32 s9, s9, exec_lo
	s_delay_alu instid0(VALU_DEP_1) | instskip(NEXT) | instid1(VALU_DEP_1)
	v_lshlrev_b64 v[3:4], 2, v[3:4]
	v_add_co_u32 v3, vcc_lo, s5, v3
	s_delay_alu instid0(VALU_DEP_2) | instskip(SKIP_4) | instid1(VALU_DEP_1)
	v_add_co_ci_u32_e32 v4, vcc_lo, s8, v4, vcc_lo
	global_load_b32 v3, v[3:4], off
	s_waitcnt vmcnt(0)
	v_cmp_u_f32_e32 vcc_lo, v3, v3
	v_cmp_ge_f32_e64 s2, v2, v3
	s_or_b32 s2, vcc_lo, s2
	s_delay_alu instid0(SALU_CYCLE_1)
	s_and_b32 s11, s2, exec_lo
	s_mov_b32 s2, -1
	s_or_b32 s9, s9, s11
.LBB105_109:                            ;   in Loop: Header=BB105_107 Depth=1
	s_or_b32 exec_lo, exec_lo, s10
	s_mov_b32 s10, -1
	s_and_saveexec_b32 s11, s9
	s_cbranch_execz .LBB105_106
; %bb.110:                              ;   in Loop: Header=BB105_107 Depth=1
	v_add_nc_u32_e32 v0, s46, v0
	s_and_not1_b32 s2, s2, exec_lo
	s_delay_alu instid0(VALU_DEP_1)
	v_cmp_le_u32_e32 vcc_lo, s4, v0
	s_or_not1_b32 s10, vcc_lo, exec_lo
	s_branch .LBB105_106
.LBB105_111:
	s_mov_b32 s2, 0
	s_branch .LBB105_114
.LBB105_112:
	s_set_inst_prefetch_distance 0x2
	s_or_b32 exec_lo, exec_lo, s6
	s_delay_alu instid0(SALU_CYCLE_1)
	s_mov_b32 s2, exec_lo
	s_or_not1_b32 s5, s7, exec_lo
.LBB105_113:
	s_or_b32 exec_lo, exec_lo, s3
.LBB105_114:
	s_and_saveexec_b32 s3, s5
	s_cbranch_execz .LBB105_116
; %bb.115:
	s_mov_b32 s58, exec_lo
	s_barrier
	s_and_not1_b32 s2, s2, exec_lo
	buffer_gl0_inv
.LBB105_116:
	s_or_b32 exec_lo, exec_lo, s3
	s_mov_b32 s54, 0
	s_and_saveexec_b32 s59, s2
	s_cbranch_execz .LBB105_118
; %bb.117:
	s_add_u32 s8, s0, 0x90
	s_addc_u32 s9, s1, 0
	s_getpc_b64 s[2:3]
	s_add_u32 s2, s2, __PRETTY_FUNCTION__._ZN9rocsolver6v33100L21shell_sort_descendingIfiEEvT0_PT_PS2_@rel32@lo+4
	s_addc_u32 s3, s3, __PRETTY_FUNCTION__._ZN9rocsolver6v33100L21shell_sort_descendingIfiEEvT0_PT_PS2_@rel32@hi+12
	s_delay_alu instid0(SALU_CYCLE_1)
	v_dual_mov_b32 v0, s2 :: v_dual_mov_b32 v1, s3
	s_getpc_b64 s[4:5]
	s_add_u32 s4, s4, __assert_fail@rel32@lo+4
	s_addc_u32 s5, s5, __assert_fail@rel32@hi+12
	s_mov_b64 s[54:55], s[0:1]
	s_swappc_b64 s[30:31], s[4:5]
	s_mov_b64 s[0:1], s[54:55]
	s_mov_b32 s54, exec_lo
.LBB105_118:
	s_or_b32 exec_lo, exec_lo, s59
.LBB105_119:
	s_and_saveexec_b32 s18, s58
	s_cbranch_execz .LBB105_143
; %bb.120:
	s_and_not1_b32 vcc_lo, exec_lo, s57
	s_waitcnt_vscnt null, 0x0
	s_barrier
	buffer_gl0_inv
	s_cbranch_vccnz .LBB105_142
; %bb.121:
	s_cmp_gt_i32 s25, 0
	v_cmp_eq_u32_e64 s2, 0, v41
	s_cselect_b32 s19, -1, 0
	s_ashr_i32 s20, s47, 31
	s_cmp_gt_i32 s26, 0
	v_cmp_gt_u32_e64 s3, s25, v41
	v_cmp_gt_u32_e64 s4, s26, v41
	;; [unrolled: 1-line block ×3, first 2 shown]
	v_mov_b32_e32 v1, 0
	s_mov_b32 s7, 0
	s_cselect_b32 s31, -1, 0
	s_cmp_gt_i32 s27, 0
	s_mov_b32 s30, s47
	s_mov_b32 s33, s43
	s_cselect_b32 s55, -1, 0
	s_ashr_i32 s56, s49, 31
	s_mov_b32 s57, s49
	s_mov_b32 s6, s7
	s_branch .LBB105_123
.LBB105_122:                            ;   in Loop: Header=BB105_123 Depth=1
	s_add_i32 s6, s6, 1
	s_delay_alu instid0(SALU_CYCLE_1)
	s_cmp_eq_u32 s6, s24
	s_cbranch_scc1 .LBB105_142
.LBB105_123:                            ; =>This Loop Header: Depth=1
                                        ;     Child Loop BB105_126 Depth 2
                                        ;       Child Loop BB105_131 Depth 3
                                        ;       Child Loop BB105_136 Depth 3
	;; [unrolled: 1-line block ×3, first 2 shown]
	s_lshl_b64 s[8:9], s[6:7], 2
	s_delay_alu instid0(SALU_CYCLE_1)
	s_add_u32 s8, s40, s8
	s_addc_u32 s9, s41, s9
	global_load_b32 v0, v1, s[8:9]
	s_waitcnt vmcnt(0)
	v_cmp_eq_u32_e32 vcc_lo, s6, v0
	v_readfirstlane_b32 s10, v0
	s_cbranch_vccz .LBB105_126
	s_branch .LBB105_122
.LBB105_124:                            ;   in Loop: Header=BB105_126 Depth=2
	s_or_b32 exec_lo, exec_lo, s14
	s_waitcnt lgkmcnt(0)
	s_waitcnt_vscnt null, 0x0
	s_barrier
	buffer_gl0_inv
.LBB105_125:                            ;   in Loop: Header=BB105_126 Depth=2
	global_load_b32 v0, v1, s[8:9]
	s_waitcnt vmcnt(0)
	v_cmp_ne_u32_e32 vcc_lo, s6, v0
	v_readfirstlane_b32 s10, v0
	s_cbranch_vccz .LBB105_122
.LBB105_126:                            ;   Parent Loop BB105_123 Depth=1
                                        ; =>  This Loop Header: Depth=2
                                        ;       Child Loop BB105_131 Depth 3
                                        ;       Child Loop BB105_136 Depth 3
	;; [unrolled: 1-line block ×3, first 2 shown]
	s_delay_alu instid0(VALU_DEP_1) | instskip(NEXT) | instid1(SALU_CYCLE_1)
	s_ashr_i32 s11, s10, 31
	s_lshl_b64 s[12:13], s[10:11], 2
	s_delay_alu instid0(SALU_CYCLE_1)
	s_add_u32 s14, s40, s12
	s_addc_u32 s15, s41, s13
	global_load_b32 v0, v1, s[14:15]
	s_waitcnt vmcnt(0)
	s_barrier
	buffer_gl0_inv
	v_readfirstlane_b32 s12, v0
	s_and_saveexec_b32 s13, s2
; %bb.127:                              ;   in Loop: Header=BB105_126 Depth=2
	v_mov_b32_e32 v0, s10
	s_delay_alu instid0(VALU_DEP_2)
	v_mov_b32_e32 v2, s12
	s_clause 0x1
	global_store_b32 v1, v0, s[14:15]
	global_store_b32 v1, v2, s[8:9]
; %bb.128:                              ;   in Loop: Header=BB105_126 Depth=2
	s_or_b32 exec_lo, exec_lo, s13
	s_delay_alu instid0(SALU_CYCLE_1)
	s_and_not1_b32 vcc_lo, exec_lo, s19
	s_waitcnt_vscnt null, 0x0
	s_barrier
	buffer_gl0_inv
	s_cbranch_vccnz .LBB105_133
; %bb.129:                              ;   in Loop: Header=BB105_126 Depth=2
	s_and_saveexec_b32 s58, s3
	s_cbranch_execz .LBB105_132
; %bb.130:                              ;   in Loop: Header=BB105_126 Depth=2
	v_mov_b32_e32 v0, v41
	s_ashr_i32 s13, s12, 31
	s_mov_b32 s59, 0
	s_lshl_b64 s[14:15], s[10:11], 3
	s_lshl_b64 s[16:17], s[12:13], 3
	.p2align	6
.LBB105_131:                            ;   Parent Loop BB105_123 Depth=1
                                        ;     Parent Loop BB105_126 Depth=2
                                        ; =>    This Inner Loop Header: Depth=3
	v_mad_u64_u32 v[2:3], null, v0, s30, 0
	s_delay_alu instid0(VALU_DEP_1) | instskip(NEXT) | instid1(VALU_DEP_1)
	v_mad_u64_u32 v[4:5], null, v0, s20, v[3:4]
	v_dual_mov_b32 v3, v4 :: v_dual_add_nc_u32 v0, s46, v0
	s_delay_alu instid0(VALU_DEP_1) | instskip(NEXT) | instid1(VALU_DEP_1)
	v_lshlrev_b64 v[2:3], 3, v[2:3]
	v_add_co_u32 v4, vcc_lo, s34, v2
	s_delay_alu instid0(VALU_DEP_2) | instskip(NEXT) | instid1(VALU_DEP_2)
	v_add_co_ci_u32_e32 v5, vcc_lo, s35, v3, vcc_lo
	v_add_co_u32 v2, vcc_lo, v4, s16
	s_delay_alu instid0(VALU_DEP_2)
	v_add_co_ci_u32_e32 v3, vcc_lo, s17, v5, vcc_lo
	v_add_co_u32 v4, vcc_lo, v4, s14
	v_add_co_ci_u32_e32 v5, vcc_lo, s15, v5, vcc_lo
	v_cmp_le_u32_e32 vcc_lo, s25, v0
	s_clause 0x1
	flat_load_b64 v[6:7], v[2:3]
	flat_load_b64 v[8:9], v[4:5]
	s_waitcnt vmcnt(1) lgkmcnt(1)
	flat_store_b64 v[4:5], v[6:7]
	s_waitcnt vmcnt(0) lgkmcnt(1)
	flat_store_b64 v[2:3], v[8:9]
	s_or_b32 s59, vcc_lo, s59
	s_delay_alu instid0(SALU_CYCLE_1)
	s_and_not1_b32 exec_lo, exec_lo, s59
	s_cbranch_execnz .LBB105_131
.LBB105_132:                            ;   in Loop: Header=BB105_126 Depth=2
	s_or_b32 exec_lo, exec_lo, s58
	s_waitcnt lgkmcnt(0)
	s_waitcnt_vscnt null, 0x0
	s_barrier
	buffer_gl0_inv
.LBB105_133:                            ;   in Loop: Header=BB105_126 Depth=2
	s_and_not1_b32 vcc_lo, exec_lo, s31
	s_cbranch_vccnz .LBB105_138
; %bb.134:                              ;   in Loop: Header=BB105_126 Depth=2
	s_and_saveexec_b32 s13, s4
	s_cbranch_execz .LBB105_137
; %bb.135:                              ;   in Loop: Header=BB105_126 Depth=2
	s_mul_hi_i32 s15, s10, s33
	s_mul_i32 s14, s10, s33
	s_mul_hi_i32 s17, s12, s33
	s_lshl_b64 s[14:15], s[14:15], 3
	s_mul_i32 s16, s12, s33
	s_add_u32 s14, s28, s14
	s_addc_u32 s15, s29, s15
	s_lshl_b64 s[16:17], s[16:17], 3
	v_mov_b32_e32 v0, v41
	s_add_u32 s16, s28, s16
	s_addc_u32 s17, s29, s17
	s_mov_b32 s58, 0
	.p2align	6
.LBB105_136:                            ;   Parent Loop BB105_123 Depth=1
                                        ;     Parent Loop BB105_126 Depth=2
                                        ; =>    This Inner Loop Header: Depth=3
	s_delay_alu instid0(VALU_DEP_1) | instskip(SKIP_1) | instid1(VALU_DEP_2)
	v_lshlrev_b64 v[2:3], 3, v[0:1]
	v_add_nc_u32_e32 v0, s46, v0
	v_add_co_u32 v4, vcc_lo, s16, v2
	s_delay_alu instid0(VALU_DEP_3)
	v_add_co_ci_u32_e32 v5, vcc_lo, s17, v3, vcc_lo
	v_add_co_u32 v2, vcc_lo, s14, v2
	v_add_co_ci_u32_e32 v3, vcc_lo, s15, v3, vcc_lo
	v_cmp_le_u32_e32 vcc_lo, s26, v0
	s_clause 0x1
	flat_load_b64 v[6:7], v[4:5]
	flat_load_b64 v[8:9], v[2:3]
	s_waitcnt vmcnt(1) lgkmcnt(1)
	flat_store_b64 v[2:3], v[6:7]
	s_waitcnt vmcnt(0) lgkmcnt(1)
	flat_store_b64 v[4:5], v[8:9]
	s_or_b32 s58, vcc_lo, s58
	s_delay_alu instid0(SALU_CYCLE_1)
	s_and_not1_b32 exec_lo, exec_lo, s58
	s_cbranch_execnz .LBB105_136
.LBB105_137:                            ;   in Loop: Header=BB105_126 Depth=2
	s_or_b32 exec_lo, exec_lo, s13
	s_waitcnt lgkmcnt(0)
	s_waitcnt_vscnt null, 0x0
	s_barrier
	buffer_gl0_inv
.LBB105_138:                            ;   in Loop: Header=BB105_126 Depth=2
	s_and_not1_b32 vcc_lo, exec_lo, s55
	s_cbranch_vccnz .LBB105_125
; %bb.139:                              ;   in Loop: Header=BB105_126 Depth=2
	s_and_saveexec_b32 s14, s5
	s_cbranch_execz .LBB105_124
; %bb.140:                              ;   in Loop: Header=BB105_126 Depth=2
	v_mov_b32_e32 v0, v41
	s_ashr_i32 s13, s12, 31
	s_mov_b32 s15, 0
	s_lshl_b64 s[10:11], s[10:11], 3
	s_lshl_b64 s[12:13], s[12:13], 3
	.p2align	6
.LBB105_141:                            ;   Parent Loop BB105_123 Depth=1
                                        ;     Parent Loop BB105_126 Depth=2
                                        ; =>    This Inner Loop Header: Depth=3
	v_mad_u64_u32 v[2:3], null, v0, s57, 0
	s_delay_alu instid0(VALU_DEP_1) | instskip(NEXT) | instid1(VALU_DEP_1)
	v_mad_u64_u32 v[4:5], null, v0, s56, v[3:4]
	v_dual_mov_b32 v3, v4 :: v_dual_add_nc_u32 v0, s46, v0
	s_delay_alu instid0(VALU_DEP_1) | instskip(NEXT) | instid1(VALU_DEP_1)
	v_lshlrev_b64 v[2:3], 3, v[2:3]
	v_add_co_u32 v4, vcc_lo, s44, v2
	s_delay_alu instid0(VALU_DEP_2) | instskip(NEXT) | instid1(VALU_DEP_2)
	v_add_co_ci_u32_e32 v5, vcc_lo, s45, v3, vcc_lo
	v_add_co_u32 v2, vcc_lo, v4, s12
	s_delay_alu instid0(VALU_DEP_2)
	v_add_co_ci_u32_e32 v3, vcc_lo, s13, v5, vcc_lo
	v_add_co_u32 v4, vcc_lo, v4, s10
	v_add_co_ci_u32_e32 v5, vcc_lo, s11, v5, vcc_lo
	v_cmp_le_u32_e32 vcc_lo, s27, v0
	s_clause 0x1
	flat_load_b64 v[6:7], v[2:3]
	flat_load_b64 v[8:9], v[4:5]
	s_waitcnt vmcnt(1) lgkmcnt(1)
	flat_store_b64 v[4:5], v[6:7]
	s_waitcnt vmcnt(0) lgkmcnt(1)
	flat_store_b64 v[2:3], v[8:9]
	s_or_b32 s15, vcc_lo, s15
	s_delay_alu instid0(SALU_CYCLE_1)
	s_and_not1_b32 exec_lo, exec_lo, s15
	s_cbranch_execnz .LBB105_141
	s_branch .LBB105_124
.LBB105_142:
	s_mov_b32 s56, exec_lo
.LBB105_143:
	s_or_b32 exec_lo, exec_lo, s18
	s_branch .LBB105_232
.LBB105_144:
	s_and_b32 vcc_lo, exec_lo, s48
	s_mov_b32 s56, -1
	s_cbranch_vccz .LBB105_232
; %bb.145:
	v_or3_b32 v0, v43, v42, v44
	s_mov_b32 s16, exec_lo
	s_waitcnt_vscnt null, 0x0
	s_barrier
	buffer_gl0_inv
	s_barrier
	buffer_gl0_inv
	v_cmpx_eq_u32_e32 0, v0
	s_cbranch_execz .LBB105_216
; %bb.146:
	s_cmpk_lt_u32 s24, 0x2be
	s_cbranch_scc1 .LBB105_155
; %bb.147:
	v_mov_b32_e32 v0, 0
	s_mov_b64 s[2:3], 0x2bd
	s_mov_b32 s5, 0
	s_mov_b64 s[6:7], s[36:37]
	s_set_inst_prefetch_distance 0x1
	s_branch .LBB105_149
	.p2align	6
.LBB105_148:                            ;   in Loop: Header=BB105_149 Depth=1
	s_lshl_b64 s[8:9], s[8:9], 2
	s_delay_alu instid0(SALU_CYCLE_1)
	s_add_u32 s8, s36, s8
	s_addc_u32 s9, s37, s9
	s_add_u32 s2, s2, 1
	s_addc_u32 s3, s3, 0
	;; [unrolled: 2-line block ×3, first 2 shown]
	s_cmp_eq_u32 s2, s24
	global_store_b32 v0, v1, s[8:9]
	s_cbranch_scc1 .LBB105_155
.LBB105_149:                            ; =>This Loop Header: Depth=1
                                        ;     Child Loop BB105_151 Depth 2
	s_mov_b32 s4, s2
	s_mov_b64 s[10:11], s[6:7]
	s_lshl_b64 s[8:9], s[4:5], 2
	s_delay_alu instid0(SALU_CYCLE_1)
	s_add_u32 s8, s36, s8
	s_addc_u32 s9, s37, s9
	global_load_b32 v1, v0, s[8:9]
	s_mov_b64 s[8:9], s[2:3]
	s_branch .LBB105_151
	.p2align	6
.LBB105_150:                            ;   in Loop: Header=BB105_151 Depth=2
	s_add_u32 s12, s8, 0xfffffd43
	s_addc_u32 s13, s9, -1
	global_store_b32 v0, v2, s[10:11] offset:2804
	s_add_u32 s10, s10, 0xfffff50c
	s_addc_u32 s11, s11, -1
	s_cmpk_lt_i32 s8, 0x57a
	s_mov_b32 s4, 0
	s_cselect_b32 s14, -1, 0
	s_mov_b64 s[8:9], s[12:13]
	s_and_not1_b32 vcc_lo, exec_lo, s14
	s_cbranch_vccz .LBB105_153
.LBB105_151:                            ;   Parent Loop BB105_149 Depth=1
                                        ; =>  This Inner Loop Header: Depth=2
	global_load_b32 v2, v0, s[10:11]
	s_mov_b32 s4, -1
	s_waitcnt vmcnt(0)
	v_cmp_nlt_f32_e32 vcc_lo, v2, v1
	s_cbranch_vccz .LBB105_150
; %bb.152:                              ;   in Loop: Header=BB105_149 Depth=1
                                        ; implicit-def: $sgpr10_sgpr11
                                        ; implicit-def: $sgpr12_sgpr13
.LBB105_153:                            ;   in Loop: Header=BB105_149 Depth=1
	s_and_not1_b32 vcc_lo, exec_lo, s4
	s_cbranch_vccz .LBB105_148
; %bb.154:                              ;   in Loop: Header=BB105_149 Depth=1
	s_bfe_i64 s[8:9], s[12:13], 0x200000
	s_branch .LBB105_148
.LBB105_155:
	s_set_inst_prefetch_distance 0x2
	s_cmpk_lt_i32 s24, 0x12e
	s_cbranch_scc1 .LBB105_164
; %bb.156:
	v_mov_b32_e32 v0, 0
	s_mov_b64 s[2:3], 0x12d
	s_mov_b32 s5, 0
	s_mov_b64 s[6:7], s[36:37]
	s_set_inst_prefetch_distance 0x1
	s_branch .LBB105_158
	.p2align	6
.LBB105_157:                            ;   in Loop: Header=BB105_158 Depth=1
	s_lshl_b64 s[8:9], s[8:9], 2
	s_delay_alu instid0(SALU_CYCLE_1)
	s_add_u32 s8, s36, s8
	s_addc_u32 s9, s37, s9
	s_add_u32 s2, s2, 1
	s_addc_u32 s3, s3, 0
	;; [unrolled: 2-line block ×3, first 2 shown]
	s_cmp_lg_u32 s2, s24
	global_store_b32 v0, v1, s[8:9]
	s_cbranch_scc0 .LBB105_164
.LBB105_158:                            ; =>This Loop Header: Depth=1
                                        ;     Child Loop BB105_160 Depth 2
	s_mov_b32 s4, s2
	s_mov_b64 s[10:11], s[6:7]
	s_lshl_b64 s[8:9], s[4:5], 2
	s_delay_alu instid0(SALU_CYCLE_1)
	s_add_u32 s8, s36, s8
	s_addc_u32 s9, s37, s9
	global_load_b32 v1, v0, s[8:9]
	s_mov_b64 s[8:9], s[2:3]
	s_branch .LBB105_160
	.p2align	6
.LBB105_159:                            ;   in Loop: Header=BB105_160 Depth=2
	s_add_u32 s12, s8, 0xfffffed3
	s_addc_u32 s13, s9, -1
	global_store_b32 v0, v2, s[10:11] offset:1204
	s_add_u32 s10, s10, 0xfffffb4c
	s_addc_u32 s11, s11, -1
	s_cmpk_lt_i32 s8, 0x25a
	s_mov_b32 s4, 0
	s_cselect_b32 s14, -1, 0
	s_mov_b64 s[8:9], s[12:13]
	s_and_not1_b32 vcc_lo, exec_lo, s14
	s_cbranch_vccz .LBB105_162
.LBB105_160:                            ;   Parent Loop BB105_158 Depth=1
                                        ; =>  This Inner Loop Header: Depth=2
	global_load_b32 v2, v0, s[10:11]
	s_mov_b32 s4, -1
	s_waitcnt vmcnt(0)
	v_cmp_nlt_f32_e32 vcc_lo, v2, v1
	s_cbranch_vccz .LBB105_159
; %bb.161:                              ;   in Loop: Header=BB105_158 Depth=1
                                        ; implicit-def: $sgpr10_sgpr11
                                        ; implicit-def: $sgpr12_sgpr13
.LBB105_162:                            ;   in Loop: Header=BB105_158 Depth=1
	s_and_not1_b32 vcc_lo, exec_lo, s4
	s_cbranch_vccz .LBB105_157
; %bb.163:                              ;   in Loop: Header=BB105_158 Depth=1
	s_bfe_i64 s[8:9], s[12:13], 0x200000
	s_branch .LBB105_157
.LBB105_164:
	s_set_inst_prefetch_distance 0x2
	s_cmpk_lt_i32 s24, 0x85
	s_cbranch_scc1 .LBB105_173
; %bb.165:
	v_mov_b32_e32 v0, 0
	s_mov_b64 s[2:3], 0x84
	s_mov_b32 s5, 0
	s_mov_b64 s[6:7], s[36:37]
	s_set_inst_prefetch_distance 0x1
	s_branch .LBB105_167
	.p2align	6
.LBB105_166:                            ;   in Loop: Header=BB105_167 Depth=1
	s_lshl_b64 s[8:9], s[8:9], 2
	s_delay_alu instid0(SALU_CYCLE_1)
	s_add_u32 s8, s36, s8
	s_addc_u32 s9, s37, s9
	s_add_u32 s2, s2, 1
	s_addc_u32 s3, s3, 0
	;; [unrolled: 2-line block ×3, first 2 shown]
	s_cmp_lg_u32 s2, s24
	global_store_b32 v0, v1, s[8:9]
	s_cbranch_scc0 .LBB105_173
.LBB105_167:                            ; =>This Loop Header: Depth=1
                                        ;     Child Loop BB105_169 Depth 2
	s_mov_b32 s4, s2
	s_mov_b64 s[10:11], s[6:7]
	s_lshl_b64 s[8:9], s[4:5], 2
	s_delay_alu instid0(SALU_CYCLE_1)
	s_add_u32 s8, s36, s8
	s_addc_u32 s9, s37, s9
	global_load_b32 v1, v0, s[8:9]
	s_mov_b64 s[8:9], s[2:3]
	s_branch .LBB105_169
	.p2align	6
.LBB105_168:                            ;   in Loop: Header=BB105_169 Depth=2
	s_add_u32 s12, s8, 0xffffff7c
	s_addc_u32 s13, s9, -1
	global_store_b32 v0, v2, s[10:11] offset:528
	s_add_u32 s10, s10, 0xfffffdf0
	s_addc_u32 s11, s11, -1
	s_cmpk_lt_i32 s8, 0x108
	s_mov_b32 s4, 0
	s_cselect_b32 s14, -1, 0
	s_mov_b64 s[8:9], s[12:13]
	s_and_not1_b32 vcc_lo, exec_lo, s14
	s_cbranch_vccz .LBB105_171
.LBB105_169:                            ;   Parent Loop BB105_167 Depth=1
                                        ; =>  This Inner Loop Header: Depth=2
	global_load_b32 v2, v0, s[10:11]
	s_mov_b32 s4, -1
	s_waitcnt vmcnt(0)
	v_cmp_nlt_f32_e32 vcc_lo, v2, v1
	s_cbranch_vccz .LBB105_168
; %bb.170:                              ;   in Loop: Header=BB105_167 Depth=1
                                        ; implicit-def: $sgpr10_sgpr11
                                        ; implicit-def: $sgpr12_sgpr13
.LBB105_171:                            ;   in Loop: Header=BB105_167 Depth=1
	s_and_not1_b32 vcc_lo, exec_lo, s4
	s_cbranch_vccz .LBB105_166
; %bb.172:                              ;   in Loop: Header=BB105_167 Depth=1
	s_bfe_i64 s[8:9], s[12:13], 0x200000
	s_branch .LBB105_166
.LBB105_173:
	s_set_inst_prefetch_distance 0x2
	s_cmp_lt_i32 s24, 58
	s_cbranch_scc1 .LBB105_182
; %bb.174:
	v_mov_b32_e32 v0, 0
	s_mov_b64 s[2:3], 57
	s_mov_b32 s5, 0
	s_mov_b64 s[6:7], s[36:37]
	s_set_inst_prefetch_distance 0x1
	s_branch .LBB105_176
	.p2align	6
.LBB105_175:                            ;   in Loop: Header=BB105_176 Depth=1
	s_lshl_b64 s[8:9], s[8:9], 2
	s_delay_alu instid0(SALU_CYCLE_1)
	s_add_u32 s8, s36, s8
	s_addc_u32 s9, s37, s9
	s_add_u32 s2, s2, 1
	s_addc_u32 s3, s3, 0
	s_add_u32 s6, s6, 4
	s_addc_u32 s7, s7, 0
	s_cmp_lg_u32 s2, s24
	global_store_b32 v0, v1, s[8:9]
	s_cbranch_scc0 .LBB105_182
.LBB105_176:                            ; =>This Loop Header: Depth=1
                                        ;     Child Loop BB105_178 Depth 2
	s_mov_b32 s4, s2
	s_mov_b64 s[10:11], s[6:7]
	s_lshl_b64 s[8:9], s[4:5], 2
	s_delay_alu instid0(SALU_CYCLE_1)
	s_add_u32 s8, s36, s8
	s_addc_u32 s9, s37, s9
	global_load_b32 v1, v0, s[8:9]
	s_mov_b64 s[8:9], s[2:3]
	s_branch .LBB105_178
	.p2align	6
.LBB105_177:                            ;   in Loop: Header=BB105_178 Depth=2
	s_add_u32 s12, s8, 0xffffffc7
	s_addc_u32 s13, s9, -1
	global_store_b32 v0, v2, s[10:11] offset:228
	s_add_u32 s10, s10, 0xffffff1c
	s_addc_u32 s11, s11, -1
	s_cmpk_lt_i32 s8, 0x72
	s_mov_b32 s4, 0
	s_cselect_b32 s14, -1, 0
	s_mov_b64 s[8:9], s[12:13]
	s_and_not1_b32 vcc_lo, exec_lo, s14
	s_cbranch_vccz .LBB105_180
.LBB105_178:                            ;   Parent Loop BB105_176 Depth=1
                                        ; =>  This Inner Loop Header: Depth=2
	global_load_b32 v2, v0, s[10:11]
	s_mov_b32 s4, -1
	s_waitcnt vmcnt(0)
	v_cmp_nlt_f32_e32 vcc_lo, v2, v1
	s_cbranch_vccz .LBB105_177
; %bb.179:                              ;   in Loop: Header=BB105_176 Depth=1
                                        ; implicit-def: $sgpr10_sgpr11
                                        ; implicit-def: $sgpr12_sgpr13
.LBB105_180:                            ;   in Loop: Header=BB105_176 Depth=1
	s_and_not1_b32 vcc_lo, exec_lo, s4
	s_cbranch_vccz .LBB105_175
; %bb.181:                              ;   in Loop: Header=BB105_176 Depth=1
	s_bfe_i64 s[8:9], s[12:13], 0x200000
	s_branch .LBB105_175
.LBB105_182:
	s_set_inst_prefetch_distance 0x2
	s_cmp_lt_i32 s24, 24
	s_cbranch_scc1 .LBB105_191
; %bb.183:
	v_mov_b32_e32 v0, 0
	s_mov_b64 s[2:3], 23
	s_mov_b32 s5, 0
	s_mov_b64 s[6:7], s[36:37]
	s_set_inst_prefetch_distance 0x1
	s_branch .LBB105_185
	.p2align	6
.LBB105_184:                            ;   in Loop: Header=BB105_185 Depth=1
	s_lshl_b64 s[8:9], s[8:9], 2
	s_delay_alu instid0(SALU_CYCLE_1)
	s_add_u32 s8, s36, s8
	s_addc_u32 s9, s37, s9
	s_add_u32 s2, s2, 1
	s_addc_u32 s3, s3, 0
	;; [unrolled: 2-line block ×3, first 2 shown]
	s_cmp_lg_u32 s2, s24
	global_store_b32 v0, v1, s[8:9]
	s_cbranch_scc0 .LBB105_191
.LBB105_185:                            ; =>This Loop Header: Depth=1
                                        ;     Child Loop BB105_187 Depth 2
	s_mov_b32 s4, s2
	s_mov_b64 s[10:11], s[6:7]
	s_lshl_b64 s[8:9], s[4:5], 2
	s_delay_alu instid0(SALU_CYCLE_1)
	s_add_u32 s8, s36, s8
	s_addc_u32 s9, s37, s9
	global_load_b32 v1, v0, s[8:9]
	s_mov_b64 s[8:9], s[2:3]
	s_branch .LBB105_187
	.p2align	6
.LBB105_186:                            ;   in Loop: Header=BB105_187 Depth=2
	s_add_u32 s12, s8, 0xffffffe9
	s_addc_u32 s13, s9, -1
	global_store_b32 v0, v2, s[10:11] offset:92
	s_add_u32 s10, s10, 0xffffffa4
	s_addc_u32 s11, s11, -1
	s_cmp_lt_i32 s8, 46
	s_mov_b32 s4, 0
	s_cselect_b32 s14, -1, 0
	s_mov_b64 s[8:9], s[12:13]
	s_and_not1_b32 vcc_lo, exec_lo, s14
	s_cbranch_vccz .LBB105_189
.LBB105_187:                            ;   Parent Loop BB105_185 Depth=1
                                        ; =>  This Inner Loop Header: Depth=2
	global_load_b32 v2, v0, s[10:11]
	s_mov_b32 s4, -1
	s_waitcnt vmcnt(0)
	v_cmp_nlt_f32_e32 vcc_lo, v2, v1
	s_cbranch_vccz .LBB105_186
; %bb.188:                              ;   in Loop: Header=BB105_185 Depth=1
                                        ; implicit-def: $sgpr10_sgpr11
                                        ; implicit-def: $sgpr12_sgpr13
.LBB105_189:                            ;   in Loop: Header=BB105_185 Depth=1
	s_and_not1_b32 vcc_lo, exec_lo, s4
	s_cbranch_vccz .LBB105_184
; %bb.190:                              ;   in Loop: Header=BB105_185 Depth=1
	s_bfe_i64 s[8:9], s[12:13], 0x200000
	s_branch .LBB105_184
.LBB105_191:
	s_set_inst_prefetch_distance 0x2
	s_cmp_lt_i32 s24, 11
	s_cbranch_scc1 .LBB105_200
; %bb.192:
	v_mov_b32_e32 v0, 0
	s_mov_b64 s[2:3], 10
	s_mov_b32 s5, 0
	s_mov_b64 s[6:7], s[36:37]
	s_set_inst_prefetch_distance 0x1
	s_branch .LBB105_194
	.p2align	6
.LBB105_193:                            ;   in Loop: Header=BB105_194 Depth=1
	s_lshl_b64 s[8:9], s[8:9], 2
	s_delay_alu instid0(SALU_CYCLE_1)
	s_add_u32 s8, s36, s8
	s_addc_u32 s9, s37, s9
	s_add_u32 s2, s2, 1
	s_addc_u32 s3, s3, 0
	;; [unrolled: 2-line block ×3, first 2 shown]
	s_cmp_lg_u32 s2, s24
	global_store_b32 v0, v1, s[8:9]
	s_cbranch_scc0 .LBB105_200
.LBB105_194:                            ; =>This Loop Header: Depth=1
                                        ;     Child Loop BB105_196 Depth 2
	s_mov_b32 s4, s2
	s_mov_b64 s[10:11], s[6:7]
	s_lshl_b64 s[8:9], s[4:5], 2
	s_delay_alu instid0(SALU_CYCLE_1)
	s_add_u32 s8, s36, s8
	s_addc_u32 s9, s37, s9
	global_load_b32 v1, v0, s[8:9]
	s_mov_b64 s[8:9], s[2:3]
	s_branch .LBB105_196
	.p2align	6
.LBB105_195:                            ;   in Loop: Header=BB105_196 Depth=2
	s_add_u32 s12, s8, -10
	s_addc_u32 s13, s9, -1
	global_store_b32 v0, v2, s[10:11] offset:40
	s_add_u32 s10, s10, 0xffffffd8
	s_addc_u32 s11, s11, -1
	s_cmp_lt_i32 s8, 20
	s_mov_b32 s4, 0
	s_cselect_b32 s14, -1, 0
	s_mov_b64 s[8:9], s[12:13]
	s_and_not1_b32 vcc_lo, exec_lo, s14
	s_cbranch_vccz .LBB105_198
.LBB105_196:                            ;   Parent Loop BB105_194 Depth=1
                                        ; =>  This Inner Loop Header: Depth=2
	global_load_b32 v2, v0, s[10:11]
	s_mov_b32 s4, -1
	s_waitcnt vmcnt(0)
	v_cmp_nlt_f32_e32 vcc_lo, v2, v1
	s_cbranch_vccz .LBB105_195
; %bb.197:                              ;   in Loop: Header=BB105_194 Depth=1
                                        ; implicit-def: $sgpr10_sgpr11
                                        ; implicit-def: $sgpr12_sgpr13
.LBB105_198:                            ;   in Loop: Header=BB105_194 Depth=1
	s_and_not1_b32 vcc_lo, exec_lo, s4
	s_cbranch_vccz .LBB105_193
; %bb.199:                              ;   in Loop: Header=BB105_194 Depth=1
	s_bfe_i64 s[8:9], s[12:13], 0x200000
	s_branch .LBB105_193
.LBB105_200:
	s_set_inst_prefetch_distance 0x2
	s_cmp_lt_i32 s24, 5
	s_cbranch_scc1 .LBB105_209
; %bb.201:
	s_add_u32 s2, s50, s52
	v_mov_b32_e32 v0, 0
	s_addc_u32 s3, s51, s53
	s_add_u32 s2, s2, 16
	s_addc_u32 s3, s3, 0
	s_mov_b64 s[4:5], 4
	s_mov_b32 s7, 0
	s_set_inst_prefetch_distance 0x1
	s_branch .LBB105_203
	.p2align	6
.LBB105_202:                            ;   in Loop: Header=BB105_203 Depth=1
	s_lshl_b64 s[8:9], s[8:9], 2
	s_delay_alu instid0(SALU_CYCLE_1)
	s_add_u32 s8, s36, s8
	s_addc_u32 s9, s37, s9
	s_add_u32 s4, s4, 1
	s_addc_u32 s5, s5, 0
	;; [unrolled: 2-line block ×3, first 2 shown]
	s_cmp_lg_u32 s4, s24
	global_store_b32 v0, v1, s[8:9]
	s_cbranch_scc0 .LBB105_209
.LBB105_203:                            ; =>This Loop Header: Depth=1
                                        ;     Child Loop BB105_205 Depth 2
	s_mov_b32 s6, s4
	s_mov_b64 s[10:11], s[2:3]
	s_lshl_b64 s[8:9], s[6:7], 2
	s_delay_alu instid0(SALU_CYCLE_1)
	s_add_u32 s8, s36, s8
	s_addc_u32 s9, s37, s9
	global_load_b32 v1, v0, s[8:9]
	s_mov_b64 s[8:9], s[4:5]
	s_branch .LBB105_205
	.p2align	6
.LBB105_204:                            ;   in Loop: Header=BB105_205 Depth=2
	s_add_u32 s12, s8, -4
	s_addc_u32 s13, s9, -1
	s_cmp_lt_i32 s8, 8
	global_store_b32 v0, v2, s[10:11]
	s_mov_b32 s6, 0
	s_cselect_b32 s17, -1, 0
	s_mov_b64 s[8:9], s[12:13]
	s_mov_b64 s[10:11], s[14:15]
	s_and_not1_b32 vcc_lo, exec_lo, s17
	s_cbranch_vccz .LBB105_207
.LBB105_205:                            ;   Parent Loop BB105_203 Depth=1
                                        ; =>  This Inner Loop Header: Depth=2
	global_load_b32 v2, v0, s[10:11] offset:-16
	s_add_u32 s14, s10, -16
	s_addc_u32 s15, s11, -1
	s_mov_b32 s6, -1
	s_waitcnt vmcnt(0)
	v_cmp_nlt_f32_e32 vcc_lo, v2, v1
	s_cbranch_vccz .LBB105_204
; %bb.206:                              ;   in Loop: Header=BB105_203 Depth=1
                                        ; implicit-def: $sgpr10_sgpr11
                                        ; implicit-def: $sgpr12_sgpr13
.LBB105_207:                            ;   in Loop: Header=BB105_203 Depth=1
	s_and_not1_b32 vcc_lo, exec_lo, s6
	s_cbranch_vccz .LBB105_202
; %bb.208:                              ;   in Loop: Header=BB105_203 Depth=1
	s_bfe_i64 s[8:9], s[12:13], 0x200000
	s_branch .LBB105_202
.LBB105_209:
	s_set_inst_prefetch_distance 0x2
	s_cmp_lt_i32 s24, 2
	s_cbranch_scc1 .LBB105_216
; %bb.210:
	s_add_u32 s2, s50, s52
	v_mov_b32_e32 v0, 0
	s_addc_u32 s3, s51, s53
	s_add_u32 s2, s2, 4
	s_addc_u32 s3, s3, 0
	s_mov_b64 s[4:5], 1
	s_mov_b32 s7, 0
	s_set_inst_prefetch_distance 0x1
	s_branch .LBB105_212
	.p2align	6
.LBB105_211:                            ;   in Loop: Header=BB105_212 Depth=1
	s_lshl_b64 s[8:9], s[12:13], 2
	s_delay_alu instid0(SALU_CYCLE_1)
	s_add_u32 s8, s36, s8
	s_addc_u32 s9, s37, s9
	s_add_u32 s4, s4, 1
	s_addc_u32 s5, s5, 0
	;; [unrolled: 2-line block ×3, first 2 shown]
	s_cmp_eq_u32 s4, s24
	global_store_b32 v0, v1, s[8:9]
	s_cbranch_scc1 .LBB105_216
.LBB105_212:                            ; =>This Loop Header: Depth=1
                                        ;     Child Loop BB105_214 Depth 2
	s_mov_b32 s6, s4
	s_mov_b64 s[10:11], s[2:3]
	s_lshl_b64 s[8:9], s[6:7], 2
	s_delay_alu instid0(SALU_CYCLE_1)
	s_add_u32 s8, s36, s8
	s_addc_u32 s9, s37, s9
	global_load_b32 v1, v0, s[8:9]
	s_mov_b64 s[8:9], s[4:5]
	s_branch .LBB105_214
	.p2align	6
.LBB105_213:                            ;   in Loop: Header=BB105_214 Depth=2
	global_store_b32 v0, v2, s[10:11]
	s_add_u32 s10, s8, -1
	s_addc_u32 s11, s9, -1
	s_cmp_lt_i32 s8, 2
	s_mov_b64 s[12:13], 0
	s_cselect_b32 s6, -1, 0
	s_mov_b64 s[8:9], s[10:11]
	s_mov_b64 s[10:11], s[14:15]
	s_and_not1_b32 vcc_lo, exec_lo, s6
	s_cbranch_vccz .LBB105_211
.LBB105_214:                            ;   Parent Loop BB105_212 Depth=1
                                        ; =>  This Inner Loop Header: Depth=2
	global_load_b32 v2, v0, s[10:11] offset:-4
	s_add_u32 s14, s10, -4
	s_addc_u32 s15, s11, -1
	s_mov_b32 s6, -1
	s_waitcnt vmcnt(0)
	v_cmp_nlt_f32_e32 vcc_lo, v2, v1
	s_cbranch_vccz .LBB105_213
; %bb.215:                              ;   in Loop: Header=BB105_214 Depth=2
	s_mov_b64 s[12:13], s[8:9]
                                        ; implicit-def: $sgpr10_sgpr11
	s_and_not1_b32 vcc_lo, exec_lo, s6
	s_cbranch_vccnz .LBB105_214
	s_branch .LBB105_211
.LBB105_216:
	s_set_inst_prefetch_distance 0x2
	s_or_b32 exec_lo, exec_lo, s16
	s_cmp_lt_i32 s24, 2
	s_mov_b32 s56, 0
	s_cselect_b32 s5, -1, 0
	s_waitcnt_vscnt null, 0x0
	s_and_b32 vcc_lo, exec_lo, s5
	s_barrier
	buffer_gl0_inv
	s_cbranch_vccnz .LBB105_224
; %bb.217:
	s_add_i32 s4, s24, -1
	s_mov_b32 s5, -1
	s_mov_b32 s2, 0
	s_mov_b32 s3, exec_lo
	v_cmpx_gt_u32_e64 s4, v41
	s_cbranch_execz .LBB105_226
; %bb.218:
	v_dual_mov_b32 v1, 0 :: v_dual_mov_b32 v0, v41
	s_add_u32 s5, s36, 4
	s_addc_u32 s8, s37, 0
	s_mov_b32 s6, 0
                                        ; implicit-def: $sgpr7
	s_set_inst_prefetch_distance 0x1
	s_branch .LBB105_220
	.p2align	6
.LBB105_219:                            ;   in Loop: Header=BB105_220 Depth=1
	s_or_b32 exec_lo, exec_lo, s11
	s_xor_b32 s2, s2, -1
	s_and_b32 s9, exec_lo, s10
	s_delay_alu instid0(SALU_CYCLE_1) | instskip(SKIP_2) | instid1(SALU_CYCLE_1)
	s_or_b32 s6, s9, s6
	s_and_not1_b32 s7, s7, exec_lo
	s_and_b32 s2, s2, exec_lo
	s_or_b32 s7, s7, s2
	s_and_not1_b32 exec_lo, exec_lo, s6
	s_cbranch_execz .LBB105_225
.LBB105_220:                            ; =>This Inner Loop Header: Depth=1
	v_lshlrev_b64 v[2:3], 2, v[0:1]
	s_mov_b32 s10, exec_lo
                                        ; implicit-def: $sgpr2
	s_delay_alu instid0(VALU_DEP_1) | instskip(NEXT) | instid1(VALU_DEP_2)
	v_add_co_u32 v2, vcc_lo, s36, v2
	v_add_co_ci_u32_e32 v3, vcc_lo, s37, v3, vcc_lo
	global_load_b32 v2, v[2:3], off
	s_waitcnt vmcnt(0)
	v_cmp_u_f32_e64 s9, v2, v2
	v_cmpx_o_f32_e32 v2, v2
	s_cbranch_execz .LBB105_222
; %bb.221:                              ;   in Loop: Header=BB105_220 Depth=1
	v_ashrrev_i32_e32 v4, 31, v0
	v_mov_b32_e32 v3, v0
	s_and_not1_b32 s9, s9, exec_lo
	s_delay_alu instid0(VALU_DEP_1) | instskip(NEXT) | instid1(VALU_DEP_1)
	v_lshlrev_b64 v[3:4], 2, v[3:4]
	v_add_co_u32 v3, vcc_lo, s5, v3
	s_delay_alu instid0(VALU_DEP_2) | instskip(SKIP_4) | instid1(VALU_DEP_1)
	v_add_co_ci_u32_e32 v4, vcc_lo, s8, v4, vcc_lo
	global_load_b32 v3, v[3:4], off
	s_waitcnt vmcnt(0)
	v_cmp_u_f32_e32 vcc_lo, v3, v3
	v_cmp_ge_f32_e64 s2, v2, v3
	s_or_b32 s2, vcc_lo, s2
	s_delay_alu instid0(SALU_CYCLE_1)
	s_and_b32 s11, s2, exec_lo
	s_mov_b32 s2, -1
	s_or_b32 s9, s9, s11
.LBB105_222:                            ;   in Loop: Header=BB105_220 Depth=1
	s_or_b32 exec_lo, exec_lo, s10
	s_mov_b32 s10, -1
	s_and_saveexec_b32 s11, s9
	s_cbranch_execz .LBB105_219
; %bb.223:                              ;   in Loop: Header=BB105_220 Depth=1
	v_add_nc_u32_e32 v0, s46, v0
	s_and_not1_b32 s2, s2, exec_lo
	s_delay_alu instid0(VALU_DEP_1)
	v_cmp_le_u32_e32 vcc_lo, s4, v0
	s_or_not1_b32 s10, vcc_lo, exec_lo
	s_branch .LBB105_219
.LBB105_224:
	s_mov_b32 s2, 0
	s_branch .LBB105_227
.LBB105_225:
	s_set_inst_prefetch_distance 0x2
	s_or_b32 exec_lo, exec_lo, s6
	s_delay_alu instid0(SALU_CYCLE_1)
	s_mov_b32 s2, exec_lo
	s_or_not1_b32 s5, s7, exec_lo
.LBB105_226:
	s_or_b32 exec_lo, exec_lo, s3
.LBB105_227:
	s_and_saveexec_b32 s3, s5
	s_cbranch_execz .LBB105_229
; %bb.228:
	s_mov_b32 s56, exec_lo
	s_barrier
	s_and_not1_b32 s2, s2, exec_lo
	buffer_gl0_inv
.LBB105_229:
	s_or_b32 exec_lo, exec_lo, s3
	s_and_saveexec_b32 s40, s2
	s_cbranch_execz .LBB105_231
; %bb.230:
	s_add_u32 s8, s0, 0x90
	s_addc_u32 s9, s1, 0
	s_getpc_b64 s[0:1]
	s_add_u32 s0, s0, __PRETTY_FUNCTION__._ZN9rocsolver6v33100L21shell_sort_descendingIfiEEvT0_PT_PS2_@rel32@lo+4
	s_addc_u32 s1, s1, __PRETTY_FUNCTION__._ZN9rocsolver6v33100L21shell_sort_descendingIfiEEvT0_PT_PS2_@rel32@hi+12
	s_delay_alu instid0(SALU_CYCLE_1) | instskip(SKIP_3) | instid1(SALU_CYCLE_1)
	v_dual_mov_b32 v0, s0 :: v_dual_mov_b32 v1, s1
	s_getpc_b64 s[2:3]
	s_add_u32 s2, s2, __assert_fail@rel32@lo+4
	s_addc_u32 s3, s3, __assert_fail@rel32@hi+12
	s_swappc_b64 s[30:31], s[2:3]
	s_or_b32 s54, s54, exec_lo
.LBB105_231:
	s_or_b32 exec_lo, exec_lo, s40
.LBB105_232:
	s_and_saveexec_b32 s0, s54
; %bb.233:
	; divergent unreachable
; %bb.234:
	s_delay_alu instid0(SALU_CYCLE_1)
	s_or_b32 exec_lo, exec_lo, s0
	s_and_saveexec_b32 s0, s56
	s_cbranch_execz .LBB105_236
; %bb.235:
	s_waitcnt_vscnt null, 0x0
	s_barrier
	buffer_gl0_inv
.LBB105_236:
	s_or_b32 exec_lo, exec_lo, s0
	s_cbranch_execnz .LBB105_260
.LBB105_237:
	s_cmp_lt_i32 s24, 2
	s_cbranch_scc1 .LBB105_260
; %bb.238:
	s_cmp_lg_u32 s25, 0
	v_mul_lo_u32 v0, s47, v41
	s_cselect_b32 s14, -1, 0
	s_cmp_lg_u32 s26, 0
	v_mul_lo_u32 v1, s49, v41
	s_cselect_b32 s15, -1, 0
	s_cmp_lg_u32 s27, 0
	v_cmp_eq_u32_e64 s0, 0, v41
	s_cselect_b32 s16, -1, 0
	s_add_i32 s17, s24, -2
	v_cmp_gt_i32_e64 s1, s25, v41
	v_cmp_gt_i32_e64 s2, s26, v41
	;; [unrolled: 1-line block ×3, first 2 shown]
	s_add_u32 s4, s50, s52
	v_mov_b32_e32 v2, 0
	s_addc_u32 s7, s51, s53
	s_add_u32 s6, s4, 4
	s_mov_b32 s5, 0
	s_addc_u32 s7, s7, 0
	s_mul_i32 s18, s47, s21
	s_mul_i32 s19, s49, s21
	s_mov_b32 s20, 0
	s_mov_b32 s30, 0
	s_branch .LBB105_241
.LBB105_239:                            ;   in Loop: Header=BB105_241 Depth=1
	s_or_b32 exec_lo, exec_lo, s9
	s_waitcnt lgkmcnt(0)
	s_waitcnt_vscnt null, 0x0
	s_barrier
	buffer_gl0_inv
.LBB105_240:                            ;   in Loop: Header=BB105_241 Depth=1
	s_add_u32 s6, s6, 4
	s_addc_u32 s7, s7, 0
	s_add_i32 s20, s20, s43
	s_cmp_eq_u32 s4, s17
	s_cbranch_scc1 .LBB105_260
.LBB105_241:                            ; =>This Loop Header: Depth=1
                                        ;     Child Loop BB105_242 Depth 2
                                        ;     Child Loop BB105_249 Depth 2
	;; [unrolled: 1-line block ×4, first 2 shown]
	s_mov_b32 s4, s30
	s_mov_b64 s[12:13], s[6:7]
	s_lshl_b64 s[8:9], s[4:5], 2
	s_delay_alu instid0(SALU_CYCLE_1)
	s_add_u32 s10, s36, s8
	s_addc_u32 s11, s37, s9
	s_add_i32 s30, s30, 1
	global_load_b32 v3, v2, s[10:11]
	s_mov_b32 s9, s30
	s_mov_b32 s8, s4
.LBB105_242:                            ;   Parent Loop BB105_241 Depth=1
                                        ; =>  This Inner Loop Header: Depth=2
	global_load_b32 v4, v2, s[12:13]
	s_waitcnt vmcnt(0)
	v_cmp_gt_f32_e32 vcc_lo, v4, v3
	s_and_b32 s31, vcc_lo, exec_lo
	v_cndmask_b32_e32 v3, v3, v4, vcc_lo
	s_cselect_b32 s8, s9, s8
	s_add_i32 s9, s9, 1
	s_add_u32 s12, s12, 4
	s_addc_u32 s13, s13, 0
	s_cmp_lt_i32 s9, s24
	s_cbranch_scc1 .LBB105_242
; %bb.243:                              ;   in Loop: Header=BB105_241 Depth=1
	s_cmp_eq_u32 s8, s4
	s_waitcnt_vscnt null, 0x0
	s_barrier
	buffer_gl0_inv
	s_cbranch_scc1 .LBB105_240
; %bb.244:                              ;   in Loop: Header=BB105_241 Depth=1
	s_and_saveexec_b32 s12, s0
	s_cbranch_execz .LBB105_246
; %bb.245:                              ;   in Loop: Header=BB105_241 Depth=1
	global_load_b32 v4, v2, s[10:11]
	s_ashr_i32 s9, s8, 31
	s_delay_alu instid0(SALU_CYCLE_1) | instskip(NEXT) | instid1(SALU_CYCLE_1)
	s_lshl_b64 s[40:41], s[8:9], 2
	s_add_u32 s40, s36, s40
	s_addc_u32 s41, s37, s41
	s_waitcnt vmcnt(0)
	s_clause 0x1
	global_store_b32 v2, v4, s[40:41]
	global_store_b32 v2, v3, s[10:11]
.LBB105_246:                            ;   in Loop: Header=BB105_241 Depth=1
	s_or_b32 exec_lo, exec_lo, s12
	s_delay_alu instid0(SALU_CYCLE_1)
	s_and_not1_b32 vcc_lo, exec_lo, s14
	s_cbranch_vccnz .LBB105_251
; %bb.247:                              ;   in Loop: Header=BB105_241 Depth=1
	s_and_saveexec_b32 s9, s1
	s_cbranch_execz .LBB105_250
; %bb.248:                              ;   in Loop: Header=BB105_241 Depth=1
	v_dual_mov_b32 v3, v0 :: v_dual_mov_b32 v4, v41
	s_mov_b32 s10, 0
	.p2align	6
.LBB105_249:                            ;   Parent Loop BB105_241 Depth=1
                                        ; =>  This Inner Loop Header: Depth=2
	s_delay_alu instid0(VALU_DEP_1) | instskip(SKIP_1) | instid1(VALU_DEP_3)
	v_add_nc_u32_e32 v5, s4, v3
	v_add_nc_u32_e32 v7, s8, v3
	v_add_nc_u32_e32 v4, s21, v4
	v_add_nc_u32_e32 v3, s18, v3
	s_delay_alu instid0(VALU_DEP_4) | instskip(NEXT) | instid1(VALU_DEP_4)
	v_ashrrev_i32_e32 v6, 31, v5
	v_ashrrev_i32_e32 v8, 31, v7
	s_delay_alu instid0(VALU_DEP_2) | instskip(NEXT) | instid1(VALU_DEP_2)
	v_lshlrev_b64 v[5:6], 3, v[5:6]
	v_lshlrev_b64 v[7:8], 3, v[7:8]
	s_delay_alu instid0(VALU_DEP_2) | instskip(NEXT) | instid1(VALU_DEP_3)
	v_add_co_u32 v5, vcc_lo, s34, v5
	v_add_co_ci_u32_e32 v6, vcc_lo, s35, v6, vcc_lo
	s_delay_alu instid0(VALU_DEP_3) | instskip(NEXT) | instid1(VALU_DEP_4)
	v_add_co_u32 v7, vcc_lo, s34, v7
	v_add_co_ci_u32_e32 v8, vcc_lo, s35, v8, vcc_lo
	v_cmp_le_i32_e32 vcc_lo, s25, v4
	s_clause 0x1
	flat_load_b64 v[9:10], v[5:6]
	flat_load_b64 v[11:12], v[7:8]
	s_waitcnt vmcnt(1) lgkmcnt(1)
	flat_store_b64 v[7:8], v[9:10]
	s_waitcnt vmcnt(0) lgkmcnt(1)
	flat_store_b64 v[5:6], v[11:12]
	s_or_b32 s10, vcc_lo, s10
	s_delay_alu instid0(SALU_CYCLE_1)
	s_and_not1_b32 exec_lo, exec_lo, s10
	s_cbranch_execnz .LBB105_249
.LBB105_250:                            ;   in Loop: Header=BB105_241 Depth=1
	s_or_b32 exec_lo, exec_lo, s9
	s_waitcnt lgkmcnt(0)
	s_waitcnt_vscnt null, 0x0
	s_barrier
	buffer_gl0_inv
.LBB105_251:                            ;   in Loop: Header=BB105_241 Depth=1
	s_and_not1_b32 vcc_lo, exec_lo, s15
	s_cbranch_vccnz .LBB105_256
; %bb.252:                              ;   in Loop: Header=BB105_241 Depth=1
	s_and_saveexec_b32 s9, s2
	s_cbranch_execz .LBB105_255
; %bb.253:                              ;   in Loop: Header=BB105_241 Depth=1
	v_mov_b32_e32 v3, v41
	s_mul_i32 s10, s8, s43
	s_mov_b32 s11, 0
	.p2align	6
.LBB105_254:                            ;   Parent Loop BB105_241 Depth=1
                                        ; =>  This Inner Loop Header: Depth=2
	s_delay_alu instid0(VALU_DEP_1) | instskip(SKIP_2) | instid1(VALU_DEP_3)
	v_add_nc_u32_e32 v4, s20, v3
	v_add_nc_u32_e32 v6, s10, v3
	;; [unrolled: 1-line block ×3, first 2 shown]
	v_ashrrev_i32_e32 v5, 31, v4
	s_delay_alu instid0(VALU_DEP_3) | instskip(NEXT) | instid1(VALU_DEP_2)
	v_ashrrev_i32_e32 v7, 31, v6
	v_lshlrev_b64 v[4:5], 3, v[4:5]
	s_delay_alu instid0(VALU_DEP_2) | instskip(NEXT) | instid1(VALU_DEP_2)
	v_lshlrev_b64 v[6:7], 3, v[6:7]
	v_add_co_u32 v4, vcc_lo, s28, v4
	s_delay_alu instid0(VALU_DEP_3) | instskip(NEXT) | instid1(VALU_DEP_3)
	v_add_co_ci_u32_e32 v5, vcc_lo, s29, v5, vcc_lo
	v_add_co_u32 v6, vcc_lo, s28, v6
	s_delay_alu instid0(VALU_DEP_4)
	v_add_co_ci_u32_e32 v7, vcc_lo, s29, v7, vcc_lo
	v_cmp_le_i32_e32 vcc_lo, s26, v3
	s_clause 0x1
	flat_load_b64 v[8:9], v[4:5]
	flat_load_b64 v[10:11], v[6:7]
	s_waitcnt vmcnt(1) lgkmcnt(1)
	flat_store_b64 v[6:7], v[8:9]
	s_waitcnt vmcnt(0) lgkmcnt(1)
	flat_store_b64 v[4:5], v[10:11]
	s_or_b32 s11, vcc_lo, s11
	s_delay_alu instid0(SALU_CYCLE_1)
	s_and_not1_b32 exec_lo, exec_lo, s11
	s_cbranch_execnz .LBB105_254
.LBB105_255:                            ;   in Loop: Header=BB105_241 Depth=1
	s_or_b32 exec_lo, exec_lo, s9
	s_waitcnt lgkmcnt(0)
	s_waitcnt_vscnt null, 0x0
	s_barrier
	buffer_gl0_inv
.LBB105_256:                            ;   in Loop: Header=BB105_241 Depth=1
	s_and_not1_b32 vcc_lo, exec_lo, s16
	s_cbranch_vccnz .LBB105_240
; %bb.257:                              ;   in Loop: Header=BB105_241 Depth=1
	s_and_saveexec_b32 s9, s3
	s_cbranch_execz .LBB105_239
; %bb.258:                              ;   in Loop: Header=BB105_241 Depth=1
	v_mov_b32_e32 v3, v1
	v_mov_b32_e32 v4, v41
	s_mov_b32 s10, 0
	.p2align	6
.LBB105_259:                            ;   Parent Loop BB105_241 Depth=1
                                        ; =>  This Inner Loop Header: Depth=2
	s_delay_alu instid0(VALU_DEP_2) | instskip(SKIP_1) | instid1(VALU_DEP_3)
	v_add_nc_u32_e32 v5, s4, v3
	v_add_nc_u32_e32 v7, s8, v3
	;; [unrolled: 1-line block ×4, first 2 shown]
	s_delay_alu instid0(VALU_DEP_4) | instskip(NEXT) | instid1(VALU_DEP_4)
	v_ashrrev_i32_e32 v6, 31, v5
	v_ashrrev_i32_e32 v8, 31, v7
	s_delay_alu instid0(VALU_DEP_2) | instskip(NEXT) | instid1(VALU_DEP_2)
	v_lshlrev_b64 v[5:6], 3, v[5:6]
	v_lshlrev_b64 v[7:8], 3, v[7:8]
	s_delay_alu instid0(VALU_DEP_2) | instskip(NEXT) | instid1(VALU_DEP_3)
	v_add_co_u32 v5, vcc_lo, s44, v5
	v_add_co_ci_u32_e32 v6, vcc_lo, s45, v6, vcc_lo
	s_delay_alu instid0(VALU_DEP_3) | instskip(NEXT) | instid1(VALU_DEP_4)
	v_add_co_u32 v7, vcc_lo, s44, v7
	v_add_co_ci_u32_e32 v8, vcc_lo, s45, v8, vcc_lo
	v_cmp_le_i32_e32 vcc_lo, s27, v4
	s_clause 0x1
	flat_load_b64 v[9:10], v[5:6]
	flat_load_b64 v[11:12], v[7:8]
	s_waitcnt vmcnt(1) lgkmcnt(1)
	flat_store_b64 v[7:8], v[9:10]
	s_waitcnt vmcnt(0) lgkmcnt(1)
	flat_store_b64 v[5:6], v[11:12]
	s_or_b32 s10, vcc_lo, s10
	s_delay_alu instid0(SALU_CYCLE_1)
	s_and_not1_b32 exec_lo, exec_lo, s10
	s_cbranch_execnz .LBB105_259
	s_branch .LBB105_239
.LBB105_260:
	s_mov_b32 s2, 0
.LBB105_261:
	s_delay_alu instid0(SALU_CYCLE_1)
	s_and_not1_b32 vcc_lo, exec_lo, s2
	s_cbranch_vccnz .LBB105_264
; %bb.262:
	s_mov_b32 s0, exec_lo
	v_cmpx_eq_u32_e32 0, v41
	s_cbranch_execz .LBB105_264
; %bb.263:
	v_dual_mov_b32 v0, 0 :: v_dual_mov_b32 v1, s42
	s_add_u32 s0, s38, s22
	s_addc_u32 s1, s39, s23
	global_store_b32 v0, v1, s[0:1]
.LBB105_264:
	s_endpgm
	.section	.rodata,"a",@progbits
	.p2align	6, 0x0
	.amdhsa_kernel _ZN9rocsolver6v33100L14bdsqr_finalizeI19rocblas_complex_numIfEfPS3_S4_S4_EEviiiiPT0_lS6_lT1_iilT2_iilT3_iilPiSA_SA_
		.amdhsa_group_segment_fixed_size 0
		.amdhsa_private_segment_fixed_size 64
		.amdhsa_kernarg_size 400
		.amdhsa_user_sgpr_count 14
		.amdhsa_user_sgpr_dispatch_ptr 0
		.amdhsa_user_sgpr_queue_ptr 0
		.amdhsa_user_sgpr_kernarg_segment_ptr 1
		.amdhsa_user_sgpr_dispatch_id 0
		.amdhsa_user_sgpr_private_segment_size 0
		.amdhsa_wavefront_size32 1
		.amdhsa_uses_dynamic_stack 0
		.amdhsa_enable_private_segment 1
		.amdhsa_system_sgpr_workgroup_id_x 1
		.amdhsa_system_sgpr_workgroup_id_y 1
		.amdhsa_system_sgpr_workgroup_id_z 0
		.amdhsa_system_sgpr_workgroup_info 0
		.amdhsa_system_vgpr_workitem_id 2
		.amdhsa_next_free_vgpr 45
		.amdhsa_next_free_sgpr 60
		.amdhsa_reserve_vcc 1
		.amdhsa_float_round_mode_32 0
		.amdhsa_float_round_mode_16_64 0
		.amdhsa_float_denorm_mode_32 3
		.amdhsa_float_denorm_mode_16_64 3
		.amdhsa_dx10_clamp 1
		.amdhsa_ieee_mode 1
		.amdhsa_fp16_overflow 0
		.amdhsa_workgroup_processor_mode 1
		.amdhsa_memory_ordered 1
		.amdhsa_forward_progress 0
		.amdhsa_shared_vgpr_count 0
		.amdhsa_exception_fp_ieee_invalid_op 0
		.amdhsa_exception_fp_denorm_src 0
		.amdhsa_exception_fp_ieee_div_zero 0
		.amdhsa_exception_fp_ieee_overflow 0
		.amdhsa_exception_fp_ieee_underflow 0
		.amdhsa_exception_fp_ieee_inexact 0
		.amdhsa_exception_int_div_zero 0
	.end_amdhsa_kernel
	.section	.text._ZN9rocsolver6v33100L14bdsqr_finalizeI19rocblas_complex_numIfEfPS3_S4_S4_EEviiiiPT0_lS6_lT1_iilT2_iilT3_iilPiSA_SA_,"axG",@progbits,_ZN9rocsolver6v33100L14bdsqr_finalizeI19rocblas_complex_numIfEfPS3_S4_S4_EEviiiiPT0_lS6_lT1_iilT2_iilT3_iilPiSA_SA_,comdat
.Lfunc_end105:
	.size	_ZN9rocsolver6v33100L14bdsqr_finalizeI19rocblas_complex_numIfEfPS3_S4_S4_EEviiiiPT0_lS6_lT1_iilT2_iilT3_iilPiSA_SA_, .Lfunc_end105-_ZN9rocsolver6v33100L14bdsqr_finalizeI19rocblas_complex_numIfEfPS3_S4_S4_EEviiiiPT0_lS6_lT1_iilT2_iilT3_iilPiSA_SA_
                                        ; -- End function
	.section	.AMDGPU.csdata,"",@progbits
; Kernel info:
; codeLenInByte = 8428
; NumSgprs: 62
; NumVgprs: 45
; ScratchSize: 64
; MemoryBound: 0
; FloatMode: 240
; IeeeMode: 1
; LDSByteSize: 0 bytes/workgroup (compile time only)
; SGPRBlocks: 7
; VGPRBlocks: 5
; NumSGPRsForWavesPerEU: 62
; NumVGPRsForWavesPerEU: 45
; Occupancy: 16
; WaveLimiterHint : 1
; COMPUTE_PGM_RSRC2:SCRATCH_EN: 1
; COMPUTE_PGM_RSRC2:USER_SGPR: 14
; COMPUTE_PGM_RSRC2:TRAP_HANDLER: 0
; COMPUTE_PGM_RSRC2:TGID_X_EN: 1
; COMPUTE_PGM_RSRC2:TGID_Y_EN: 1
; COMPUTE_PGM_RSRC2:TGID_Z_EN: 0
; COMPUTE_PGM_RSRC2:TIDIG_COMP_CNT: 2
	.section	.text._ZN9rocsolver6v33100L8copy_matI19rocblas_complex_numIfEPS3_S4_NS0_7no_maskEEEviiT0_iilT1_iilT2_13rocblas_fill_17rocblas_diagonal_,"axG",@progbits,_ZN9rocsolver6v33100L8copy_matI19rocblas_complex_numIfEPS3_S4_NS0_7no_maskEEEviiT0_iilT1_iilT2_13rocblas_fill_17rocblas_diagonal_,comdat
	.globl	_ZN9rocsolver6v33100L8copy_matI19rocblas_complex_numIfEPS3_S4_NS0_7no_maskEEEviiT0_iilT1_iilT2_13rocblas_fill_17rocblas_diagonal_ ; -- Begin function _ZN9rocsolver6v33100L8copy_matI19rocblas_complex_numIfEPS3_S4_NS0_7no_maskEEEviiT0_iilT1_iilT2_13rocblas_fill_17rocblas_diagonal_
	.p2align	8
	.type	_ZN9rocsolver6v33100L8copy_matI19rocblas_complex_numIfEPS3_S4_NS0_7no_maskEEEviiT0_iilT1_iilT2_13rocblas_fill_17rocblas_diagonal_,@function
_ZN9rocsolver6v33100L8copy_matI19rocblas_complex_numIfEPS3_S4_NS0_7no_maskEEEviiT0_iilT1_iilT2_13rocblas_fill_17rocblas_diagonal_: ; @_ZN9rocsolver6v33100L8copy_matI19rocblas_complex_numIfEPS3_S4_NS0_7no_maskEEEviiT0_iilT1_iilT2_13rocblas_fill_17rocblas_diagonal_
; %bb.0:
	s_clause 0x1
	s_load_b32 s4, s[0:1], 0x54
	s_load_b64 s[2:3], s[0:1], 0x0
	v_and_b32_e32 v2, 0x3ff, v0
	v_bfe_u32 v3, v0, 10, 10
	s_waitcnt lgkmcnt(0)
	s_lshr_b32 s5, s4, 16
	s_and_b32 s4, s4, 0xffff
	s_delay_alu instid0(VALU_DEP_1) | instid1(SALU_CYCLE_1)
	v_mad_u64_u32 v[0:1], null, s13, s4, v[2:3]
	v_mad_u64_u32 v[1:2], null, s14, s5, v[3:4]
	s_delay_alu instid0(VALU_DEP_2) | instskip(NEXT) | instid1(VALU_DEP_2)
	v_cmp_gt_u32_e32 vcc_lo, s2, v0
	v_cmp_gt_u32_e64 s2, s3, v1
	s_delay_alu instid0(VALU_DEP_1) | instskip(NEXT) | instid1(SALU_CYCLE_1)
	s_and_b32 s2, s2, vcc_lo
	s_and_saveexec_b32 s3, s2
	s_cbranch_execz .LBB106_14
; %bb.1:
	s_load_b64 s[4:5], s[0:1], 0x3c
	s_waitcnt lgkmcnt(0)
	s_cmpk_lt_i32 s4, 0x7a
	s_cbranch_scc1 .LBB106_4
; %bb.2:
	s_cmpk_gt_i32 s4, 0x7a
	s_cbranch_scc0 .LBB106_5
; %bb.3:
	s_cmpk_lg_i32 s4, 0x7b
	s_mov_b32 s3, -1
	s_cselect_b32 s6, -1, 0
	s_cbranch_execz .LBB106_6
	s_branch .LBB106_7
.LBB106_4:
	s_mov_b32 s6, 0
	s_mov_b32 s3, 0
	s_cbranch_execnz .LBB106_8
	s_branch .LBB106_10
.LBB106_5:
	s_mov_b32 s3, 0
	s_mov_b32 s6, 0
.LBB106_6:
	v_cmp_gt_u32_e32 vcc_lo, v0, v1
	v_cmp_le_u32_e64 s2, v0, v1
	s_and_not1_b32 s3, s3, exec_lo
	s_and_not1_b32 s6, s6, exec_lo
	s_and_b32 s7, vcc_lo, exec_lo
	s_delay_alu instid0(VALU_DEP_1)
	s_and_b32 s2, s2, exec_lo
	s_or_b32 s3, s3, s7
	s_or_b32 s6, s6, s2
.LBB106_7:
	s_branch .LBB106_10
.LBB106_8:
	s_cmpk_eq_i32 s4, 0x79
	s_mov_b32 s6, -1
	s_cbranch_scc0 .LBB106_10
; %bb.9:
	v_cmp_gt_u32_e32 vcc_lo, v1, v0
	v_cmp_le_u32_e64 s2, v1, v0
	s_and_not1_b32 s3, s3, exec_lo
	s_and_b32 s4, vcc_lo, exec_lo
	s_delay_alu instid0(VALU_DEP_1)
	s_or_not1_b32 s6, s2, exec_lo
	s_or_b32 s3, s3, s4
.LBB106_10:
	s_and_saveexec_b32 s2, s6
; %bb.11:
	v_cmp_eq_u32_e32 vcc_lo, v0, v1
	s_cmpk_eq_i32 s5, 0x83
	s_cselect_b32 s4, -1, 0
	s_and_not1_b32 s3, s3, exec_lo
	s_and_b32 s4, s4, vcc_lo
	s_delay_alu instid0(SALU_CYCLE_1) | instskip(NEXT) | instid1(SALU_CYCLE_1)
	s_and_b32 s4, s4, exec_lo
	s_or_b32 s3, s3, s4
; %bb.12:
	s_or_b32 exec_lo, exec_lo, s2
	s_delay_alu instid0(SALU_CYCLE_1)
	s_and_b32 exec_lo, exec_lo, s3
	s_cbranch_execz .LBB106_14
; %bb.13:
	s_load_b256 s[4:11], s[0:1], 0x8
	s_waitcnt lgkmcnt(0)
	v_mad_u64_u32 v[2:3], null, v1, s7, v[0:1]
	s_mul_i32 s2, s15, s9
	s_mul_hi_u32 s9, s15, s8
	v_mov_b32_e32 v3, 0
	s_mul_i32 s8, s15, s8
	s_add_i32 s9, s9, s2
	s_ashr_i32 s3, s6, 31
	s_lshl_b64 s[8:9], s[8:9], 3
	s_mov_b32 s2, s6
	v_lshlrev_b64 v[4:5], 3, v[2:3]
	s_add_u32 s4, s4, s8
	s_addc_u32 s5, s5, s9
	s_lshl_b64 s[2:3], s[2:3], 3
	s_delay_alu instid0(SALU_CYCLE_1)
	s_add_u32 s2, s4, s2
	s_addc_u32 s3, s5, s3
	v_add_co_u32 v4, vcc_lo, s2, v4
	v_add_co_ci_u32_e32 v5, vcc_lo, s3, v5, vcc_lo
	s_load_b128 s[0:3], s[0:1], 0x28
	global_load_b64 v[4:5], v[4:5], off
	s_waitcnt lgkmcnt(0)
	v_mad_u64_u32 v[6:7], null, v1, s1, v[0:1]
	s_mul_i32 s3, s15, s3
	s_mul_hi_u32 s4, s15, s2
	v_mov_b32_e32 v7, v3
	s_add_i32 s3, s4, s3
	s_mul_i32 s2, s15, s2
	s_ashr_i32 s5, s0, 31
	s_lshl_b64 s[2:3], s[2:3], 3
	s_mov_b32 s4, s0
	v_lshlrev_b64 v[0:1], 3, v[6:7]
	s_add_u32 s2, s10, s2
	s_addc_u32 s3, s11, s3
	s_lshl_b64 s[0:1], s[4:5], 3
	s_delay_alu instid0(SALU_CYCLE_1)
	s_add_u32 s0, s2, s0
	s_addc_u32 s1, s3, s1
	v_add_co_u32 v0, vcc_lo, s0, v0
	v_add_co_ci_u32_e32 v1, vcc_lo, s1, v1, vcc_lo
	s_waitcnt vmcnt(0)
	global_store_b64 v[0:1], v[4:5], off
.LBB106_14:
	s_nop 0
	s_sendmsg sendmsg(MSG_DEALLOC_VGPRS)
	s_endpgm
	.section	.rodata,"a",@progbits
	.p2align	6, 0x0
	.amdhsa_kernel _ZN9rocsolver6v33100L8copy_matI19rocblas_complex_numIfEPS3_S4_NS0_7no_maskEEEviiT0_iilT1_iilT2_13rocblas_fill_17rocblas_diagonal_
		.amdhsa_group_segment_fixed_size 0
		.amdhsa_private_segment_fixed_size 0
		.amdhsa_kernarg_size 328
		.amdhsa_user_sgpr_count 13
		.amdhsa_user_sgpr_dispatch_ptr 0
		.amdhsa_user_sgpr_queue_ptr 0
		.amdhsa_user_sgpr_kernarg_segment_ptr 1
		.amdhsa_user_sgpr_dispatch_id 0
		.amdhsa_user_sgpr_private_segment_size 0
		.amdhsa_wavefront_size32 1
		.amdhsa_uses_dynamic_stack 0
		.amdhsa_enable_private_segment 0
		.amdhsa_system_sgpr_workgroup_id_x 1
		.amdhsa_system_sgpr_workgroup_id_y 1
		.amdhsa_system_sgpr_workgroup_id_z 1
		.amdhsa_system_sgpr_workgroup_info 0
		.amdhsa_system_vgpr_workitem_id 1
		.amdhsa_next_free_vgpr 8
		.amdhsa_next_free_sgpr 16
		.amdhsa_reserve_vcc 1
		.amdhsa_float_round_mode_32 0
		.amdhsa_float_round_mode_16_64 0
		.amdhsa_float_denorm_mode_32 3
		.amdhsa_float_denorm_mode_16_64 3
		.amdhsa_dx10_clamp 1
		.amdhsa_ieee_mode 1
		.amdhsa_fp16_overflow 0
		.amdhsa_workgroup_processor_mode 1
		.amdhsa_memory_ordered 1
		.amdhsa_forward_progress 0
		.amdhsa_shared_vgpr_count 0
		.amdhsa_exception_fp_ieee_invalid_op 0
		.amdhsa_exception_fp_denorm_src 0
		.amdhsa_exception_fp_ieee_div_zero 0
		.amdhsa_exception_fp_ieee_overflow 0
		.amdhsa_exception_fp_ieee_underflow 0
		.amdhsa_exception_fp_ieee_inexact 0
		.amdhsa_exception_int_div_zero 0
	.end_amdhsa_kernel
	.section	.text._ZN9rocsolver6v33100L8copy_matI19rocblas_complex_numIfEPS3_S4_NS0_7no_maskEEEviiT0_iilT1_iilT2_13rocblas_fill_17rocblas_diagonal_,"axG",@progbits,_ZN9rocsolver6v33100L8copy_matI19rocblas_complex_numIfEPS3_S4_NS0_7no_maskEEEviiT0_iilT1_iilT2_13rocblas_fill_17rocblas_diagonal_,comdat
.Lfunc_end106:
	.size	_ZN9rocsolver6v33100L8copy_matI19rocblas_complex_numIfEPS3_S4_NS0_7no_maskEEEviiT0_iilT1_iilT2_13rocblas_fill_17rocblas_diagonal_, .Lfunc_end106-_ZN9rocsolver6v33100L8copy_matI19rocblas_complex_numIfEPS3_S4_NS0_7no_maskEEEviiT0_iilT1_iilT2_13rocblas_fill_17rocblas_diagonal_
                                        ; -- End function
	.section	.AMDGPU.csdata,"",@progbits
; Kernel info:
; codeLenInByte = 540
; NumSgprs: 18
; NumVgprs: 8
; ScratchSize: 0
; MemoryBound: 0
; FloatMode: 240
; IeeeMode: 1
; LDSByteSize: 0 bytes/workgroup (compile time only)
; SGPRBlocks: 2
; VGPRBlocks: 0
; NumSGPRsForWavesPerEU: 18
; NumVGPRsForWavesPerEU: 8
; Occupancy: 16
; WaveLimiterHint : 0
; COMPUTE_PGM_RSRC2:SCRATCH_EN: 0
; COMPUTE_PGM_RSRC2:USER_SGPR: 13
; COMPUTE_PGM_RSRC2:TRAP_HANDLER: 0
; COMPUTE_PGM_RSRC2:TGID_X_EN: 1
; COMPUTE_PGM_RSRC2:TGID_Y_EN: 1
; COMPUTE_PGM_RSRC2:TGID_Z_EN: 1
; COMPUTE_PGM_RSRC2:TIDIG_COMP_CNT: 1
	.section	.text._ZN9rocsolver6v33100L6iota_nI19rocblas_complex_numIdEEEvPT_jS4_,"axG",@progbits,_ZN9rocsolver6v33100L6iota_nI19rocblas_complex_numIdEEEvPT_jS4_,comdat
	.globl	_ZN9rocsolver6v33100L6iota_nI19rocblas_complex_numIdEEEvPT_jS4_ ; -- Begin function _ZN9rocsolver6v33100L6iota_nI19rocblas_complex_numIdEEEvPT_jS4_
	.p2align	8
	.type	_ZN9rocsolver6v33100L6iota_nI19rocblas_complex_numIdEEEvPT_jS4_,@function
_ZN9rocsolver6v33100L6iota_nI19rocblas_complex_numIdEEEvPT_jS4_: ; @_ZN9rocsolver6v33100L6iota_nI19rocblas_complex_numIdEEEvPT_jS4_
; %bb.0:
	s_load_b32 s2, s[0:1], 0x8
	s_waitcnt lgkmcnt(0)
	v_cmp_gt_u32_e32 vcc_lo, s2, v0
	s_and_saveexec_b32 s2, vcc_lo
	s_cbranch_execz .LBB107_2
; %bb.1:
	v_cvt_f64_u32_e32 v[1:2], v0
	s_clause 0x1
	s_load_b128 s[4:7], s[0:1], 0x10
	s_load_b64 s[0:1], s[0:1], 0x0
	v_lshlrev_b32_e32 v0, 4, v0
	s_waitcnt lgkmcnt(0)
	v_add_f64 v[3:4], s[6:7], 0
	s_delay_alu instid0(VALU_DEP_3)
	v_add_f64 v[1:2], s[4:5], v[1:2]
	global_store_b128 v0, v[1:4], s[0:1]
.LBB107_2:
	s_nop 0
	s_sendmsg sendmsg(MSG_DEALLOC_VGPRS)
	s_endpgm
	.section	.rodata,"a",@progbits
	.p2align	6, 0x0
	.amdhsa_kernel _ZN9rocsolver6v33100L6iota_nI19rocblas_complex_numIdEEEvPT_jS4_
		.amdhsa_group_segment_fixed_size 0
		.amdhsa_private_segment_fixed_size 0
		.amdhsa_kernarg_size 32
		.amdhsa_user_sgpr_count 15
		.amdhsa_user_sgpr_dispatch_ptr 0
		.amdhsa_user_sgpr_queue_ptr 0
		.amdhsa_user_sgpr_kernarg_segment_ptr 1
		.amdhsa_user_sgpr_dispatch_id 0
		.amdhsa_user_sgpr_private_segment_size 0
		.amdhsa_wavefront_size32 1
		.amdhsa_uses_dynamic_stack 0
		.amdhsa_enable_private_segment 0
		.amdhsa_system_sgpr_workgroup_id_x 1
		.amdhsa_system_sgpr_workgroup_id_y 0
		.amdhsa_system_sgpr_workgroup_id_z 0
		.amdhsa_system_sgpr_workgroup_info 0
		.amdhsa_system_vgpr_workitem_id 0
		.amdhsa_next_free_vgpr 5
		.amdhsa_next_free_sgpr 8
		.amdhsa_reserve_vcc 1
		.amdhsa_float_round_mode_32 0
		.amdhsa_float_round_mode_16_64 0
		.amdhsa_float_denorm_mode_32 3
		.amdhsa_float_denorm_mode_16_64 3
		.amdhsa_dx10_clamp 1
		.amdhsa_ieee_mode 1
		.amdhsa_fp16_overflow 0
		.amdhsa_workgroup_processor_mode 1
		.amdhsa_memory_ordered 1
		.amdhsa_forward_progress 0
		.amdhsa_shared_vgpr_count 0
		.amdhsa_exception_fp_ieee_invalid_op 0
		.amdhsa_exception_fp_denorm_src 0
		.amdhsa_exception_fp_ieee_div_zero 0
		.amdhsa_exception_fp_ieee_overflow 0
		.amdhsa_exception_fp_ieee_underflow 0
		.amdhsa_exception_fp_ieee_inexact 0
		.amdhsa_exception_int_div_zero 0
	.end_amdhsa_kernel
	.section	.text._ZN9rocsolver6v33100L6iota_nI19rocblas_complex_numIdEEEvPT_jS4_,"axG",@progbits,_ZN9rocsolver6v33100L6iota_nI19rocblas_complex_numIdEEEvPT_jS4_,comdat
.Lfunc_end107:
	.size	_ZN9rocsolver6v33100L6iota_nI19rocblas_complex_numIdEEEvPT_jS4_, .Lfunc_end107-_ZN9rocsolver6v33100L6iota_nI19rocblas_complex_numIdEEEvPT_jS4_
                                        ; -- End function
	.section	.AMDGPU.csdata,"",@progbits
; Kernel info:
; codeLenInByte = 96
; NumSgprs: 10
; NumVgprs: 5
; ScratchSize: 0
; MemoryBound: 0
; FloatMode: 240
; IeeeMode: 1
; LDSByteSize: 0 bytes/workgroup (compile time only)
; SGPRBlocks: 1
; VGPRBlocks: 0
; NumSGPRsForWavesPerEU: 10
; NumVGPRsForWavesPerEU: 5
; Occupancy: 16
; WaveLimiterHint : 0
; COMPUTE_PGM_RSRC2:SCRATCH_EN: 0
; COMPUTE_PGM_RSRC2:USER_SGPR: 15
; COMPUTE_PGM_RSRC2:TRAP_HANDLER: 0
; COMPUTE_PGM_RSRC2:TGID_X_EN: 1
; COMPUTE_PGM_RSRC2:TGID_Y_EN: 0
; COMPUTE_PGM_RSRC2:TGID_Z_EN: 0
; COMPUTE_PGM_RSRC2:TIDIG_COMP_CNT: 0
	.section	.text._ZN9rocsolver6v33100L18geqr2_kernel_smallILi256E19rocblas_complex_numIdEidPS3_EEvT1_S5_T3_lS5_lPT2_lPT0_l,"axG",@progbits,_ZN9rocsolver6v33100L18geqr2_kernel_smallILi256E19rocblas_complex_numIdEidPS3_EEvT1_S5_T3_lS5_lPT2_lPT0_l,comdat
	.globl	_ZN9rocsolver6v33100L18geqr2_kernel_smallILi256E19rocblas_complex_numIdEidPS3_EEvT1_S5_T3_lS5_lPT2_lPT0_l ; -- Begin function _ZN9rocsolver6v33100L18geqr2_kernel_smallILi256E19rocblas_complex_numIdEidPS3_EEvT1_S5_T3_lS5_lPT2_lPT0_l
	.p2align	8
	.type	_ZN9rocsolver6v33100L18geqr2_kernel_smallILi256E19rocblas_complex_numIdEidPS3_EEvT1_S5_T3_lS5_lPT2_lPT0_l,@function
_ZN9rocsolver6v33100L18geqr2_kernel_smallILi256E19rocblas_complex_numIdEidPS3_EEvT1_S5_T3_lS5_lPT2_lPT0_l: ; @_ZN9rocsolver6v33100L18geqr2_kernel_smallILi256E19rocblas_complex_numIdEidPS3_EEvT1_S5_T3_lS5_lPT2_lPT0_l
; %bb.0:
	s_clause 0x4
	s_load_b256 s[4:11], s[0:1], 0x20
	s_load_b64 s[12:13], s[0:1], 0x0
	s_load_b128 s[20:23], s[0:1], 0x8
	s_load_b32 s18, s[0:1], 0x18
	s_load_b64 s[2:3], s[0:1], 0x40
	s_ashr_i32 s14, s15, 31
	v_and_b32_e32 v5, 0x7f, v0
	v_lshrrev_b32_e32 v15, 7, v0
	s_delay_alu instid0(VALU_DEP_2)
	v_lshlrev_b32_e32 v16, 4, v5
	s_waitcnt lgkmcnt(0)
	s_mul_i32 s0, s15, s5
	s_mul_hi_u32 s1, s15, s4
	s_mul_i32 s5, s14, s4
	s_add_i32 s1, s1, s0
	s_mul_i32 s0, s15, s4
	s_add_i32 s1, s1, s5
	s_delay_alu instid0(SALU_CYCLE_1) | instskip(SKIP_4) | instid1(SALU_CYCLE_1)
	s_lshl_b64 s[4:5], s[0:1], 4
	v_cmp_gt_i32_e64 s0, s12, v5
	s_add_u32 s1, s20, s4
	s_addc_u32 s17, s21, s5
	s_lshl_b64 s[4:5], s[22:23], 4
	s_add_u32 s16, s1, s4
	s_addc_u32 s17, s17, s5
	s_and_saveexec_b32 s4, s0
	s_cbranch_execz .LBB108_6
; %bb.1:
	v_lshrrev_b32_e32 v4, 7, v0
	v_mov_b32_e32 v7, v5
	s_mov_b32 s5, 0
	s_lshl_b32 s19, s12, 5
	s_lshl_b32 s20, s18, 1
	v_mul_lo_u32 v1, s12, v4
	v_cmp_gt_i32_e32 vcc_lo, s13, v4
	s_delay_alu instid0(VALU_DEP_2) | instskip(SKIP_1) | instid1(VALU_DEP_2)
	v_lshlrev_b32_e32 v3, 4, v1
	v_mad_u64_u32 v[1:2], null, s18, v4, v[5:6]
	v_add3_u32 v6, v3, v16, 0
	s_set_inst_prefetch_distance 0x1
	s_branch .LBB108_3
	.p2align	6
.LBB108_2:                              ;   in Loop: Header=BB108_3 Depth=1
	s_or_b32 exec_lo, exec_lo, s21
	v_add_nc_u32_e32 v7, 0x80, v7
	v_add_nc_u32_e32 v6, 0x800, v6
	v_add_nc_u32_e32 v1, 0x80, v1
	s_delay_alu instid0(VALU_DEP_3) | instskip(NEXT) | instid1(VALU_DEP_1)
	v_cmp_le_i32_e64 s1, s12, v7
	s_or_b32 s5, s1, s5
	s_delay_alu instid0(SALU_CYCLE_1)
	s_and_not1_b32 exec_lo, exec_lo, s5
	s_cbranch_execz .LBB108_6
.LBB108_3:                              ; =>This Loop Header: Depth=1
                                        ;     Child Loop BB108_5 Depth 2
	s_and_saveexec_b32 s21, vcc_lo
	s_cbranch_execz .LBB108_2
; %bb.4:                                ;   in Loop: Header=BB108_3 Depth=1
	s_delay_alu instid0(VALU_DEP_2)
	v_dual_mov_b32 v2, v1 :: v_dual_mov_b32 v9, v4
	v_mov_b32_e32 v8, v6
	s_mov_b32 s22, 0
	.p2align	6
.LBB108_5:                              ;   Parent Loop BB108_3 Depth=1
                                        ; =>  This Inner Loop Header: Depth=2
	s_delay_alu instid0(VALU_DEP_2) | instskip(NEXT) | instid1(VALU_DEP_3)
	v_ashrrev_i32_e32 v3, 31, v2
	v_add_nc_u32_e32 v9, 2, v9
	s_delay_alu instid0(VALU_DEP_2) | instskip(SKIP_1) | instid1(VALU_DEP_2)
	v_lshlrev_b64 v[10:11], 4, v[2:3]
	v_add_nc_u32_e32 v2, s20, v2
	v_add_co_u32 v10, s1, s16, v10
	s_delay_alu instid0(VALU_DEP_1)
	v_add_co_ci_u32_e64 v11, s1, s17, v11, s1
	v_cmp_le_i32_e64 s1, s13, v9
	global_load_b128 v[10:13], v[10:11], off
	s_or_b32 s22, s1, s22
	s_waitcnt vmcnt(0)
	ds_store_2addr_b64 v8, v[10:11], v[12:13] offset1:1
	v_add_nc_u32_e32 v8, s19, v8
	s_and_not1_b32 exec_lo, exec_lo, s22
	s_cbranch_execnz .LBB108_5
	s_branch .LBB108_2
.LBB108_6:
	s_set_inst_prefetch_distance 0x2
	s_or_b32 exec_lo, exec_lo, s4
	s_min_i32 s19, s13, s12
	s_waitcnt lgkmcnt(0)
	s_cmp_lt_i32 s19, 1
	s_barrier
	buffer_gl0_inv
	s_cbranch_scc1 .LBB108_43
; %bb.7:
	v_mbcnt_lo_u32_b32 v1, -1, 0
	s_mul_i32 s1, s15, s9
	s_mul_hi_u32 s4, s15, s8
	s_mul_i32 s5, s14, s8
	s_add_i32 s1, s4, s1
	v_cmp_ne_u32_e32 vcc_lo, 31, v1
	s_mul_i32 s4, s15, s8
	s_add_i32 s5, s1, s5
	s_mul_i32 s1, s15, s3
	s_lshl_b64 s[4:5], s[4:5], 3
	v_add_co_ci_u32_e32 v2, vcc_lo, 0, v1, vcc_lo
	v_cmp_gt_u32_e32 vcc_lo, 30, v1
	s_mul_hi_u32 s3, s15, s2
	s_add_u32 s20, s6, s4
	s_addc_u32 s21, s7, s5
	s_add_i32 s1, s3, s1
	v_cndmask_b32_e64 v3, 0, 1, vcc_lo
	v_cmp_gt_u32_e32 vcc_lo, 28, v1
	s_mul_i32 s3, s14, s2
	s_mul_i32 s2, s15, s2
	s_add_i32 s3, s1, s3
	s_mul_i32 s1, s13, s12
	v_cndmask_b32_e64 v4, 0, 1, vcc_lo
	v_cmp_gt_u32_e32 vcc_lo, 24, v1
	s_lshl_b64 s[2:3], s[2:3], 4
	v_lshlrev_b32_e32 v17, 2, v2
	v_lshlrev_b32_e32 v2, 1, v3
	;; [unrolled: 1-line block ×3, first 2 shown]
	v_cndmask_b32_e64 v6, 0, 1, vcc_lo
	v_cmp_gt_u32_e32 vcc_lo, 16, v1
	s_add_u32 s22, s10, s2
	s_addc_u32 s23, s11, s3
	s_lshl_b32 s1, s1, 4
	v_lshlrev_b32_e32 v4, 3, v6
	v_cndmask_b32_e64 v7, 0, 1, vcc_lo
	s_add_i32 s24, s1, 0
	s_lshl_b32 s1, s13, 4
	v_add_lshl_u32 v18, v2, v1, 2
	v_add_lshl_u32 v19, v3, v1, 2
	v_lshlrev_b32_e32 v6, 4, v7
	v_add_lshl_u32 v20, v4, v1, 2
	s_add_i32 s25, s24, s1
	s_cmp_eq_u64 s[6:7], 0
	v_and_b32_e32 v7, 31, v0
	v_add_lshl_u32 v21, v6, v1, 2
	v_mov_b32_e32 v6, 0
	v_mad_u64_u32 v[1:2], null, s12, v0, s[12:13]
	v_lshrrev_b32_e32 v3, 1, v0
	v_lshlrev_b32_e32 v2, 4, v0
	s_cselect_b32 s26, -1, 0
	s_cmp_lg_u64 s[6:7], 0
	v_cmp_eq_u32_e64 s1, 0, v7
	s_cselect_b32 s27, -1, 0
	s_lshl_b32 s28, s12, 4
	v_cmp_eq_u32_e64 s2, 0, v0
	v_add3_u32 v22, v2, 0, 16
	v_lshl_add_u32 v23, v1, 4, 0
	v_add3_u32 v24, 0, s28, v2
	v_add_nc_u32_e32 v25, s25, v3
	s_mov_b32 s9, 0
	s_add_i32 s29, s28, 16
	s_lshl_b32 s30, s12, 12
	s_mov_b32 s31, 0
	s_mov_b32 s8, s9
	s_branch .LBB108_9
.LBB108_8:                              ;   in Loop: Header=BB108_9 Depth=1
	s_set_inst_prefetch_distance 0x2
	s_or_b32 exec_lo, exec_lo, s4
	v_add_nc_u32_e32 v22, s29, v22
	v_add_nc_u32_e32 v23, s29, v23
	;; [unrolled: 1-line block ×3, first 2 shown]
	s_add_i32 s8, s8, 1
	s_add_i32 s31, s31, s29
	s_cmp_eq_u32 s8, s19
	s_waitcnt lgkmcnt(0)
	s_barrier
	buffer_gl0_inv
	s_cbranch_scc1 .LBB108_43
.LBB108_9:                              ; =>This Loop Header: Depth=1
                                        ;     Child Loop BB108_11 Depth 2
                                        ;     Child Loop BB108_30 Depth 2
	;; [unrolled: 1-line block ×3, first 2 shown]
                                        ;       Child Loop BB108_36 Depth 3
                                        ;     Child Loop BB108_40 Depth 2
                                        ;       Child Loop BB108_42 Depth 3
	v_mov_b32_e32 v1, 0
	v_mov_b32_e32 v2, 0
	s_sub_i32 s33, s12, s8
	s_delay_alu instid0(SALU_CYCLE_1) | instskip(NEXT) | instid1(SALU_CYCLE_1)
	s_add_i32 s35, s33, -1
	v_cmp_gt_i32_e64 s3, s35, v0
	s_delay_alu instid0(VALU_DEP_2) | instskip(NEXT) | instid1(VALU_DEP_2)
	v_dual_mov_b32 v4, v2 :: v_dual_mov_b32 v3, v1
	s_and_saveexec_b32 s4, s3
	s_cbranch_execz .LBB108_13
; %bb.10:                               ;   in Loop: Header=BB108_9 Depth=1
	v_dual_mov_b32 v1, 0 :: v_dual_mov_b32 v8, v0
	v_dual_mov_b32 v2, 0 :: v_dual_mov_b32 v7, v22
	s_mov_b32 s5, 0
	s_delay_alu instid0(VALU_DEP_1)
	v_dual_mov_b32 v4, v2 :: v_dual_mov_b32 v3, v1
	.p2align	6
.LBB108_11:                             ;   Parent Loop BB108_9 Depth=1
                                        ; =>  This Inner Loop Header: Depth=2
	ds_load_2addr_b64 v[9:12], v7 offset1:1
	v_add_nc_u32_e32 v8, 0x100, v8
	v_add_nc_u32_e32 v7, 0x1000, v7
	s_delay_alu instid0(VALU_DEP_2) | instskip(SKIP_4) | instid1(VALU_DEP_2)
	v_cmp_le_i32_e32 vcc_lo, s35, v8
	s_or_b32 s5, vcc_lo, s5
	s_waitcnt lgkmcnt(0)
	v_mul_f64 v[13:14], v[11:12], v[11:12]
	v_mul_f64 v[26:27], v[9:10], v[11:12]
	v_fma_f64 v[13:14], v[9:10], v[9:10], v[13:14]
	s_delay_alu instid0(VALU_DEP_2) | instskip(NEXT) | instid1(VALU_DEP_2)
	v_fma_f64 v[9:10], v[9:10], v[11:12], -v[26:27]
	v_add_f64 v[3:4], v[3:4], v[13:14]
	s_delay_alu instid0(VALU_DEP_2)
	v_add_f64 v[1:2], v[1:2], v[9:10]
	s_and_not1_b32 exec_lo, exec_lo, s5
	s_cbranch_execnz .LBB108_11
; %bb.12:                               ;   in Loop: Header=BB108_9 Depth=1
	s_or_b32 exec_lo, exec_lo, s5
.LBB108_13:                             ;   in Loop: Header=BB108_9 Depth=1
	s_delay_alu instid0(SALU_CYCLE_1)
	s_or_b32 exec_lo, exec_lo, s4
	ds_bpermute_b32 v7, v17, v3
	ds_bpermute_b32 v8, v17, v4
	s_waitcnt lgkmcnt(0)
	v_add_f64 v[3:4], v[3:4], v[7:8]
	ds_bpermute_b32 v7, v17, v1
	ds_bpermute_b32 v8, v17, v2
	s_waitcnt lgkmcnt(0)
	v_add_f64 v[1:2], v[1:2], v[7:8]
	;; [unrolled: 4-line block ×9, first 2 shown]
	ds_bpermute_b32 v7, v21, v3
	ds_bpermute_b32 v8, v21, v4
	s_and_saveexec_b32 s4, s1
	s_cbranch_execz .LBB108_15
; %bb.14:                               ;   in Loop: Header=BB108_9 Depth=1
	s_waitcnt lgkmcnt(0)
	v_add_f64 v[3:4], v[3:4], v[7:8]
	ds_store_2addr_b64 v25, v[1:2], v[3:4] offset0:2 offset1:3
.LBB108_15:                             ;   in Loop: Header=BB108_9 Depth=1
	s_or_b32 exec_lo, exec_lo, s4
	s_lshl_b32 s4, s8, 4
	s_mul_i32 s5, s8, s12
	s_add_i32 s34, s4, 0
	s_lshl_b32 s4, s5, 4
	s_waitcnt lgkmcnt(0)
	s_add_i32 s34, s34, s4
	s_barrier
	buffer_gl0_inv
	s_and_saveexec_b32 s36, s2
	s_cbranch_execz .LBB108_28
; %bb.16:                               ;   in Loop: Header=BB108_9 Depth=1
	v_mov_b32_e32 v11, s25
	s_mov_b32 s39, 0
	s_mov_b32 s37, 0
	s_mov_b32 s38, exec_lo
                                        ; implicit-def: $sgpr10_sgpr11
                                        ; implicit-def: $sgpr14_sgpr15
                                        ; implicit-def: $sgpr4_sgpr5
                                        ; implicit-def: $sgpr6_sgpr7
	ds_load_2addr_b64 v[7:10], v11 offset0:4 offset1:6
	s_waitcnt lgkmcnt(0)
	v_add_f64 v[1:2], v[1:2], v[7:8]
	s_delay_alu instid0(VALU_DEP_1) | instskip(SKIP_3) | instid1(VALU_DEP_1)
	v_add_f64 v[7:8], v[1:2], v[9:10]
	ds_load_2addr_b64 v[1:4], v11 offset0:8 offset1:10
	s_waitcnt lgkmcnt(0)
	v_add_f64 v[1:2], v[7:8], v[1:2]
	v_add_f64 v[7:8], v[1:2], v[3:4]
	ds_load_2addr_b64 v[1:4], v11 offset0:12 offset1:14
	s_waitcnt lgkmcnt(0)
	v_add_f64 v[1:2], v[7:8], v[1:2]
	v_mov_b32_e32 v7, s34
	s_delay_alu instid0(VALU_DEP_2)
	v_add_f64 v[1:2], v[1:2], v[3:4]
	ds_load_b64 v[3:4], v11 offset:128
	ds_load_b64 v[7:8], v7 offset:8
	s_waitcnt lgkmcnt(0)
	v_mul_f64 v[11:12], v[7:8], v[7:8]
	v_add_f64 v[13:14], v[1:2], v[3:4]
	s_delay_alu instid0(VALU_DEP_1) | instskip(NEXT) | instid1(VALU_DEP_1)
	v_max_f64 v[1:2], v[13:14], v[11:12]
	v_cmpx_nlt_f64_e32 0, v[1:2]
	s_xor_b32 s38, exec_lo, s38
                                        ; implicit-def: $vgpr1_vgpr2_vgpr3_vgpr4
	s_cbranch_execz .LBB108_21
; %bb.17:                               ;   in Loop: Header=BB108_9 Depth=1
	s_mov_b32 s4, s9
	s_mov_b32 s6, s9
	;; [unrolled: 1-line block ×4, first 2 shown]
	v_mov_b32_e32 v1, s4
	v_dual_mov_b32 v3, s6 :: v_dual_mov_b32 v4, s7
	v_dual_mov_b32 v7, s25 :: v_dual_mov_b32 v2, s5
	s_and_b32 vcc_lo, exec_lo, s27
	ds_store_2addr_b64 v7, v[1:2], v[3:4] offset1:1
	s_cbranch_vccz .LBB108_19
; %bb.18:                               ;   in Loop: Header=BB108_9 Depth=1
	v_mov_b32_e32 v1, s34
	s_mov_b32 s37, -1
	s_mov_b64 s[6:7], 1.0
	s_mov_b64 s[4:5], 0
	ds_load_b64 v[1:2], v1
	s_branch .LBB108_20
.LBB108_19:                             ;   in Loop: Header=BB108_9 Depth=1
                                        ; implicit-def: $sgpr4_sgpr5
                                        ; implicit-def: $sgpr6_sgpr7
                                        ; implicit-def: $vgpr1_vgpr2_vgpr3_vgpr4
.LBB108_20:                             ;   in Loop: Header=BB108_9 Depth=1
	s_mov_b64 s[14:15], 0
	s_mov_b64 s[10:11], 1.0
	s_and_b32 s37, s37, exec_lo
                                        ; implicit-def: $vgpr11_vgpr12
                                        ; implicit-def: $vgpr13_vgpr14
                                        ; implicit-def: $vgpr7_vgpr8
.LBB108_21:                             ;   in Loop: Header=BB108_9 Depth=1
	s_or_saveexec_b32 s38, s38
	v_dual_mov_b32 v10, s5 :: v_dual_mov_b32 v9, s4
	v_dual_mov_b32 v3, s6 :: v_dual_mov_b32 v4, s7
	s_xor_b32 exec_lo, exec_lo, s38
	s_cbranch_execz .LBB108_23
; %bb.22:                               ;   in Loop: Header=BB108_9 Depth=1
	s_waitcnt lgkmcnt(0)
	v_mov_b32_e32 v1, s34
	s_and_b32 s39, s26, exec_lo
	ds_load_b64 v[3:4], v1
	s_waitcnt lgkmcnt(0)
	v_fma_f64 v[1:2], v[3:4], v[3:4], v[11:12]
	s_delay_alu instid0(VALU_DEP_1) | instskip(NEXT) | instid1(VALU_DEP_1)
	v_add_f64 v[1:2], v[13:14], v[1:2]
	v_cmp_gt_f64_e32 vcc_lo, 0x10000000, v[1:2]
	v_cndmask_b32_e64 v9, 0, 1, vcc_lo
	s_delay_alu instid0(VALU_DEP_1) | instskip(NEXT) | instid1(VALU_DEP_1)
	v_lshlrev_b32_e32 v9, 8, v9
	v_ldexp_f64 v[1:2], v[1:2], v9
	s_delay_alu instid0(VALU_DEP_1) | instskip(SKIP_3) | instid1(VALU_DEP_1)
	v_rsq_f64_e32 v[9:10], v[1:2]
	s_waitcnt_depctr 0xfff
	v_mul_f64 v[13:14], v[1:2], v[9:10]
	v_mul_f64 v[9:10], v[9:10], 0.5
	v_fma_f64 v[26:27], -v[9:10], v[13:14], 0.5
	s_delay_alu instid0(VALU_DEP_1) | instskip(SKIP_1) | instid1(VALU_DEP_2)
	v_fma_f64 v[13:14], v[13:14], v[26:27], v[13:14]
	v_fma_f64 v[9:10], v[9:10], v[26:27], v[9:10]
	v_fma_f64 v[26:27], -v[13:14], v[13:14], v[1:2]
	s_delay_alu instid0(VALU_DEP_1) | instskip(NEXT) | instid1(VALU_DEP_1)
	v_fma_f64 v[13:14], v[26:27], v[9:10], v[13:14]
	v_fma_f64 v[26:27], -v[13:14], v[13:14], v[1:2]
	s_delay_alu instid0(VALU_DEP_1) | instskip(SKIP_2) | instid1(VALU_DEP_2)
	v_fma_f64 v[9:10], v[26:27], v[9:10], v[13:14]
	v_cndmask_b32_e64 v13, 0, 0xffffff80, vcc_lo
	v_cmp_class_f64_e64 vcc_lo, v[1:2], 0x260
	v_ldexp_f64 v[9:10], v[9:10], v13
	s_delay_alu instid0(VALU_DEP_1) | instskip(SKIP_1) | instid1(VALU_DEP_2)
	v_dual_cndmask_b32 v2, v10, v2 :: v_dual_cndmask_b32 v1, v9, v1
	v_cmp_le_f64_e32 vcc_lo, 0, v[3:4]
	v_xor_b32_e32 v9, 0x80000000, v2
	s_delay_alu instid0(VALU_DEP_1) | instskip(NEXT) | instid1(VALU_DEP_1)
	v_cndmask_b32_e32 v2, v2, v9, vcc_lo
	v_add_f64 v[9:10], v[3:4], -v[1:2]
	v_add_f64 v[13:14], v[1:2], -v[3:4]
	v_div_scale_f64 v[30:31], null, v[1:2], v[1:2], -v[7:8]
	s_delay_alu instid0(VALU_DEP_3) | instskip(NEXT) | instid1(VALU_DEP_3)
	v_fma_f64 v[11:12], v[9:10], v[9:10], v[11:12]
	v_div_scale_f64 v[28:29], null, v[1:2], v[1:2], v[13:14]
	s_delay_alu instid0(VALU_DEP_3) | instskip(NEXT) | instid1(VALU_DEP_2)
	v_rcp_f64_e32 v[38:39], v[30:31]
	v_div_scale_f64 v[3:4], null, v[11:12], v[11:12], v[9:10]
	v_div_scale_f64 v[26:27], null, v[11:12], v[11:12], -v[7:8]
	s_delay_alu instid0(VALU_DEP_3)
	v_rcp_f64_e32 v[36:37], v[28:29]
	s_waitcnt_depctr 0xfff
	v_fma_f64 v[46:47], -v[30:31], v[38:39], 1.0
	v_div_scale_f64 v[48:49], vcc_lo, v[9:10], v[11:12], v[9:10]
	v_rcp_f64_e32 v[32:33], v[3:4]
	v_rcp_f64_e32 v[34:35], v[26:27]
	s_delay_alu instid0(VALU_DEP_2)
	v_fma_f64 v[38:39], v[38:39], v[46:47], v[38:39]
	v_fma_f64 v[44:45], -v[28:29], v[36:37], 1.0
	s_waitcnt_depctr 0xfff
	v_fma_f64 v[40:41], -v[3:4], v[32:33], 1.0
	v_fma_f64 v[42:43], -v[26:27], v[34:35], 1.0
	;; [unrolled: 1-line block ×3, first 2 shown]
	v_fma_f64 v[36:37], v[36:37], v[44:45], v[36:37]
	s_delay_alu instid0(VALU_DEP_4) | instskip(NEXT) | instid1(VALU_DEP_4)
	v_fma_f64 v[32:33], v[32:33], v[40:41], v[32:33]
	v_fma_f64 v[34:35], v[34:35], v[42:43], v[34:35]
	s_delay_alu instid0(VALU_DEP_4) | instskip(NEXT) | instid1(VALU_DEP_4)
	v_fma_f64 v[38:39], v[38:39], v[46:47], v[38:39]
	v_fma_f64 v[44:45], -v[28:29], v[36:37], 1.0
	s_delay_alu instid0(VALU_DEP_4) | instskip(NEXT) | instid1(VALU_DEP_4)
	v_fma_f64 v[40:41], -v[3:4], v[32:33], 1.0
	v_fma_f64 v[42:43], -v[26:27], v[34:35], 1.0
	s_delay_alu instid0(VALU_DEP_3) | instskip(SKIP_1) | instid1(VALU_DEP_4)
	v_fma_f64 v[36:37], v[36:37], v[44:45], v[36:37]
	v_div_scale_f64 v[44:45], s6, -v[7:8], v[1:2], -v[7:8]
	v_fma_f64 v[32:33], v[32:33], v[40:41], v[32:33]
	v_div_scale_f64 v[40:41], s4, -v[7:8], v[11:12], -v[7:8]
	v_fma_f64 v[34:35], v[34:35], v[42:43], v[34:35]
	v_div_scale_f64 v[42:43], s5, v[13:14], v[1:2], v[13:14]
	v_mul_f64 v[54:55], v[44:45], v[38:39]
	v_mul_f64 v[46:47], v[48:49], v[32:33]
	s_delay_alu instid0(VALU_DEP_4) | instskip(NEXT) | instid1(VALU_DEP_4)
	v_mul_f64 v[50:51], v[40:41], v[34:35]
	v_mul_f64 v[52:53], v[42:43], v[36:37]
	s_delay_alu instid0(VALU_DEP_4) | instskip(NEXT) | instid1(VALU_DEP_4)
	v_fma_f64 v[30:31], -v[30:31], v[54:55], v[44:45]
	v_fma_f64 v[3:4], -v[3:4], v[46:47], v[48:49]
	s_delay_alu instid0(VALU_DEP_4) | instskip(NEXT) | instid1(VALU_DEP_4)
	v_fma_f64 v[26:27], -v[26:27], v[50:51], v[40:41]
	v_fma_f64 v[28:29], -v[28:29], v[52:53], v[42:43]
	s_delay_alu instid0(VALU_DEP_3) | instskip(SKIP_2) | instid1(VALU_DEP_3)
	v_div_fmas_f64 v[3:4], v[3:4], v[32:33], v[46:47]
	s_mov_b32 vcc_lo, s4
	s_and_not1_b32 s4, s37, exec_lo
	v_div_fmas_f64 v[26:27], v[26:27], v[34:35], v[50:51]
	s_mov_b32 vcc_lo, s5
	s_and_b32 s5, s27, exec_lo
	s_delay_alu instid0(VALU_DEP_3) | instskip(SKIP_3) | instid1(VALU_DEP_4)
	v_div_fmas_f64 v[28:29], v[28:29], v[36:37], v[52:53]
	s_mov_b32 vcc_lo, s6
	s_or_b32 s37, s4, s5
	v_div_fmas_f64 v[30:31], v[30:31], v[38:39], v[54:55]
	v_div_fixup_f64 v[3:4], v[3:4], v[11:12], v[9:10]
	s_delay_alu instid0(VALU_DEP_4) | instskip(NEXT) | instid1(VALU_DEP_4)
	v_div_fixup_f64 v[9:10], v[26:27], v[11:12], -v[7:8]
	v_div_fixup_f64 v[13:14], v[28:29], v[1:2], v[13:14]
	s_delay_alu instid0(VALU_DEP_4)
	v_div_fixup_f64 v[28:29], v[30:31], v[1:2], -v[7:8]
	v_mov_b32_e32 v7, s25
	ds_store_2addr_b64 v7, v[13:14], v[28:29] offset1:1
.LBB108_23:                             ;   in Loop: Header=BB108_9 Depth=1
	s_or_b32 exec_lo, exec_lo, s38
	s_and_saveexec_b32 s4, s37
	s_cbranch_execz .LBB108_25
; %bb.24:                               ;   in Loop: Header=BB108_9 Depth=1
	s_lshl_b64 s[6:7], s[8:9], 3
	s_delay_alu instid0(SALU_CYCLE_1)
	s_add_u32 s6, s20, s6
	s_addc_u32 s7, s21, s7
	s_or_b32 s39, s39, exec_lo
	s_waitcnt lgkmcnt(0)
	global_store_b64 v6, v[1:2], s[6:7]
	v_mov_b32_e32 v1, 0
	v_mov_b32_e32 v2, 0x3ff00000
.LBB108_25:                             ;   in Loop: Header=BB108_9 Depth=1
	s_or_b32 exec_lo, exec_lo, s4
	v_dual_mov_b32 v7, s14 :: v_dual_mov_b32 v8, s15
	v_dual_mov_b32 v12, s11 :: v_dual_mov_b32 v11, s10
	;; [unrolled: 1-line block ×3, first 2 shown]
	s_and_saveexec_b32 s4, s39
	s_cbranch_execz .LBB108_27
; %bb.26:                               ;   in Loop: Header=BB108_9 Depth=1
	v_dual_mov_b32 v7, v6 :: v_dual_mov_b32 v8, s34
	v_dual_mov_b32 v11, s25 :: v_dual_mov_b32 v14, v10
	v_mov_b32_e32 v13, v9
	s_waitcnt lgkmcnt(0)
	ds_store_2addr_b64 v8, v[1:2], v[6:7] offset1:1
	ds_load_b64 v[7:8], v11 offset:8
	v_dual_mov_b32 v12, v4 :: v_dual_mov_b32 v11, v3
.LBB108_27:                             ;   in Loop: Header=BB108_9 Depth=1
	s_or_b32 exec_lo, exec_lo, s4
	v_mov_b32_e32 v9, s25
	s_lshl_b64 s[4:5], s[8:9], 4
	s_waitcnt lgkmcnt(0)
	v_xor_b32_e32 v8, 0x80000000, v8
	s_add_u32 s4, s22, s4
	s_addc_u32 s5, s23, s5
	ds_load_2addr_b64 v[1:4], v9 offset1:1
	s_waitcnt lgkmcnt(0)
	global_store_b128 v6, v[1:4], s[4:5]
	ds_store_b64 v9, v[13:14] offset:24
	ds_store_2addr_b64 v9, v[7:8], v[11:12] offset0:1 offset1:2
.LBB108_28:                             ;   in Loop: Header=BB108_9 Depth=1
	s_or_b32 exec_lo, exec_lo, s36
	s_waitcnt lgkmcnt(0)
	s_waitcnt_vscnt null, 0x0
	s_barrier
	buffer_gl0_inv
	s_and_saveexec_b32 s4, s3
	s_cbranch_execz .LBB108_31
; %bb.29:                               ;   in Loop: Header=BB108_9 Depth=1
	v_mov_b32_e32 v1, v0
	s_mov_b32 s3, 0
	s_mov_b32 s5, 0
	.p2align	6
.LBB108_30:                             ;   Parent Loop BB108_9 Depth=1
                                        ; =>  This Inner Loop Header: Depth=2
	s_delay_alu instid0(VALU_DEP_1)
	v_dual_mov_b32 v2, s25 :: v_dual_add_nc_u32 v1, 0x100, v1
	v_add_nc_u32_e32 v4, s5, v22
	s_addk_i32 s5, 0x1000
	ds_load_2addr_b64 v[7:10], v2 offset0:2 offset1:3
	ds_load_2addr_b64 v[11:14], v4 offset1:1
	v_cmp_le_i32_e32 vcc_lo, s35, v1
	s_or_b32 s3, vcc_lo, s3
	s_waitcnt lgkmcnt(0)
	v_mul_f64 v[2:3], v[9:10], v[13:14]
	v_mul_f64 v[13:14], v[7:8], v[13:14]
	s_delay_alu instid0(VALU_DEP_2) | instskip(NEXT) | instid1(VALU_DEP_2)
	v_fma_f64 v[2:3], v[7:8], v[11:12], -v[2:3]
	v_fma_f64 v[7:8], v[9:10], v[11:12], v[13:14]
	ds_store_2addr_b64 v4, v[2:3], v[7:8] offset1:1
	s_and_not1_b32 exec_lo, exec_lo, s3
	s_cbranch_execnz .LBB108_30
.LBB108_31:                             ;   in Loop: Header=BB108_9 Depth=1
	s_or_b32 exec_lo, exec_lo, s4
	s_not_b32 s3, s8
	s_mov_b32 s4, exec_lo
	s_add_i32 s3, s3, s13
	s_waitcnt lgkmcnt(0)
	s_barrier
	buffer_gl0_inv
	v_cmpx_gt_i32_e64 s3, v0
	s_cbranch_execz .LBB108_37
; %bb.32:                               ;   in Loop: Header=BB108_9 Depth=1
	v_dual_mov_b32 v7, v23 :: v_dual_mov_b32 v8, v0
	s_cmp_gt_i32 s33, 0
	s_mov_b32 s5, 0
	s_cselect_b32 s6, -1, 0
	s_branch .LBB108_34
.LBB108_33:                             ;   in Loop: Header=BB108_34 Depth=2
	v_mov_b32_e32 v9, s25
	v_add_nc_u32_e32 v7, s30, v7
	ds_load_2addr_b64 v[9:12], v9 offset1:1
	s_waitcnt lgkmcnt(0)
	v_mul_f64 v[13:14], v[1:2], v[11:12]
	v_mul_f64 v[11:12], v[3:4], v[11:12]
	s_delay_alu instid0(VALU_DEP_2) | instskip(NEXT) | instid1(VALU_DEP_2)
	v_fma_f64 v[3:4], v[3:4], v[9:10], -v[13:14]
	v_fma_f64 v[1:2], v[1:2], v[9:10], v[11:12]
	v_lshl_add_u32 v9, v8, 4, s24
	v_add_nc_u32_e32 v8, 0x100, v8
	s_delay_alu instid0(VALU_DEP_1)
	v_cmp_le_i32_e32 vcc_lo, s3, v8
	s_or_b32 s5, vcc_lo, s5
	ds_store_2addr_b64 v9, v[3:4], v[1:2] offset1:1
	s_and_not1_b32 exec_lo, exec_lo, s5
	s_cbranch_execz .LBB108_37
.LBB108_34:                             ;   Parent Loop BB108_9 Depth=1
                                        ; =>  This Loop Header: Depth=2
                                        ;       Child Loop BB108_36 Depth 3
	v_mov_b32_e32 v1, 0
	v_mov_b32_e32 v2, 0
	s_and_not1_b32 vcc_lo, exec_lo, s6
	s_delay_alu instid0(VALU_DEP_1)
	v_dual_mov_b32 v4, v2 :: v_dual_mov_b32 v3, v1
	s_cbranch_vccnz .LBB108_33
; %bb.35:                               ;   in Loop: Header=BB108_34 Depth=2
	v_mov_b32_e32 v1, 0
	v_dual_mov_b32 v2, 0 :: v_dual_mov_b32 v9, v7
	s_mov_b32 s7, 0
	s_mov_b32 s10, s31
	s_delay_alu instid0(VALU_DEP_1)
	v_dual_mov_b32 v4, v2 :: v_dual_mov_b32 v3, v1
	.p2align	6
.LBB108_36:                             ;   Parent Loop BB108_9 Depth=1
                                        ;     Parent Loop BB108_34 Depth=2
                                        ; =>    This Inner Loop Header: Depth=3
	v_mov_b32_e32 v14, s10
	s_add_i32 s7, s7, 1
	s_add_i32 s10, s10, 16
	s_cmp_ge_i32 s7, s33
	ds_load_2addr_b64 v[10:13], v9 offset1:1
	ds_load_2addr_b64 v[26:29], v14 offset1:1
	v_add_nc_u32_e32 v9, 16, v9
	s_waitcnt lgkmcnt(0)
	v_mul_f64 v[30:31], v[28:29], v[12:13]
	v_mul_f64 v[28:29], v[28:29], v[10:11]
	s_delay_alu instid0(VALU_DEP_2) | instskip(NEXT) | instid1(VALU_DEP_2)
	v_fma_f64 v[10:11], v[26:27], v[10:11], v[30:31]
	v_fma_f64 v[12:13], v[26:27], v[12:13], -v[28:29]
	s_delay_alu instid0(VALU_DEP_2) | instskip(NEXT) | instid1(VALU_DEP_2)
	v_add_f64 v[3:4], v[3:4], v[10:11]
	v_add_f64 v[1:2], v[1:2], v[12:13]
	s_cbranch_scc0 .LBB108_36
	s_branch .LBB108_33
.LBB108_37:                             ;   in Loop: Header=BB108_9 Depth=1
	s_or_b32 exec_lo, exec_lo, s4
	s_delay_alu instid0(SALU_CYCLE_1)
	s_mov_b32 s4, exec_lo
	s_waitcnt lgkmcnt(0)
	s_barrier
	buffer_gl0_inv
	v_cmpx_gt_i32_e64 s33, v0
	s_cbranch_execz .LBB108_8
; %bb.38:                               ;   in Loop: Header=BB108_9 Depth=1
	v_mov_b32_e32 v1, v24
	v_mov_b32_e32 v2, v0
	s_cmp_gt_i32 s3, 0
	s_mov_b32 s5, 0
	s_cselect_b32 s6, -1, 0
	s_set_inst_prefetch_distance 0x1
	s_branch .LBB108_40
	.p2align	6
.LBB108_39:                             ;   in Loop: Header=BB108_40 Depth=2
	v_add_nc_u32_e32 v2, 0x100, v2
	v_add_nc_u32_e32 v1, 0x1000, v1
	s_delay_alu instid0(VALU_DEP_2) | instskip(SKIP_1) | instid1(SALU_CYCLE_1)
	v_cmp_le_i32_e32 vcc_lo, s33, v2
	s_or_b32 s5, vcc_lo, s5
	s_and_not1_b32 exec_lo, exec_lo, s5
	s_cbranch_execz .LBB108_8
.LBB108_40:                             ;   Parent Loop BB108_9 Depth=1
                                        ; =>  This Loop Header: Depth=2
                                        ;       Child Loop BB108_42 Depth 3
	s_and_not1_b32 vcc_lo, exec_lo, s6
	s_cbranch_vccnz .LBB108_39
; %bb.41:                               ;   in Loop: Header=BB108_40 Depth=2
	v_lshl_add_u32 v3, v2, 4, s34
	v_mov_b32_e32 v4, v1
	s_mov_b32 s7, 0
	s_mov_b32 s10, s24
	.p2align	6
.LBB108_42:                             ;   Parent Loop BB108_9 Depth=1
                                        ;     Parent Loop BB108_40 Depth=2
                                        ; =>    This Inner Loop Header: Depth=3
	s_delay_alu instid0(SALU_CYCLE_1)
	v_mov_b32_e32 v11, s10
	s_add_i32 s7, s7, 1
	s_add_i32 s10, s10, 16
	s_cmp_ge_i32 s7, s3
	ds_load_2addr_b64 v[7:10], v3 offset1:1
	ds_load_2addr_b64 v[11:14], v11 offset1:1
	s_waitcnt lgkmcnt(0)
	v_mul_f64 v[26:27], v[13:14], v[9:10]
	v_mul_f64 v[9:10], v[11:12], v[9:10]
	s_delay_alu instid0(VALU_DEP_2) | instskip(NEXT) | instid1(VALU_DEP_2)
	v_fma_f64 v[11:12], v[11:12], v[7:8], -v[26:27]
	v_fma_f64 v[13:14], v[13:14], v[7:8], v[9:10]
	ds_load_2addr_b64 v[7:10], v4 offset1:1
	s_waitcnt lgkmcnt(0)
	v_add_f64 v[7:8], v[7:8], -v[11:12]
	v_add_f64 v[9:10], v[9:10], -v[13:14]
	ds_store_2addr_b64 v4, v[7:8], v[9:10] offset1:1
	v_add_nc_u32_e32 v4, s28, v4
	s_cbranch_scc0 .LBB108_42
	s_branch .LBB108_39
.LBB108_43:
	s_and_saveexec_b32 s1, s0
	s_cbranch_execz .LBB108_49
; %bb.44:
	v_mul_lo_u32 v0, s12, v15
	v_cmp_gt_i32_e32 vcc_lo, s13, v15
	s_lshl_b32 s2, s18, 1
	s_mov_b32 s3, 0
	s_lshl_b32 s4, s12, 5
	s_delay_alu instid0(VALU_DEP_2) | instskip(SKIP_1) | instid1(VALU_DEP_2)
	v_lshlrev_b32_e32 v2, 4, v0
	v_mad_u64_u32 v[0:1], null, s18, v15, v[5:6]
	v_add3_u32 v3, v2, v16, 0
	s_set_inst_prefetch_distance 0x1
	s_branch .LBB108_46
	.p2align	6
.LBB108_45:                             ;   in Loop: Header=BB108_46 Depth=1
	s_or_b32 exec_lo, exec_lo, s5
	v_add_nc_u32_e32 v5, 0x80, v5
	v_add_nc_u32_e32 v0, 0x80, v0
	;; [unrolled: 1-line block ×3, first 2 shown]
	s_delay_alu instid0(VALU_DEP_3) | instskip(NEXT) | instid1(VALU_DEP_1)
	v_cmp_le_i32_e64 s0, s12, v5
	s_or_b32 s3, s0, s3
	s_delay_alu instid0(SALU_CYCLE_1)
	s_and_not1_b32 exec_lo, exec_lo, s3
	s_cbranch_execz .LBB108_49
.LBB108_46:                             ; =>This Loop Header: Depth=1
                                        ;     Child Loop BB108_48 Depth 2
	s_and_saveexec_b32 s5, vcc_lo
	s_cbranch_execz .LBB108_45
; %bb.47:                               ;   in Loop: Header=BB108_46 Depth=1
	s_delay_alu instid0(VALU_DEP_2)
	v_dual_mov_b32 v4, v3 :: v_dual_mov_b32 v1, v0
	v_mov_b32_e32 v6, v15
	s_mov_b32 s6, 0
	.p2align	6
.LBB108_48:                             ;   Parent Loop BB108_46 Depth=1
                                        ; =>  This Inner Loop Header: Depth=2
	ds_load_2addr_b64 v[7:10], v4 offset1:1
	v_ashrrev_i32_e32 v2, 31, v1
	v_add_nc_u32_e32 v6, 2, v6
	v_add_nc_u32_e32 v4, s4, v4
	s_delay_alu instid0(VALU_DEP_3) | instskip(NEXT) | instid1(VALU_DEP_3)
	v_lshlrev_b64 v[11:12], 4, v[1:2]
	v_cmp_le_i32_e64 s0, s13, v6
	v_add_nc_u32_e32 v1, s2, v1
	s_delay_alu instid0(VALU_DEP_2) | instskip(NEXT) | instid1(VALU_DEP_3)
	s_or_b32 s6, s0, s6
	v_add_co_u32 v11, s1, s16, v11
	s_delay_alu instid0(VALU_DEP_1)
	v_add_co_ci_u32_e64 v12, s1, s17, v12, s1
	s_waitcnt lgkmcnt(0)
	global_store_b128 v[11:12], v[7:10], off
	s_and_not1_b32 exec_lo, exec_lo, s6
	s_cbranch_execnz .LBB108_48
	s_branch .LBB108_45
.LBB108_49:
	s_set_inst_prefetch_distance 0x2
	s_nop 0
	s_sendmsg sendmsg(MSG_DEALLOC_VGPRS)
	s_endpgm
	.section	.rodata,"a",@progbits
	.p2align	6, 0x0
	.amdhsa_kernel _ZN9rocsolver6v33100L18geqr2_kernel_smallILi256E19rocblas_complex_numIdEidPS3_EEvT1_S5_T3_lS5_lPT2_lPT0_l
		.amdhsa_group_segment_fixed_size 0
		.amdhsa_private_segment_fixed_size 0
		.amdhsa_kernarg_size 72
		.amdhsa_user_sgpr_count 14
		.amdhsa_user_sgpr_dispatch_ptr 0
		.amdhsa_user_sgpr_queue_ptr 0
		.amdhsa_user_sgpr_kernarg_segment_ptr 1
		.amdhsa_user_sgpr_dispatch_id 0
		.amdhsa_user_sgpr_private_segment_size 0
		.amdhsa_wavefront_size32 1
		.amdhsa_uses_dynamic_stack 0
		.amdhsa_enable_private_segment 0
		.amdhsa_system_sgpr_workgroup_id_x 1
		.amdhsa_system_sgpr_workgroup_id_y 0
		.amdhsa_system_sgpr_workgroup_id_z 1
		.amdhsa_system_sgpr_workgroup_info 0
		.amdhsa_system_vgpr_workitem_id 0
		.amdhsa_next_free_vgpr 56
		.amdhsa_next_free_sgpr 40
		.amdhsa_reserve_vcc 1
		.amdhsa_float_round_mode_32 0
		.amdhsa_float_round_mode_16_64 0
		.amdhsa_float_denorm_mode_32 3
		.amdhsa_float_denorm_mode_16_64 3
		.amdhsa_dx10_clamp 1
		.amdhsa_ieee_mode 1
		.amdhsa_fp16_overflow 0
		.amdhsa_workgroup_processor_mode 1
		.amdhsa_memory_ordered 1
		.amdhsa_forward_progress 0
		.amdhsa_shared_vgpr_count 0
		.amdhsa_exception_fp_ieee_invalid_op 0
		.amdhsa_exception_fp_denorm_src 0
		.amdhsa_exception_fp_ieee_div_zero 0
		.amdhsa_exception_fp_ieee_overflow 0
		.amdhsa_exception_fp_ieee_underflow 0
		.amdhsa_exception_fp_ieee_inexact 0
		.amdhsa_exception_int_div_zero 0
	.end_amdhsa_kernel
	.section	.text._ZN9rocsolver6v33100L18geqr2_kernel_smallILi256E19rocblas_complex_numIdEidPS3_EEvT1_S5_T3_lS5_lPT2_lPT0_l,"axG",@progbits,_ZN9rocsolver6v33100L18geqr2_kernel_smallILi256E19rocblas_complex_numIdEidPS3_EEvT1_S5_T3_lS5_lPT2_lPT0_l,comdat
.Lfunc_end108:
	.size	_ZN9rocsolver6v33100L18geqr2_kernel_smallILi256E19rocblas_complex_numIdEidPS3_EEvT1_S5_T3_lS5_lPT2_lPT0_l, .Lfunc_end108-_ZN9rocsolver6v33100L18geqr2_kernel_smallILi256E19rocblas_complex_numIdEidPS3_EEvT1_S5_T3_lS5_lPT2_lPT0_l
                                        ; -- End function
	.section	.AMDGPU.csdata,"",@progbits
; Kernel info:
; codeLenInByte = 3528
; NumSgprs: 42
; NumVgprs: 56
; ScratchSize: 0
; MemoryBound: 0
; FloatMode: 240
; IeeeMode: 1
; LDSByteSize: 0 bytes/workgroup (compile time only)
; SGPRBlocks: 5
; VGPRBlocks: 6
; NumSGPRsForWavesPerEU: 42
; NumVGPRsForWavesPerEU: 56
; Occupancy: 16
; WaveLimiterHint : 0
; COMPUTE_PGM_RSRC2:SCRATCH_EN: 0
; COMPUTE_PGM_RSRC2:USER_SGPR: 14
; COMPUTE_PGM_RSRC2:TRAP_HANDLER: 0
; COMPUTE_PGM_RSRC2:TGID_X_EN: 1
; COMPUTE_PGM_RSRC2:TGID_Y_EN: 0
; COMPUTE_PGM_RSRC2:TGID_Z_EN: 1
; COMPUTE_PGM_RSRC2:TIDIG_COMP_CNT: 0
	.section	.text._ZN9rocsolver6v33100L16reset_batch_infoI19rocblas_complex_numIdEiiPS3_EEvT2_lT0_T1_,"axG",@progbits,_ZN9rocsolver6v33100L16reset_batch_infoI19rocblas_complex_numIdEiiPS3_EEvT2_lT0_T1_,comdat
	.globl	_ZN9rocsolver6v33100L16reset_batch_infoI19rocblas_complex_numIdEiiPS3_EEvT2_lT0_T1_ ; -- Begin function _ZN9rocsolver6v33100L16reset_batch_infoI19rocblas_complex_numIdEiiPS3_EEvT2_lT0_T1_
	.p2align	8
	.type	_ZN9rocsolver6v33100L16reset_batch_infoI19rocblas_complex_numIdEiiPS3_EEvT2_lT0_T1_,@function
_ZN9rocsolver6v33100L16reset_batch_infoI19rocblas_complex_numIdEiiPS3_EEvT2_lT0_T1_: ; @_ZN9rocsolver6v33100L16reset_batch_infoI19rocblas_complex_numIdEiiPS3_EEvT2_lT0_T1_
; %bb.0:
	s_clause 0x1
	s_load_b32 s4, s[0:1], 0x24
	s_load_b64 s[2:3], s[0:1], 0x10
	s_waitcnt lgkmcnt(0)
	s_and_b32 s4, s4, 0xffff
	s_delay_alu instid0(SALU_CYCLE_1) | instskip(NEXT) | instid1(VALU_DEP_1)
	v_mad_u64_u32 v[1:2], null, s14, s4, v[0:1]
	v_cmp_gt_i32_e32 vcc_lo, s2, v1
	s_and_saveexec_b32 s2, vcc_lo
	s_cbranch_execz .LBB109_2
; %bb.1:
	v_cvt_f64_i32_e32 v[3:4], s3
	s_load_b128 s[4:7], s[0:1], 0x0
	v_ashrrev_i32_e32 v2, 31, v1
	s_ashr_i32 s0, s15, 31
	v_mov_b32_e32 v5, 0
	s_delay_alu instid0(VALU_DEP_2) | instskip(NEXT) | instid1(VALU_DEP_2)
	v_lshlrev_b64 v[0:1], 4, v[1:2]
	v_mov_b32_e32 v6, v5
	s_waitcnt lgkmcnt(0)
	s_mul_i32 s1, s15, s7
	s_mul_hi_u32 s2, s15, s6
	s_mul_i32 s3, s0, s6
	s_add_i32 s1, s2, s1
	s_mul_i32 s0, s15, s6
	s_add_i32 s1, s1, s3
	s_delay_alu instid0(SALU_CYCLE_1) | instskip(NEXT) | instid1(SALU_CYCLE_1)
	s_lshl_b64 s[0:1], s[0:1], 4
	s_add_u32 s0, s4, s0
	s_addc_u32 s1, s5, s1
	v_add_co_u32 v0, vcc_lo, s0, v0
	v_add_co_ci_u32_e32 v1, vcc_lo, s1, v1, vcc_lo
	global_store_b128 v[0:1], v[3:6], off
.LBB109_2:
	s_nop 0
	s_sendmsg sendmsg(MSG_DEALLOC_VGPRS)
	s_endpgm
	.section	.rodata,"a",@progbits
	.p2align	6, 0x0
	.amdhsa_kernel _ZN9rocsolver6v33100L16reset_batch_infoI19rocblas_complex_numIdEiiPS3_EEvT2_lT0_T1_
		.amdhsa_group_segment_fixed_size 0
		.amdhsa_private_segment_fixed_size 0
		.amdhsa_kernarg_size 280
		.amdhsa_user_sgpr_count 14
		.amdhsa_user_sgpr_dispatch_ptr 0
		.amdhsa_user_sgpr_queue_ptr 0
		.amdhsa_user_sgpr_kernarg_segment_ptr 1
		.amdhsa_user_sgpr_dispatch_id 0
		.amdhsa_user_sgpr_private_segment_size 0
		.amdhsa_wavefront_size32 1
		.amdhsa_uses_dynamic_stack 0
		.amdhsa_enable_private_segment 0
		.amdhsa_system_sgpr_workgroup_id_x 1
		.amdhsa_system_sgpr_workgroup_id_y 1
		.amdhsa_system_sgpr_workgroup_id_z 0
		.amdhsa_system_sgpr_workgroup_info 0
		.amdhsa_system_vgpr_workitem_id 0
		.amdhsa_next_free_vgpr 7
		.amdhsa_next_free_sgpr 16
		.amdhsa_reserve_vcc 1
		.amdhsa_float_round_mode_32 0
		.amdhsa_float_round_mode_16_64 0
		.amdhsa_float_denorm_mode_32 3
		.amdhsa_float_denorm_mode_16_64 3
		.amdhsa_dx10_clamp 1
		.amdhsa_ieee_mode 1
		.amdhsa_fp16_overflow 0
		.amdhsa_workgroup_processor_mode 1
		.amdhsa_memory_ordered 1
		.amdhsa_forward_progress 0
		.amdhsa_shared_vgpr_count 0
		.amdhsa_exception_fp_ieee_invalid_op 0
		.amdhsa_exception_fp_denorm_src 0
		.amdhsa_exception_fp_ieee_div_zero 0
		.amdhsa_exception_fp_ieee_overflow 0
		.amdhsa_exception_fp_ieee_underflow 0
		.amdhsa_exception_fp_ieee_inexact 0
		.amdhsa_exception_int_div_zero 0
	.end_amdhsa_kernel
	.section	.text._ZN9rocsolver6v33100L16reset_batch_infoI19rocblas_complex_numIdEiiPS3_EEvT2_lT0_T1_,"axG",@progbits,_ZN9rocsolver6v33100L16reset_batch_infoI19rocblas_complex_numIdEiiPS3_EEvT2_lT0_T1_,comdat
.Lfunc_end109:
	.size	_ZN9rocsolver6v33100L16reset_batch_infoI19rocblas_complex_numIdEiiPS3_EEvT2_lT0_T1_, .Lfunc_end109-_ZN9rocsolver6v33100L16reset_batch_infoI19rocblas_complex_numIdEiiPS3_EEvT2_lT0_T1_
                                        ; -- End function
	.section	.AMDGPU.csdata,"",@progbits
; Kernel info:
; codeLenInByte = 172
; NumSgprs: 18
; NumVgprs: 7
; ScratchSize: 0
; MemoryBound: 0
; FloatMode: 240
; IeeeMode: 1
; LDSByteSize: 0 bytes/workgroup (compile time only)
; SGPRBlocks: 2
; VGPRBlocks: 0
; NumSGPRsForWavesPerEU: 18
; NumVGPRsForWavesPerEU: 7
; Occupancy: 16
; WaveLimiterHint : 0
; COMPUTE_PGM_RSRC2:SCRATCH_EN: 0
; COMPUTE_PGM_RSRC2:USER_SGPR: 14
; COMPUTE_PGM_RSRC2:TRAP_HANDLER: 0
; COMPUTE_PGM_RSRC2:TGID_X_EN: 1
; COMPUTE_PGM_RSRC2:TGID_Y_EN: 1
; COMPUTE_PGM_RSRC2:TGID_Z_EN: 0
; COMPUTE_PGM_RSRC2:TIDIG_COMP_CNT: 0
	.section	.text._ZN9rocsolver6v33100L8set_diagI19rocblas_complex_numIdEidPS3_TnNSt9enable_ifIXaa18rocblas_is_complexIT_Ent18rocblas_is_complexIT1_EEiE4typeELi0EEEvPS7_llT2_lT0_lSC_b,"axG",@progbits,_ZN9rocsolver6v33100L8set_diagI19rocblas_complex_numIdEidPS3_TnNSt9enable_ifIXaa18rocblas_is_complexIT_Ent18rocblas_is_complexIT1_EEiE4typeELi0EEEvPS7_llT2_lT0_lSC_b,comdat
	.globl	_ZN9rocsolver6v33100L8set_diagI19rocblas_complex_numIdEidPS3_TnNSt9enable_ifIXaa18rocblas_is_complexIT_Ent18rocblas_is_complexIT1_EEiE4typeELi0EEEvPS7_llT2_lT0_lSC_b ; -- Begin function _ZN9rocsolver6v33100L8set_diagI19rocblas_complex_numIdEidPS3_TnNSt9enable_ifIXaa18rocblas_is_complexIT_Ent18rocblas_is_complexIT1_EEiE4typeELi0EEEvPS7_llT2_lT0_lSC_b
	.p2align	8
	.type	_ZN9rocsolver6v33100L8set_diagI19rocblas_complex_numIdEidPS3_TnNSt9enable_ifIXaa18rocblas_is_complexIT_Ent18rocblas_is_complexIT1_EEiE4typeELi0EEEvPS7_llT2_lT0_lSC_b,@function
_ZN9rocsolver6v33100L8set_diagI19rocblas_complex_numIdEidPS3_TnNSt9enable_ifIXaa18rocblas_is_complexIT_Ent18rocblas_is_complexIT1_EEiE4typeELi0EEEvPS7_llT2_lT0_lSC_b: ; @_ZN9rocsolver6v33100L8set_diagI19rocblas_complex_numIdEidPS3_TnNSt9enable_ifIXaa18rocblas_is_complexIT_Ent18rocblas_is_complexIT1_EEiE4typeELi0EEEvPS7_llT2_lT0_lSC_b
; %bb.0:
	s_clause 0x1
	s_load_b32 s4, s[0:1], 0x4c
	s_load_b64 s[2:3], s[0:1], 0x38
	v_bfe_u32 v0, v0, 10, 10
	s_waitcnt lgkmcnt(0)
	s_lshr_b32 s4, s4, 16
	s_delay_alu instid0(VALU_DEP_1) | instid1(SALU_CYCLE_1)
	v_mad_u64_u32 v[2:3], null, s15, s4, v[0:1]
	s_delay_alu instid0(VALU_DEP_1)
	v_cmp_gt_i32_e32 vcc_lo, s2, v2
	s_and_saveexec_b32 s2, vcc_lo
	s_cbranch_execz .LBB110_5
; %bb.1:
	s_clause 0x3
	s_load_b32 s2, s[0:1], 0x28
	s_load_b64 s[12:13], s[0:1], 0x30
	s_load_b256 s[4:11], s[0:1], 0x0
	s_load_b64 s[0:1], s[0:1], 0x20
	s_bitcmp1_b32 s3, 0
	s_cselect_b32 s15, -1, 0
	s_ashr_i32 s16, s14, 31
	s_waitcnt lgkmcnt(0)
	v_mad_u64_u32 v[0:1], null, v2, s2, v[2:3]
	s_mul_i32 s2, s14, s13
	s_mul_hi_u32 s3, s14, s12
	s_mul_i32 s13, s16, s12
	s_add_i32 s3, s3, s2
	s_mul_i32 s2, s14, s12
	s_add_i32 s3, s3, s13
	s_delay_alu instid0(VALU_DEP_1)
	v_ashrrev_i32_e32 v1, 31, v0
	s_lshl_b64 s[2:3], s[2:3], 4
	s_mul_i32 s16, s16, s8
	s_add_u32 s2, s10, s2
	s_addc_u32 s3, s11, s3
	v_lshlrev_b64 v[0:1], 4, v[0:1]
	s_lshl_b64 s[0:1], s[0:1], 4
	v_ashrrev_i32_e32 v3, 31, v2
	s_add_u32 s0, s2, s0
	s_addc_u32 s1, s3, s1
	s_delay_alu instid0(VALU_DEP_2)
	v_add_co_u32 v4, vcc_lo, s0, v0
	v_add_co_ci_u32_e32 v5, vcc_lo, s1, v1, vcc_lo
	s_mul_i32 s0, s14, s9
	s_mul_hi_u32 s1, s14, s8
	v_lshlrev_b64 v[2:3], 3, v[2:3]
	global_load_b64 v[0:1], v[4:5], off
	s_add_i32 s1, s1, s0
	s_mul_i32 s0, s14, s8
	s_add_i32 s1, s1, s16
	s_delay_alu instid0(SALU_CYCLE_1) | instskip(NEXT) | instid1(SALU_CYCLE_1)
	s_lshl_b64 s[0:1], s[0:1], 3
	s_add_u32 s2, s4, s0
	s_addc_u32 s3, s5, s1
	s_lshl_b64 s[0:1], s[6:7], 3
	s_delay_alu instid0(SALU_CYCLE_1)
	s_add_u32 s0, s2, s0
	s_addc_u32 s1, s3, s1
	v_add_co_u32 v2, vcc_lo, s0, v2
	v_add_co_ci_u32_e32 v3, vcc_lo, s1, v3, vcc_lo
	s_and_b32 vcc_lo, exec_lo, s15
	s_waitcnt vmcnt(0)
	global_store_b64 v[2:3], v[0:1], off
	s_cbranch_vccnz .LBB110_3
; %bb.2:
	global_load_b64 v[2:3], v[4:5], off offset:8
	s_branch .LBB110_4
.LBB110_3:
	v_mov_b32_e32 v2, 0
	v_dual_mov_b32 v3, 0 :: v_dual_mov_b32 v0, 0
	v_mov_b32_e32 v1, 0x3ff00000
.LBB110_4:
	s_waitcnt vmcnt(0)
	global_store_b128 v[4:5], v[0:3], off
.LBB110_5:
	s_nop 0
	s_sendmsg sendmsg(MSG_DEALLOC_VGPRS)
	s_endpgm
	.section	.rodata,"a",@progbits
	.p2align	6, 0x0
	.amdhsa_kernel _ZN9rocsolver6v33100L8set_diagI19rocblas_complex_numIdEidPS3_TnNSt9enable_ifIXaa18rocblas_is_complexIT_Ent18rocblas_is_complexIT1_EEiE4typeELi0EEEvPS7_llT2_lT0_lSC_b
		.amdhsa_group_segment_fixed_size 0
		.amdhsa_private_segment_fixed_size 0
		.amdhsa_kernarg_size 320
		.amdhsa_user_sgpr_count 14
		.amdhsa_user_sgpr_dispatch_ptr 0
		.amdhsa_user_sgpr_queue_ptr 0
		.amdhsa_user_sgpr_kernarg_segment_ptr 1
		.amdhsa_user_sgpr_dispatch_id 0
		.amdhsa_user_sgpr_private_segment_size 0
		.amdhsa_wavefront_size32 1
		.amdhsa_uses_dynamic_stack 0
		.amdhsa_enable_private_segment 0
		.amdhsa_system_sgpr_workgroup_id_x 1
		.amdhsa_system_sgpr_workgroup_id_y 1
		.amdhsa_system_sgpr_workgroup_id_z 0
		.amdhsa_system_sgpr_workgroup_info 0
		.amdhsa_system_vgpr_workitem_id 1
		.amdhsa_next_free_vgpr 6
		.amdhsa_next_free_sgpr 17
		.amdhsa_reserve_vcc 1
		.amdhsa_float_round_mode_32 0
		.amdhsa_float_round_mode_16_64 0
		.amdhsa_float_denorm_mode_32 3
		.amdhsa_float_denorm_mode_16_64 3
		.amdhsa_dx10_clamp 1
		.amdhsa_ieee_mode 1
		.amdhsa_fp16_overflow 0
		.amdhsa_workgroup_processor_mode 1
		.amdhsa_memory_ordered 1
		.amdhsa_forward_progress 0
		.amdhsa_shared_vgpr_count 0
		.amdhsa_exception_fp_ieee_invalid_op 0
		.amdhsa_exception_fp_denorm_src 0
		.amdhsa_exception_fp_ieee_div_zero 0
		.amdhsa_exception_fp_ieee_overflow 0
		.amdhsa_exception_fp_ieee_underflow 0
		.amdhsa_exception_fp_ieee_inexact 0
		.amdhsa_exception_int_div_zero 0
	.end_amdhsa_kernel
	.section	.text._ZN9rocsolver6v33100L8set_diagI19rocblas_complex_numIdEidPS3_TnNSt9enable_ifIXaa18rocblas_is_complexIT_Ent18rocblas_is_complexIT1_EEiE4typeELi0EEEvPS7_llT2_lT0_lSC_b,"axG",@progbits,_ZN9rocsolver6v33100L8set_diagI19rocblas_complex_numIdEidPS3_TnNSt9enable_ifIXaa18rocblas_is_complexIT_Ent18rocblas_is_complexIT1_EEiE4typeELi0EEEvPS7_llT2_lT0_lSC_b,comdat
.Lfunc_end110:
	.size	_ZN9rocsolver6v33100L8set_diagI19rocblas_complex_numIdEidPS3_TnNSt9enable_ifIXaa18rocblas_is_complexIT_Ent18rocblas_is_complexIT1_EEiE4typeELi0EEEvPS7_llT2_lT0_lSC_b, .Lfunc_end110-_ZN9rocsolver6v33100L8set_diagI19rocblas_complex_numIdEidPS3_TnNSt9enable_ifIXaa18rocblas_is_complexIT_Ent18rocblas_is_complexIT1_EEiE4typeELi0EEEvPS7_llT2_lT0_lSC_b
                                        ; -- End function
	.section	.AMDGPU.csdata,"",@progbits
; Kernel info:
; codeLenInByte = 368
; NumSgprs: 19
; NumVgprs: 6
; ScratchSize: 0
; MemoryBound: 0
; FloatMode: 240
; IeeeMode: 1
; LDSByteSize: 0 bytes/workgroup (compile time only)
; SGPRBlocks: 2
; VGPRBlocks: 0
; NumSGPRsForWavesPerEU: 19
; NumVGPRsForWavesPerEU: 6
; Occupancy: 16
; WaveLimiterHint : 0
; COMPUTE_PGM_RSRC2:SCRATCH_EN: 0
; COMPUTE_PGM_RSRC2:USER_SGPR: 14
; COMPUTE_PGM_RSRC2:TRAP_HANDLER: 0
; COMPUTE_PGM_RSRC2:TGID_X_EN: 1
; COMPUTE_PGM_RSRC2:TGID_Y_EN: 1
; COMPUTE_PGM_RSRC2:TGID_Z_EN: 0
; COMPUTE_PGM_RSRC2:TIDIG_COMP_CNT: 1
	.section	.text._ZN9rocsolver6v33100L11set_taubetaI19rocblas_complex_numIdEidPS3_EEvPT_lS6_T2_llPT1_ll,"axG",@progbits,_ZN9rocsolver6v33100L11set_taubetaI19rocblas_complex_numIdEidPS3_EEvPT_lS6_T2_llPT1_ll,comdat
	.globl	_ZN9rocsolver6v33100L11set_taubetaI19rocblas_complex_numIdEidPS3_EEvPT_lS6_T2_llPT1_ll ; -- Begin function _ZN9rocsolver6v33100L11set_taubetaI19rocblas_complex_numIdEidPS3_EEvPT_lS6_T2_llPT1_ll
	.p2align	8
	.type	_ZN9rocsolver6v33100L11set_taubetaI19rocblas_complex_numIdEidPS3_EEvPT_lS6_T2_llPT1_ll,@function
_ZN9rocsolver6v33100L11set_taubetaI19rocblas_complex_numIdEidPS3_EEvPT_lS6_T2_llPT1_ll: ; @_ZN9rocsolver6v33100L11set_taubetaI19rocblas_complex_numIdEidPS3_EEvPT_lS6_T2_llPT1_ll
; %bb.0:
	s_mov_b32 s2, s15
	s_load_b512 s[4:19], s[0:1], 0x0
	s_ashr_i32 s3, s2, 31
	s_mov_b64 s[20:21], 0
	s_waitcnt lgkmcnt(0)
	s_cmp_eq_u64 s[16:17], 0
	s_cbranch_scc1 .LBB111_2
; %bb.1:
	s_load_b64 s[0:1], s[0:1], 0x40
	s_waitcnt lgkmcnt(0)
	s_mul_i32 s1, s2, s1
	s_mul_hi_u32 s20, s2, s0
	s_mul_i32 s21, s3, s0
	s_add_i32 s1, s20, s1
	s_mul_i32 s0, s2, s0
	s_add_i32 s1, s1, s21
	s_delay_alu instid0(SALU_CYCLE_1) | instskip(NEXT) | instid1(SALU_CYCLE_1)
	s_lshl_b64 s[0:1], s[0:1], 3
	s_add_u32 s16, s16, s0
	s_addc_u32 s17, s17, s1
	s_lshl_b64 s[0:1], s[18:19], 3
	s_delay_alu instid0(SALU_CYCLE_1)
	s_add_u32 s20, s16, s0
	s_addc_u32 s21, s17, s1
.LBB111_2:
	s_mul_i32 s0, s2, s15
	s_mul_hi_u32 s1, s2, s14
	s_mul_i32 s15, s3, s14
	s_add_i32 s1, s1, s0
	s_mul_i32 s0, s2, s14
	s_add_i32 s1, s1, s15
	s_mul_i32 s7, s2, s7
	s_lshl_b64 s[0:1], s[0:1], 4
	s_delay_alu instid0(SALU_CYCLE_1) | instskip(SKIP_2) | instid1(SALU_CYCLE_1)
	s_add_u32 s10, s10, s0
	s_addc_u32 s11, s11, s1
	s_lshl_b64 s[0:1], s[12:13], 4
	s_add_u32 s10, s10, s0
	s_mul_hi_u32 s0, s2, s6
	s_addc_u32 s11, s11, s1
	s_add_i32 s0, s0, s7
	s_mul_i32 s1, s3, s6
	s_delay_alu instid0(SALU_CYCLE_1) | instskip(SKIP_1) | instid1(SALU_CYCLE_1)
	s_add_i32 s1, s0, s1
	s_mul_i32 s0, s2, s6
	s_lshl_b64 s[0:1], s[0:1], 4
	s_delay_alu instid0(SALU_CYCLE_1)
	s_add_u32 s4, s4, s0
	s_addc_u32 s5, s5, s1
	s_lshl_b64 s[0:1], s[2:3], 4
	s_mov_b32 s2, 0
	s_add_u32 s6, s8, s0
	s_addc_u32 s7, s9, s1
	s_load_b64 s[8:9], s[10:11], 0x8
	s_load_b64 s[0:1], s[6:7], 0x0
	s_cmp_eq_u64 s[20:21], 0
	s_cselect_b32 s3, -1, 0
	s_cmp_lg_u64 s[20:21], 0
	s_cselect_b32 s12, -1, 0
	s_waitcnt lgkmcnt(0)
	v_mul_f64 v[4:5], s[8:9], s[8:9]
	v_max_f64 v[0:1], s[0:1], s[0:1]
	s_delay_alu instid0(VALU_DEP_1) | instskip(NEXT) | instid1(VALU_DEP_1)
	v_max_f64 v[0:1], v[0:1], v[4:5]
	v_cmp_nlt_f64_e32 vcc_lo, 0, v[0:1]
	s_cbranch_vccz .LBB111_5
; %bb.3:
	v_dual_mov_b32 v0, 0 :: v_dual_mov_b32 v1, 0x3ff00000
	s_mov_b32 s14, 0
	s_and_b32 vcc_lo, exec_lo, s12
	s_delay_alu instid0(VALU_DEP_1)
	v_mov_b32_e32 v2, v0
	v_mov_b32_e32 v3, v0
	global_store_b128 v0, v[0:3], s[6:7]
	v_mov_b32_e32 v1, v0
	global_store_b128 v0, v[0:3], s[4:5]
	s_cbranch_vccz .LBB111_6
; %bb.4:
	global_load_b64 v[0:1], v0, s[10:11]
	s_mov_b32 s13, -1
	s_and_b32 vcc_lo, exec_lo, s14
	s_cbranch_vccnz .LBB111_7
	s_branch .LBB111_8
.LBB111_5:
	s_mov_b32 s14, -1
.LBB111_6:
	s_mov_b32 s13, 0
                                        ; implicit-def: $vgpr0_vgpr1
	s_and_b32 vcc_lo, exec_lo, s14
	s_cbranch_vccz .LBB111_8
.LBB111_7:
	s_load_b64 s[14:15], s[10:11], 0x0
	s_mov_b32 s13, s12
	s_waitcnt vmcnt(0) lgkmcnt(0)
	v_fma_f64 v[0:1], s[14:15], s[14:15], v[4:5]
	s_delay_alu instid0(VALU_DEP_1) | instskip(NEXT) | instid1(VALU_DEP_1)
	v_add_f64 v[0:1], s[0:1], v[0:1]
	v_cmp_gt_f64_e32 vcc_lo, 0x10000000, v[0:1]
	v_cndmask_b32_e64 v2, 0, 1, vcc_lo
	s_and_b32 s0, vcc_lo, exec_lo
	s_cselect_b32 s0, 0xffffff80, 0
	s_delay_alu instid0(VALU_DEP_1) | instskip(NEXT) | instid1(VALU_DEP_1)
	v_lshlrev_b32_e32 v2, 8, v2
	v_ldexp_f64 v[0:1], v[0:1], v2
	s_delay_alu instid0(VALU_DEP_1) | instskip(SKIP_4) | instid1(VALU_DEP_1)
	v_rsq_f64_e32 v[2:3], v[0:1]
	v_cmp_class_f64_e64 vcc_lo, v[0:1], 0x260
	s_waitcnt_depctr 0xfff
	v_mul_f64 v[6:7], v[0:1], v[2:3]
	v_mul_f64 v[2:3], v[2:3], 0.5
	v_fma_f64 v[8:9], -v[2:3], v[6:7], 0.5
	s_delay_alu instid0(VALU_DEP_1) | instskip(SKIP_1) | instid1(VALU_DEP_2)
	v_fma_f64 v[6:7], v[6:7], v[8:9], v[6:7]
	v_fma_f64 v[2:3], v[2:3], v[8:9], v[2:3]
	v_fma_f64 v[8:9], -v[6:7], v[6:7], v[0:1]
	s_delay_alu instid0(VALU_DEP_1) | instskip(NEXT) | instid1(VALU_DEP_1)
	v_fma_f64 v[6:7], v[8:9], v[2:3], v[6:7]
	v_fma_f64 v[8:9], -v[6:7], v[6:7], v[0:1]
	s_delay_alu instid0(VALU_DEP_1) | instskip(NEXT) | instid1(VALU_DEP_1)
	v_fma_f64 v[2:3], v[8:9], v[2:3], v[6:7]
	v_ldexp_f64 v[2:3], v[2:3], s0
	s_delay_alu instid0(VALU_DEP_1) | instskip(SKIP_1) | instid1(VALU_DEP_2)
	v_dual_cndmask_b32 v1, v3, v1 :: v_dual_cndmask_b32 v0, v2, v0
	v_cmp_ge_f64_e64 vcc_lo, s[14:15], 0
	v_xor_b32_e32 v2, 0x80000000, v1
	s_delay_alu instid0(VALU_DEP_1) | instskip(NEXT) | instid1(VALU_DEP_1)
	v_cndmask_b32_e32 v1, v1, v2, vcc_lo
	v_add_f64 v[2:3], s[14:15], -v[0:1]
	v_add_f64 v[6:7], v[0:1], -s[14:15]
	v_div_scale_f64 v[14:15], null, v[0:1], v[0:1], -s[8:9]
	s_delay_alu instid0(VALU_DEP_3) | instskip(NEXT) | instid1(VALU_DEP_3)
	v_fma_f64 v[4:5], v[2:3], v[2:3], v[4:5]
	v_div_scale_f64 v[12:13], null, v[0:1], v[0:1], v[6:7]
	s_delay_alu instid0(VALU_DEP_3) | instskip(NEXT) | instid1(VALU_DEP_2)
	v_rcp_f64_e32 v[22:23], v[14:15]
	v_div_scale_f64 v[8:9], null, v[4:5], v[4:5], v[2:3]
	v_div_scale_f64 v[10:11], null, v[4:5], v[4:5], -s[8:9]
	s_delay_alu instid0(VALU_DEP_3)
	v_rcp_f64_e32 v[20:21], v[12:13]
	s_waitcnt_depctr 0xfff
	v_fma_f64 v[30:31], -v[14:15], v[22:23], 1.0
	v_div_scale_f64 v[32:33], vcc_lo, v[2:3], v[4:5], v[2:3]
	v_rcp_f64_e32 v[16:17], v[8:9]
	v_rcp_f64_e32 v[18:19], v[10:11]
	s_delay_alu instid0(VALU_DEP_2)
	v_fma_f64 v[22:23], v[22:23], v[30:31], v[22:23]
	v_fma_f64 v[28:29], -v[12:13], v[20:21], 1.0
	s_waitcnt_depctr 0xfff
	v_fma_f64 v[24:25], -v[8:9], v[16:17], 1.0
	v_fma_f64 v[26:27], -v[10:11], v[18:19], 1.0
	v_fma_f64 v[30:31], -v[14:15], v[22:23], 1.0
	v_fma_f64 v[20:21], v[20:21], v[28:29], v[20:21]
	s_delay_alu instid0(VALU_DEP_4) | instskip(NEXT) | instid1(VALU_DEP_4)
	v_fma_f64 v[16:17], v[16:17], v[24:25], v[16:17]
	v_fma_f64 v[18:19], v[18:19], v[26:27], v[18:19]
	s_delay_alu instid0(VALU_DEP_4) | instskip(NEXT) | instid1(VALU_DEP_4)
	v_fma_f64 v[22:23], v[22:23], v[30:31], v[22:23]
	v_fma_f64 v[28:29], -v[12:13], v[20:21], 1.0
	s_delay_alu instid0(VALU_DEP_4) | instskip(NEXT) | instid1(VALU_DEP_4)
	v_fma_f64 v[24:25], -v[8:9], v[16:17], 1.0
	v_fma_f64 v[26:27], -v[10:11], v[18:19], 1.0
	s_delay_alu instid0(VALU_DEP_3) | instskip(SKIP_1) | instid1(VALU_DEP_4)
	v_fma_f64 v[20:21], v[20:21], v[28:29], v[20:21]
	v_div_scale_f64 v[28:29], s2, -s[8:9], v[0:1], -s[8:9]
	v_fma_f64 v[16:17], v[16:17], v[24:25], v[16:17]
	v_div_scale_f64 v[24:25], s0, -s[8:9], v[4:5], -s[8:9]
	v_fma_f64 v[18:19], v[18:19], v[26:27], v[18:19]
	v_div_scale_f64 v[26:27], s1, v[6:7], v[0:1], v[6:7]
	v_mul_f64 v[38:39], v[28:29], v[22:23]
	v_mul_f64 v[30:31], v[32:33], v[16:17]
	s_delay_alu instid0(VALU_DEP_4) | instskip(NEXT) | instid1(VALU_DEP_4)
	v_mul_f64 v[34:35], v[24:25], v[18:19]
	v_mul_f64 v[36:37], v[26:27], v[20:21]
	s_delay_alu instid0(VALU_DEP_4) | instskip(NEXT) | instid1(VALU_DEP_4)
	v_fma_f64 v[14:15], -v[14:15], v[38:39], v[28:29]
	v_fma_f64 v[8:9], -v[8:9], v[30:31], v[32:33]
	s_delay_alu instid0(VALU_DEP_4) | instskip(NEXT) | instid1(VALU_DEP_4)
	v_fma_f64 v[10:11], -v[10:11], v[34:35], v[24:25]
	v_fma_f64 v[12:13], -v[12:13], v[36:37], v[26:27]
	s_delay_alu instid0(VALU_DEP_3) | instskip(SKIP_1) | instid1(VALU_DEP_3)
	v_div_fmas_f64 v[8:9], v[8:9], v[16:17], v[30:31]
	s_mov_b32 vcc_lo, s0
	v_div_fmas_f64 v[10:11], v[10:11], v[18:19], v[34:35]
	s_mov_b32 vcc_lo, s1
	s_delay_alu instid0(VALU_DEP_3) | instskip(SKIP_3) | instid1(VALU_DEP_4)
	v_div_fmas_f64 v[12:13], v[12:13], v[20:21], v[36:37]
	s_mov_b32 vcc_lo, s2
	s_mov_b32 s2, s3
	v_div_fmas_f64 v[14:15], v[14:15], v[22:23], v[38:39]
	v_div_fixup_f64 v[2:3], v[8:9], v[4:5], v[2:3]
	s_delay_alu instid0(VALU_DEP_4)
	v_div_fixup_f64 v[4:5], v[10:11], v[4:5], -s[8:9]
	v_mov_b32_e32 v10, 0
	v_div_fixup_f64 v[6:7], v[12:13], v[0:1], v[6:7]
	v_div_fixup_f64 v[8:9], v[14:15], v[0:1], -s[8:9]
	s_clause 0x1
	global_store_b128 v10, v[2:5], s[6:7]
	global_store_b128 v10, v[6:9], s[4:5]
.LBB111_8:
	s_and_not1_b32 vcc_lo, exec_lo, s13
	s_cbranch_vccz .LBB111_11
; %bb.9:
	s_and_not1_b32 vcc_lo, exec_lo, s2
	s_cbranch_vccz .LBB111_12
; %bb.10:
	s_endpgm
.LBB111_11:
	v_dual_mov_b32 v2, s20 :: v_dual_mov_b32 v3, s21
	s_waitcnt vmcnt(0)
	flat_store_b64 v[2:3], v[0:1]
	v_mov_b32_e32 v0, 0
	v_mov_b32_e32 v1, 0x3ff00000
.LBB111_12:
	v_mov_b32_e32 v2, 0
	s_delay_alu instid0(VALU_DEP_1)
	v_mov_b32_e32 v3, v2
	s_waitcnt vmcnt(0) lgkmcnt(0)
	global_store_b128 v2, v[0:3], s[10:11]
	s_endpgm
	.section	.rodata,"a",@progbits
	.p2align	6, 0x0
	.amdhsa_kernel _ZN9rocsolver6v33100L11set_taubetaI19rocblas_complex_numIdEidPS3_EEvPT_lS6_T2_llPT1_ll
		.amdhsa_group_segment_fixed_size 0
		.amdhsa_private_segment_fixed_size 0
		.amdhsa_kernarg_size 72
		.amdhsa_user_sgpr_count 15
		.amdhsa_user_sgpr_dispatch_ptr 0
		.amdhsa_user_sgpr_queue_ptr 0
		.amdhsa_user_sgpr_kernarg_segment_ptr 1
		.amdhsa_user_sgpr_dispatch_id 0
		.amdhsa_user_sgpr_private_segment_size 0
		.amdhsa_wavefront_size32 1
		.amdhsa_uses_dynamic_stack 0
		.amdhsa_enable_private_segment 0
		.amdhsa_system_sgpr_workgroup_id_x 1
		.amdhsa_system_sgpr_workgroup_id_y 0
		.amdhsa_system_sgpr_workgroup_id_z 0
		.amdhsa_system_sgpr_workgroup_info 0
		.amdhsa_system_vgpr_workitem_id 0
		.amdhsa_next_free_vgpr 40
		.amdhsa_next_free_sgpr 22
		.amdhsa_reserve_vcc 1
		.amdhsa_float_round_mode_32 0
		.amdhsa_float_round_mode_16_64 0
		.amdhsa_float_denorm_mode_32 3
		.amdhsa_float_denorm_mode_16_64 3
		.amdhsa_dx10_clamp 1
		.amdhsa_ieee_mode 1
		.amdhsa_fp16_overflow 0
		.amdhsa_workgroup_processor_mode 1
		.amdhsa_memory_ordered 1
		.amdhsa_forward_progress 0
		.amdhsa_shared_vgpr_count 0
		.amdhsa_exception_fp_ieee_invalid_op 0
		.amdhsa_exception_fp_denorm_src 0
		.amdhsa_exception_fp_ieee_div_zero 0
		.amdhsa_exception_fp_ieee_overflow 0
		.amdhsa_exception_fp_ieee_underflow 0
		.amdhsa_exception_fp_ieee_inexact 0
		.amdhsa_exception_int_div_zero 0
	.end_amdhsa_kernel
	.section	.text._ZN9rocsolver6v33100L11set_taubetaI19rocblas_complex_numIdEidPS3_EEvPT_lS6_T2_llPT1_ll,"axG",@progbits,_ZN9rocsolver6v33100L11set_taubetaI19rocblas_complex_numIdEidPS3_EEvPT_lS6_T2_llPT1_ll,comdat
.Lfunc_end111:
	.size	_ZN9rocsolver6v33100L11set_taubetaI19rocblas_complex_numIdEidPS3_EEvPT_lS6_T2_llPT1_ll, .Lfunc_end111-_ZN9rocsolver6v33100L11set_taubetaI19rocblas_complex_numIdEidPS3_EEvPT_lS6_T2_llPT1_ll
                                        ; -- End function
	.section	.AMDGPU.csdata,"",@progbits
; Kernel info:
; codeLenInByte = 1156
; NumSgprs: 24
; NumVgprs: 40
; ScratchSize: 0
; MemoryBound: 0
; FloatMode: 240
; IeeeMode: 1
; LDSByteSize: 0 bytes/workgroup (compile time only)
; SGPRBlocks: 2
; VGPRBlocks: 4
; NumSGPRsForWavesPerEU: 24
; NumVGPRsForWavesPerEU: 40
; Occupancy: 16
; WaveLimiterHint : 0
; COMPUTE_PGM_RSRC2:SCRATCH_EN: 0
; COMPUTE_PGM_RSRC2:USER_SGPR: 15
; COMPUTE_PGM_RSRC2:TRAP_HANDLER: 0
; COMPUTE_PGM_RSRC2:TGID_X_EN: 1
; COMPUTE_PGM_RSRC2:TGID_Y_EN: 0
; COMPUTE_PGM_RSRC2:TGID_Z_EN: 0
; COMPUTE_PGM_RSRC2:TIDIG_COMP_CNT: 0
	.section	.text._ZN9rocsolver6v33100L13conj_in_placeI19rocblas_complex_numIdEiPS3_TnNSt9enable_ifIX18rocblas_is_complexIT_EEiE4typeELi0EEEvT0_S9_T1_lS9_l,"axG",@progbits,_ZN9rocsolver6v33100L13conj_in_placeI19rocblas_complex_numIdEiPS3_TnNSt9enable_ifIX18rocblas_is_complexIT_EEiE4typeELi0EEEvT0_S9_T1_lS9_l,comdat
	.globl	_ZN9rocsolver6v33100L13conj_in_placeI19rocblas_complex_numIdEiPS3_TnNSt9enable_ifIX18rocblas_is_complexIT_EEiE4typeELi0EEEvT0_S9_T1_lS9_l ; -- Begin function _ZN9rocsolver6v33100L13conj_in_placeI19rocblas_complex_numIdEiPS3_TnNSt9enable_ifIX18rocblas_is_complexIT_EEiE4typeELi0EEEvT0_S9_T1_lS9_l
	.p2align	8
	.type	_ZN9rocsolver6v33100L13conj_in_placeI19rocblas_complex_numIdEiPS3_TnNSt9enable_ifIX18rocblas_is_complexIT_EEiE4typeELi0EEEvT0_S9_T1_lS9_l,@function
_ZN9rocsolver6v33100L13conj_in_placeI19rocblas_complex_numIdEiPS3_TnNSt9enable_ifIX18rocblas_is_complexIT_EEiE4typeELi0EEEvT0_S9_T1_lS9_l: ; @_ZN9rocsolver6v33100L13conj_in_placeI19rocblas_complex_numIdEiPS3_TnNSt9enable_ifIX18rocblas_is_complexIT_EEiE4typeELi0EEEvT0_S9_T1_lS9_l
; %bb.0:
	s_clause 0x1
	s_load_b32 s4, s[0:1], 0x34
	s_load_b64 s[2:3], s[0:1], 0x0
	v_and_b32_e32 v2, 0x3ff, v0
	v_bfe_u32 v3, v0, 10, 10
	s_waitcnt lgkmcnt(0)
	s_lshr_b32 s5, s4, 16
	s_and_b32 s4, s4, 0xffff
	s_delay_alu instid0(VALU_DEP_1) | instid1(SALU_CYCLE_1)
	v_mad_u64_u32 v[0:1], null, s13, s4, v[2:3]
	v_mad_u64_u32 v[1:2], null, s14, s5, v[3:4]
	s_delay_alu instid0(VALU_DEP_2) | instskip(NEXT) | instid1(VALU_DEP_2)
	v_cmp_gt_i32_e32 vcc_lo, s2, v0
	v_cmp_gt_i32_e64 s2, s3, v1
	s_delay_alu instid0(VALU_DEP_1) | instskip(NEXT) | instid1(SALU_CYCLE_1)
	s_and_b32 s2, vcc_lo, s2
	s_and_saveexec_b32 s3, s2
	s_cbranch_execz .LBB112_2
; %bb.1:
	s_clause 0x2
	s_load_b64 s[4:5], s[0:1], 0x20
	s_load_b32 s6, s[0:1], 0x18
	s_load_b128 s[0:3], s[0:1], 0x8
	s_ashr_i32 s7, s15, 31
	s_waitcnt lgkmcnt(0)
	s_mul_i32 s5, s15, s5
	v_mad_i64_i32 v[5:6], null, v1, s6, 0
	s_mul_hi_u32 s8, s15, s4
	s_mul_i32 s7, s7, s4
	s_add_i32 s5, s8, s5
	s_mul_i32 s4, s15, s4
	s_add_i32 s5, s5, s7
	v_ashrrev_i32_e32 v1, 31, v0
	s_lshl_b64 s[4:5], s[4:5], 4
	v_lshlrev_b64 v[2:3], 4, v[5:6]
	s_add_u32 s4, s0, s4
	s_addc_u32 s5, s1, s5
	s_lshl_b64 s[0:1], s[2:3], 4
	v_lshlrev_b64 v[6:7], 4, v[0:1]
	s_add_u32 s0, s4, s0
	s_addc_u32 s1, s5, s1
	v_add_co_u32 v1, vcc_lo, s0, v2
	v_add_co_ci_u32_e32 v2, vcc_lo, s1, v3, vcc_lo
	v_add_nc_u32_e32 v5, v5, v0
	s_delay_alu instid0(VALU_DEP_3) | instskip(NEXT) | instid1(VALU_DEP_3)
	v_add_co_u32 v1, vcc_lo, v1, v6
	v_add_co_ci_u32_e32 v2, vcc_lo, v2, v7, vcc_lo
	s_delay_alu instid0(VALU_DEP_3) | instskip(SKIP_2) | instid1(VALU_DEP_1)
	v_ashrrev_i32_e32 v6, 31, v5
	global_load_b128 v[1:4], v[1:2], off
	v_lshlrev_b64 v[5:6], 4, v[5:6]
	v_add_co_u32 v5, vcc_lo, s0, v5
	s_delay_alu instid0(VALU_DEP_2)
	v_add_co_ci_u32_e32 v6, vcc_lo, s1, v6, vcc_lo
	s_waitcnt vmcnt(0)
	v_xor_b32_e32 v4, 0x80000000, v4
	global_store_b128 v[5:6], v[1:4], off
.LBB112_2:
	s_nop 0
	s_sendmsg sendmsg(MSG_DEALLOC_VGPRS)
	s_endpgm
	.section	.rodata,"a",@progbits
	.p2align	6, 0x0
	.amdhsa_kernel _ZN9rocsolver6v33100L13conj_in_placeI19rocblas_complex_numIdEiPS3_TnNSt9enable_ifIX18rocblas_is_complexIT_EEiE4typeELi0EEEvT0_S9_T1_lS9_l
		.amdhsa_group_segment_fixed_size 0
		.amdhsa_private_segment_fixed_size 0
		.amdhsa_kernarg_size 296
		.amdhsa_user_sgpr_count 13
		.amdhsa_user_sgpr_dispatch_ptr 0
		.amdhsa_user_sgpr_queue_ptr 0
		.amdhsa_user_sgpr_kernarg_segment_ptr 1
		.amdhsa_user_sgpr_dispatch_id 0
		.amdhsa_user_sgpr_private_segment_size 0
		.amdhsa_wavefront_size32 1
		.amdhsa_uses_dynamic_stack 0
		.amdhsa_enable_private_segment 0
		.amdhsa_system_sgpr_workgroup_id_x 1
		.amdhsa_system_sgpr_workgroup_id_y 1
		.amdhsa_system_sgpr_workgroup_id_z 1
		.amdhsa_system_sgpr_workgroup_info 0
		.amdhsa_system_vgpr_workitem_id 1
		.amdhsa_next_free_vgpr 8
		.amdhsa_next_free_sgpr 16
		.amdhsa_reserve_vcc 1
		.amdhsa_float_round_mode_32 0
		.amdhsa_float_round_mode_16_64 0
		.amdhsa_float_denorm_mode_32 3
		.amdhsa_float_denorm_mode_16_64 3
		.amdhsa_dx10_clamp 1
		.amdhsa_ieee_mode 1
		.amdhsa_fp16_overflow 0
		.amdhsa_workgroup_processor_mode 1
		.amdhsa_memory_ordered 1
		.amdhsa_forward_progress 0
		.amdhsa_shared_vgpr_count 0
		.amdhsa_exception_fp_ieee_invalid_op 0
		.amdhsa_exception_fp_denorm_src 0
		.amdhsa_exception_fp_ieee_div_zero 0
		.amdhsa_exception_fp_ieee_overflow 0
		.amdhsa_exception_fp_ieee_underflow 0
		.amdhsa_exception_fp_ieee_inexact 0
		.amdhsa_exception_int_div_zero 0
	.end_amdhsa_kernel
	.section	.text._ZN9rocsolver6v33100L13conj_in_placeI19rocblas_complex_numIdEiPS3_TnNSt9enable_ifIX18rocblas_is_complexIT_EEiE4typeELi0EEEvT0_S9_T1_lS9_l,"axG",@progbits,_ZN9rocsolver6v33100L13conj_in_placeI19rocblas_complex_numIdEiPS3_TnNSt9enable_ifIX18rocblas_is_complexIT_EEiE4typeELi0EEEvT0_S9_T1_lS9_l,comdat
.Lfunc_end112:
	.size	_ZN9rocsolver6v33100L13conj_in_placeI19rocblas_complex_numIdEiPS3_TnNSt9enable_ifIX18rocblas_is_complexIT_EEiE4typeELi0EEEvT0_S9_T1_lS9_l, .Lfunc_end112-_ZN9rocsolver6v33100L13conj_in_placeI19rocblas_complex_numIdEiPS3_TnNSt9enable_ifIX18rocblas_is_complexIT_EEiE4typeELi0EEEvT0_S9_T1_lS9_l
                                        ; -- End function
	.section	.AMDGPU.csdata,"",@progbits
; Kernel info:
; codeLenInByte = 320
; NumSgprs: 18
; NumVgprs: 8
; ScratchSize: 0
; MemoryBound: 0
; FloatMode: 240
; IeeeMode: 1
; LDSByteSize: 0 bytes/workgroup (compile time only)
; SGPRBlocks: 2
; VGPRBlocks: 0
; NumSGPRsForWavesPerEU: 18
; NumVGPRsForWavesPerEU: 8
; Occupancy: 16
; WaveLimiterHint : 0
; COMPUTE_PGM_RSRC2:SCRATCH_EN: 0
; COMPUTE_PGM_RSRC2:USER_SGPR: 13
; COMPUTE_PGM_RSRC2:TRAP_HANDLER: 0
; COMPUTE_PGM_RSRC2:TGID_X_EN: 1
; COMPUTE_PGM_RSRC2:TGID_Y_EN: 1
; COMPUTE_PGM_RSRC2:TGID_Z_EN: 1
; COMPUTE_PGM_RSRC2:TIDIG_COMP_CNT: 1
	.section	.text._ZN9rocsolver6v33100L16larf_left_kernelILi1024E19rocblas_complex_numIdEiPS3_EEvT1_S5_T2_lS5_lPKT0_lS6_lS5_l,"axG",@progbits,_ZN9rocsolver6v33100L16larf_left_kernelILi1024E19rocblas_complex_numIdEiPS3_EEvT1_S5_T2_lS5_lPKT0_lS6_lS5_l,comdat
	.globl	_ZN9rocsolver6v33100L16larf_left_kernelILi1024E19rocblas_complex_numIdEiPS3_EEvT1_S5_T2_lS5_lPKT0_lS6_lS5_l ; -- Begin function _ZN9rocsolver6v33100L16larf_left_kernelILi1024E19rocblas_complex_numIdEiPS3_EEvT1_S5_T2_lS5_lPKT0_lS6_lS5_l
	.p2align	8
	.type	_ZN9rocsolver6v33100L16larf_left_kernelILi1024E19rocblas_complex_numIdEiPS3_EEvT1_S5_T2_lS5_lPKT0_lS6_lS5_l,@function
_ZN9rocsolver6v33100L16larf_left_kernelILi1024E19rocblas_complex_numIdEiPS3_EEvT1_S5_T2_lS5_lPKT0_lS6_lS5_l: ; @_ZN9rocsolver6v33100L16larf_left_kernelILi1024E19rocblas_complex_numIdEiPS3_EEvT1_S5_T2_lS5_lPKT0_lS6_lS5_l
; %bb.0:
	s_clause 0x4
	s_load_b32 s20, s[0:1], 0x0
	s_load_b64 s[2:3], s[0:1], 0x50
	s_load_b32 s16, s[0:1], 0x48
	s_load_b64 s[12:13], s[0:1], 0x40
	s_load_b256 s[4:11], s[0:1], 0x20
	v_mov_b32_e32 v1, 0
	v_dual_mov_b32 v2, 0 :: v_dual_lshlrev_b32 v7, 4, v0
	s_ashr_i32 s24, s15, 31
	s_delay_alu instid0(VALU_DEP_1)
	v_dual_mov_b32 v4, v2 :: v_dual_mov_b32 v3, v1
	s_waitcnt lgkmcnt(0)
	v_cmp_gt_i32_e32 vcc_lo, s20, v0
	s_mul_i32 s21, s2, s24
	s_mul_hi_u32 s22, s2, s15
	s_mul_i32 s23, s3, s15
	s_mul_i32 s18, s2, s15
	s_mul_hi_i32 s17, s14, s16
	s_mul_i32 s16, s14, s16
	s_and_saveexec_b32 s14, vcc_lo
	s_cbranch_execz .LBB113_6
; %bb.1:
	s_clause 0x1
	s_load_b32 s26, s[0:1], 0x18
	s_load_b128 s[0:3], s[0:1], 0x8
	s_sub_i32 s19, 1, s20
	s_mul_i32 s25, s4, s24
	s_mul_hi_u32 s29, s4, s15
	s_mul_i32 s5, s5, s15
	s_mul_i32 s4, s4, s15
	v_add3_u32 v8, v7, 0, 0x200
	v_mov_b32_e32 v4, v0
	s_delay_alu instid0(VALU_DEP_2)
	v_mov_b32_e32 v3, v8
	s_waitcnt lgkmcnt(0)
	s_ashr_i32 s27, s26, 31
	v_mad_i64_i32 v[1:2], null, s26, v0, 0
	v_cmp_lt_i64_e64 s28, s[26:27], 1
	s_mul_i32 s19, s19, s26
	s_delay_alu instid0(VALU_DEP_1)
	s_and_b32 s28, s28, exec_lo
	s_cselect_b32 s28, s19, 0
	s_add_i32 s19, s29, s25
	s_ashr_i32 s29, s28, 31
	s_add_i32 s5, s19, s5
	s_lshl_b64 s[28:29], s[28:29], 4
	s_lshl_b64 s[2:3], s[2:3], 4
	;; [unrolled: 1-line block ×3, first 2 shown]
	v_lshlrev_b64 v[1:2], 4, v[1:2]
	s_add_u32 s0, s0, s28
	s_addc_u32 s1, s1, s29
	s_add_u32 s0, s0, s2
	s_addc_u32 s1, s1, s3
	;; [unrolled: 2-line block ×3, first 2 shown]
	v_add_co_u32 v1, s0, s0, v1
	s_delay_alu instid0(VALU_DEP_1)
	v_add_co_ci_u32_e64 v2, s0, s1, v2, s0
	s_mov_b32 s4, 0
	s_lshl_b64 s[2:3], s[26:27], 14
	.p2align	6
.LBB113_2:                              ; =>This Inner Loop Header: Depth=1
	global_load_b128 v[9:12], v[1:2], off
	v_add_nc_u32_e32 v4, 0x400, v4
	v_add_co_u32 v1, s0, v1, s2
	s_delay_alu instid0(VALU_DEP_1) | instskip(NEXT) | instid1(VALU_DEP_3)
	v_add_co_ci_u32_e64 v2, s0, s3, v2, s0
	v_cmp_le_i32_e64 s1, s20, v4
	s_delay_alu instid0(VALU_DEP_1)
	s_or_b32 s4, s1, s4
	s_waitcnt vmcnt(0)
	ds_store_2addr_b64 v3, v[9:10], v[11:12] offset1:1
	v_add_nc_u32_e32 v3, 0x4000, v3
	s_and_not1_b32 exec_lo, exec_lo, s4
	s_cbranch_execnz .LBB113_2
; %bb.3:
	s_or_b32 exec_lo, exec_lo, s4
	s_add_i32 s0, s22, s21
	v_lshlrev_b32_e32 v1, 4, v0
	s_add_i32 s19, s0, s23
	s_lshl_b64 s[0:1], s[16:17], 4
	s_lshl_b64 s[2:3], s[18:19], 4
	v_mov_b32_e32 v9, v0
	s_add_u32 s2, s2, s0
	s_addc_u32 s3, s3, s1
	s_lshl_b64 s[0:1], s[12:13], 4
	s_delay_alu instid0(SALU_CYCLE_1)
	s_add_u32 s0, s2, s0
	s_addc_u32 s1, s3, s1
	s_add_u32 s0, s10, s0
	s_addc_u32 s1, s11, s1
	v_add_co_u32 v3, s0, s0, v1
	v_mov_b32_e32 v1, 0
	v_add_co_ci_u32_e64 v4, null, s1, 0, s0
	v_mov_b32_e32 v2, 0
	s_delay_alu instid0(VALU_DEP_4) | instskip(NEXT) | instid1(VALU_DEP_1)
	v_add_co_u32 v5, s0, v3, 8
	v_add_co_ci_u32_e64 v6, s0, 0, v4, s0
	s_delay_alu instid0(VALU_DEP_3)
	v_dual_mov_b32 v4, v2 :: v_dual_mov_b32 v3, v1
	s_mov_b32 s2, 0
	.p2align	6
.LBB113_4:                              ; =>This Inner Loop Header: Depth=1
	global_load_b128 v[10:13], v[5:6], off offset:-8
	ds_load_2addr_b64 v[14:17], v8 offset1:1
	v_add_nc_u32_e32 v9, 0x400, v9
	v_add_co_u32 v5, s1, 0x4000, v5
	v_add_nc_u32_e32 v8, 0x4000, v8
	v_add_co_ci_u32_e64 v6, s1, 0, v6, s1
	s_delay_alu instid0(VALU_DEP_4) | instskip(NEXT) | instid1(VALU_DEP_1)
	v_cmp_le_i32_e64 s0, s20, v9
	s_or_b32 s2, s0, s2
	s_waitcnt vmcnt(0) lgkmcnt(0)
	v_mul_f64 v[18:19], v[12:13], v[16:17]
	v_mul_f64 v[12:13], v[12:13], v[14:15]
	s_delay_alu instid0(VALU_DEP_2) | instskip(NEXT) | instid1(VALU_DEP_2)
	v_fma_f64 v[14:15], v[10:11], v[14:15], v[18:19]
	v_fma_f64 v[10:11], v[10:11], v[16:17], -v[12:13]
	s_delay_alu instid0(VALU_DEP_2) | instskip(NEXT) | instid1(VALU_DEP_2)
	v_add_f64 v[3:4], v[3:4], v[14:15]
	v_add_f64 v[1:2], v[1:2], v[10:11]
	s_and_not1_b32 exec_lo, exec_lo, s2
	s_cbranch_execnz .LBB113_4
; %bb.5:
	s_or_b32 exec_lo, exec_lo, s2
.LBB113_6:
	s_delay_alu instid0(SALU_CYCLE_1) | instskip(SKIP_2) | instid1(VALU_DEP_1)
	s_or_b32 exec_lo, exec_lo, s14
	v_mbcnt_lo_u32_b32 v10, -1, 0
	s_mov_b32 s1, exec_lo
	v_cmp_ne_u32_e64 s0, 31, v10
	s_delay_alu instid0(VALU_DEP_1) | instskip(SKIP_1) | instid1(VALU_DEP_2)
	v_add_co_ci_u32_e64 v5, s0, 0, v10, s0
	v_cmp_gt_u32_e64 s0, 30, v10
	v_lshlrev_b32_e32 v9, 2, v5
	ds_bpermute_b32 v5, v9, v3
	ds_bpermute_b32 v6, v9, v4
	ds_bpermute_b32 v8, v9, v1
	ds_bpermute_b32 v9, v9, v2
	s_waitcnt lgkmcnt(2)
	v_add_f64 v[3:4], v[3:4], v[5:6]
	v_cndmask_b32_e64 v5, 0, 1, s0
	s_waitcnt lgkmcnt(0)
	v_add_f64 v[1:2], v[1:2], v[8:9]
	v_cmp_gt_u32_e64 s0, 28, v10
	s_delay_alu instid0(VALU_DEP_3) | instskip(NEXT) | instid1(VALU_DEP_1)
	v_lshlrev_b32_e32 v5, 1, v5
	v_add_lshl_u32 v9, v5, v10, 2
	ds_bpermute_b32 v5, v9, v3
	ds_bpermute_b32 v6, v9, v4
	ds_bpermute_b32 v8, v9, v1
	ds_bpermute_b32 v9, v9, v2
	s_waitcnt lgkmcnt(2)
	v_add_f64 v[3:4], v[3:4], v[5:6]
	v_cndmask_b32_e64 v5, 0, 1, s0
	s_waitcnt lgkmcnt(0)
	v_add_f64 v[1:2], v[1:2], v[8:9]
	v_cmp_gt_u32_e64 s0, 24, v10
	s_delay_alu instid0(VALU_DEP_3) | instskip(NEXT) | instid1(VALU_DEP_1)
	v_lshlrev_b32_e32 v5, 2, v5
	v_add_lshl_u32 v9, v5, v10, 2
	;; [unrolled: 13-line block ×3, first 2 shown]
	ds_bpermute_b32 v5, v9, v3
	ds_bpermute_b32 v6, v9, v4
	;; [unrolled: 1-line block ×4, first 2 shown]
	s_waitcnt lgkmcnt(2)
	v_add_f64 v[3:4], v[3:4], v[5:6]
	s_waitcnt lgkmcnt(0)
	v_add_f64 v[5:6], v[1:2], v[8:9]
	v_cndmask_b32_e64 v1, 0, 1, s0
	s_delay_alu instid0(VALU_DEP_1) | instskip(NEXT) | instid1(VALU_DEP_1)
	v_lshlrev_b32_e32 v1, 4, v1
	v_add_lshl_u32 v9, v1, v10, 2
	ds_bpermute_b32 v1, v9, v3
	ds_bpermute_b32 v2, v9, v4
	;; [unrolled: 1-line block ×4, first 2 shown]
	s_waitcnt lgkmcnt(2)
	v_add_f64 v[1:2], v[3:4], v[1:2]
	s_waitcnt lgkmcnt(0)
	v_add_f64 v[3:4], v[5:6], v[8:9]
	v_and_b32_e32 v5, 31, v0
	s_delay_alu instid0(VALU_DEP_1)
	v_cmpx_eq_u32_e32 0, v5
	s_cbranch_execz .LBB113_8
; %bb.7:
	v_lshrrev_b32_e32 v5, 1, v0
	s_delay_alu instid0(VALU_DEP_1)
	v_add_nc_u32_e32 v5, 0, v5
	ds_store_2addr_b64 v5, v[1:2], v[3:4] offset1:1
.LBB113_8:
	s_or_b32 exec_lo, exec_lo, s1
	s_delay_alu instid0(SALU_CYCLE_1)
	s_mov_b32 s1, exec_lo
	s_waitcnt lgkmcnt(0)
	s_barrier
	buffer_gl0_inv
	v_cmpx_eq_u32_e32 0, v0
	s_cbranch_execz .LBB113_10
; %bb.9:
	v_mov_b32_e32 v16, 0
	ds_load_2addr_b64 v[8:11], v16 offset0:2 offset1:3
	ds_load_2addr_b64 v[12:15], v16 offset0:4 offset1:5
	s_waitcnt lgkmcnt(1)
	v_add_f64 v[1:2], v[1:2], v[8:9]
	v_add_f64 v[3:4], v[3:4], v[10:11]
	s_waitcnt lgkmcnt(0)
	s_delay_alu instid0(VALU_DEP_2) | instskip(NEXT) | instid1(VALU_DEP_2)
	v_add_f64 v[5:6], v[1:2], v[12:13]
	v_add_f64 v[12:13], v[3:4], v[14:15]
	ds_load_2addr_b64 v[1:4], v16 offset0:6 offset1:7
	ds_load_2addr_b64 v[8:11], v16 offset0:8 offset1:9
	s_waitcnt lgkmcnt(1)
	v_add_f64 v[1:2], v[5:6], v[1:2]
	v_add_f64 v[3:4], v[12:13], v[3:4]
	s_waitcnt lgkmcnt(0)
	s_delay_alu instid0(VALU_DEP_2) | instskip(NEXT) | instid1(VALU_DEP_2)
	v_add_f64 v[5:6], v[1:2], v[8:9]
	v_add_f64 v[12:13], v[3:4], v[10:11]
	;; [unrolled: 9-line block ×15, first 2 shown]
	ds_load_2addr_b64 v[1:4], v16 offset0:62 offset1:63
	s_waitcnt lgkmcnt(0)
	v_add_f64 v[1:2], v[5:6], v[1:2]
	v_add_f64 v[3:4], v[8:9], v[3:4]
	ds_store_2addr_b64 v16, v[1:2], v[3:4] offset1:1
.LBB113_10:
	s_or_b32 exec_lo, exec_lo, s1
	s_waitcnt lgkmcnt(0)
	s_barrier
	buffer_gl0_inv
	s_and_saveexec_b32 s0, vcc_lo
	s_cbranch_execz .LBB113_13
; %bb.11:
	s_mul_i32 s0, s15, s9
	s_mul_hi_u32 s1, s15, s8
	s_mul_i32 s2, s24, s8
	s_add_i32 s0, s1, s0
	v_mov_b32_e32 v1, 0
	s_add_i32 s1, s0, s2
	s_mul_i32 s0, s15, s8
	s_delay_alu instid0(SALU_CYCLE_1)
	s_lshl_b64 s[0:1], s[0:1], 4
	ds_load_2addr_b64 v[1:4], v1 offset1:1
	s_add_u32 s0, s6, s0
	s_addc_u32 s1, s7, s1
	s_load_b128 s[0:3], s[0:1], 0x0
	s_waitcnt lgkmcnt(0)
	v_mul_f64 v[5:6], s[2:3], v[3:4]
	v_mul_f64 v[8:9], s[2:3], v[1:2]
	s_lshl_b64 s[2:3], s[16:17], 4
	s_delay_alu instid0(VALU_DEP_2) | instskip(NEXT) | instid1(VALU_DEP_2)
	v_fma_f64 v[1:2], v[1:2], -s[0:1], -v[5:6]
	v_fma_f64 v[3:4], s[0:1], v[3:4], -v[8:9]
	s_add_i32 s0, s22, s21
	s_delay_alu instid0(SALU_CYCLE_1) | instskip(NEXT) | instid1(SALU_CYCLE_1)
	s_add_i32 s19, s0, s23
	s_lshl_b64 s[0:1], s[18:19], 4
	s_delay_alu instid0(SALU_CYCLE_1) | instskip(SKIP_2) | instid1(SALU_CYCLE_1)
	s_add_u32 s2, s0, s2
	s_addc_u32 s3, s1, s3
	s_lshl_b64 s[0:1], s[12:13], 4
	s_add_u32 s0, s2, s0
	s_addc_u32 s1, s3, s1
	s_add_u32 s0, s10, s0
	s_addc_u32 s1, s11, s1
	v_add_co_u32 v5, s0, s0, v7
	s_delay_alu instid0(VALU_DEP_1) | instskip(SKIP_1) | instid1(VALU_DEP_3)
	v_add_co_ci_u32_e64 v6, null, s1, 0, s0
	v_add3_u32 v7, v7, 0, 0x200
	v_add_co_u32 v5, vcc_lo, v5, 8
	s_delay_alu instid0(VALU_DEP_3)
	v_add_co_ci_u32_e32 v6, vcc_lo, 0, v6, vcc_lo
	s_mov_b32 s1, 0
	.p2align	6
.LBB113_12:                             ; =>This Inner Loop Header: Depth=1
	global_load_b128 v[8:11], v[5:6], off offset:-8
	ds_load_2addr_b64 v[12:15], v7 offset1:1
	v_add_nc_u32_e32 v0, 0x400, v0
	v_add_nc_u32_e32 v7, 0x4000, v7
	s_delay_alu instid0(VALU_DEP_2) | instskip(SKIP_4) | instid1(VALU_DEP_2)
	v_cmp_le_i32_e32 vcc_lo, s20, v0
	s_or_b32 s1, vcc_lo, s1
	s_waitcnt lgkmcnt(0)
	v_mul_f64 v[16:17], v[3:4], v[14:15]
	v_mul_f64 v[14:15], v[1:2], v[14:15]
	v_fma_f64 v[16:17], v[1:2], v[12:13], -v[16:17]
	s_delay_alu instid0(VALU_DEP_2) | instskip(SKIP_1) | instid1(VALU_DEP_2)
	v_fma_f64 v[12:13], v[3:4], v[12:13], v[14:15]
	s_waitcnt vmcnt(0)
	v_add_f64 v[8:9], v[8:9], v[16:17]
	s_delay_alu instid0(VALU_DEP_2) | instskip(SKIP_2) | instid1(VALU_DEP_1)
	v_add_f64 v[10:11], v[10:11], v[12:13]
	global_store_b128 v[5:6], v[8:11], off offset:-8
	v_add_co_u32 v5, s0, 0x4000, v5
	v_add_co_ci_u32_e64 v6, s0, 0, v6, s0
	s_and_not1_b32 exec_lo, exec_lo, s1
	s_cbranch_execnz .LBB113_12
.LBB113_13:
	s_nop 0
	s_sendmsg sendmsg(MSG_DEALLOC_VGPRS)
	s_endpgm
	.section	.rodata,"a",@progbits
	.p2align	6, 0x0
	.amdhsa_kernel _ZN9rocsolver6v33100L16larf_left_kernelILi1024E19rocblas_complex_numIdEiPS3_EEvT1_S5_T2_lS5_lPKT0_lS6_lS5_l
		.amdhsa_group_segment_fixed_size 0
		.amdhsa_private_segment_fixed_size 0
		.amdhsa_kernarg_size 88
		.amdhsa_user_sgpr_count 13
		.amdhsa_user_sgpr_dispatch_ptr 0
		.amdhsa_user_sgpr_queue_ptr 0
		.amdhsa_user_sgpr_kernarg_segment_ptr 1
		.amdhsa_user_sgpr_dispatch_id 0
		.amdhsa_user_sgpr_private_segment_size 0
		.amdhsa_wavefront_size32 1
		.amdhsa_uses_dynamic_stack 0
		.amdhsa_enable_private_segment 0
		.amdhsa_system_sgpr_workgroup_id_x 1
		.amdhsa_system_sgpr_workgroup_id_y 1
		.amdhsa_system_sgpr_workgroup_id_z 1
		.amdhsa_system_sgpr_workgroup_info 0
		.amdhsa_system_vgpr_workitem_id 0
		.amdhsa_next_free_vgpr 20
		.amdhsa_next_free_sgpr 30
		.amdhsa_reserve_vcc 1
		.amdhsa_float_round_mode_32 0
		.amdhsa_float_round_mode_16_64 0
		.amdhsa_float_denorm_mode_32 3
		.amdhsa_float_denorm_mode_16_64 3
		.amdhsa_dx10_clamp 1
		.amdhsa_ieee_mode 1
		.amdhsa_fp16_overflow 0
		.amdhsa_workgroup_processor_mode 1
		.amdhsa_memory_ordered 1
		.amdhsa_forward_progress 0
		.amdhsa_shared_vgpr_count 0
		.amdhsa_exception_fp_ieee_invalid_op 0
		.amdhsa_exception_fp_denorm_src 0
		.amdhsa_exception_fp_ieee_div_zero 0
		.amdhsa_exception_fp_ieee_overflow 0
		.amdhsa_exception_fp_ieee_underflow 0
		.amdhsa_exception_fp_ieee_inexact 0
		.amdhsa_exception_int_div_zero 0
	.end_amdhsa_kernel
	.section	.text._ZN9rocsolver6v33100L16larf_left_kernelILi1024E19rocblas_complex_numIdEiPS3_EEvT1_S5_T2_lS5_lPKT0_lS6_lS5_l,"axG",@progbits,_ZN9rocsolver6v33100L16larf_left_kernelILi1024E19rocblas_complex_numIdEiPS3_EEvT1_S5_T2_lS5_lPKT0_lS6_lS5_l,comdat
.Lfunc_end113:
	.size	_ZN9rocsolver6v33100L16larf_left_kernelILi1024E19rocblas_complex_numIdEiPS3_EEvT1_S5_T2_lS5_lPKT0_lS6_lS5_l, .Lfunc_end113-_ZN9rocsolver6v33100L16larf_left_kernelILi1024E19rocblas_complex_numIdEiPS3_EEvT1_S5_T2_lS5_lPKT0_lS6_lS5_l
                                        ; -- End function
	.section	.AMDGPU.csdata,"",@progbits
; Kernel info:
; codeLenInByte = 2492
; NumSgprs: 32
; NumVgprs: 20
; ScratchSize: 0
; MemoryBound: 0
; FloatMode: 240
; IeeeMode: 1
; LDSByteSize: 0 bytes/workgroup (compile time only)
; SGPRBlocks: 3
; VGPRBlocks: 2
; NumSGPRsForWavesPerEU: 32
; NumVGPRsForWavesPerEU: 20
; Occupancy: 16
; WaveLimiterHint : 0
; COMPUTE_PGM_RSRC2:SCRATCH_EN: 0
; COMPUTE_PGM_RSRC2:USER_SGPR: 13
; COMPUTE_PGM_RSRC2:TRAP_HANDLER: 0
; COMPUTE_PGM_RSRC2:TGID_X_EN: 1
; COMPUTE_PGM_RSRC2:TGID_Y_EN: 1
; COMPUTE_PGM_RSRC2:TGID_Z_EN: 1
; COMPUTE_PGM_RSRC2:TIDIG_COMP_CNT: 0
	.section	.text._ZN9rocsolver6v33100L17larf_right_kernelILi1024E19rocblas_complex_numIdEiPS3_EEvT1_S5_T2_lS5_lPKT0_lS6_lS5_l,"axG",@progbits,_ZN9rocsolver6v33100L17larf_right_kernelILi1024E19rocblas_complex_numIdEiPS3_EEvT1_S5_T2_lS5_lPKT0_lS6_lS5_l,comdat
	.globl	_ZN9rocsolver6v33100L17larf_right_kernelILi1024E19rocblas_complex_numIdEiPS3_EEvT1_S5_T2_lS5_lPKT0_lS6_lS5_l ; -- Begin function _ZN9rocsolver6v33100L17larf_right_kernelILi1024E19rocblas_complex_numIdEiPS3_EEvT1_S5_T2_lS5_lPKT0_lS6_lS5_l
	.p2align	8
	.type	_ZN9rocsolver6v33100L17larf_right_kernelILi1024E19rocblas_complex_numIdEiPS3_EEvT1_S5_T2_lS5_lPKT0_lS6_lS5_l,@function
_ZN9rocsolver6v33100L17larf_right_kernelILi1024E19rocblas_complex_numIdEiPS3_EEvT1_S5_T2_lS5_lPKT0_lS6_lS5_l: ; @_ZN9rocsolver6v33100L17larf_right_kernelILi1024E19rocblas_complex_numIdEiPS3_EEvT1_S5_T2_lS5_lPKT0_lS6_lS5_l
; %bb.0:
	s_clause 0x4
	s_load_b32 s24, s[0:1], 0x4
	s_load_b64 s[16:17], s[0:1], 0x50
	s_load_b64 s[20:21], s[0:1], 0x40
	s_load_b32 s12, s[0:1], 0x48
	s_load_b256 s[4:11], s[0:1], 0x20
	v_mov_b32_e32 v1, 0
	v_dual_mov_b32 v2, 0 :: v_dual_lshlrev_b32 v7, 4, v0
	s_mov_b32 s2, s15
	s_ashr_i32 s27, s15, 31
	s_ashr_i32 s15, s14, 31
	s_delay_alu instid0(VALU_DEP_1)
	v_dual_mov_b32 v4, v2 :: v_dual_mov_b32 v3, v1
	s_waitcnt lgkmcnt(0)
	v_cmp_gt_i32_e32 vcc_lo, s24, v0
	s_mul_i32 s3, s16, s27
	s_mul_hi_u32 s25, s16, s2
	s_mul_i32 s26, s17, s2
	s_mul_i32 s22, s16, s2
	s_and_saveexec_b32 s28, vcc_lo
	s_cbranch_execz .LBB114_6
; %bb.1:
	s_clause 0x1
	s_load_b32 s30, s[0:1], 0x18
	s_load_b128 s[16:19], s[0:1], 0x8
	s_sub_i32 s1, 1, s24
	s_mul_i32 s13, s4, s27
	s_mul_hi_u32 s29, s4, s2
	s_mul_i32 s0, s4, s2
	s_mul_i32 s33, s5, s2
	v_add3_u32 v8, v7, 0, 0x200
	v_mov_b32_e32 v4, v0
	s_delay_alu instid0(VALU_DEP_2)
	v_mov_b32_e32 v3, v8
	s_waitcnt lgkmcnt(0)
	s_ashr_i32 s31, s30, 31
	v_mad_i64_i32 v[1:2], null, s30, v0, 0
	v_cmp_lt_i64_e64 s23, s[30:31], 1
	s_mul_i32 s1, s1, s30
	s_delay_alu instid0(VALU_DEP_1)
	s_and_b32 s4, s23, exec_lo
	s_cselect_b32 s4, s1, 0
	s_add_i32 s1, s29, s13
	s_ashr_i32 s5, s4, 31
	s_add_i32 s1, s1, s33
	s_lshl_b64 s[4:5], s[4:5], 4
	s_lshl_b64 s[18:19], s[18:19], 4
	;; [unrolled: 1-line block ×3, first 2 shown]
	v_lshlrev_b64 v[1:2], 4, v[1:2]
	s_add_u32 s4, s16, s4
	s_addc_u32 s5, s17, s5
	s_add_u32 s4, s4, s18
	s_addc_u32 s5, s5, s19
	;; [unrolled: 2-line block ×3, first 2 shown]
	v_add_co_u32 v1, s0, s0, v1
	s_delay_alu instid0(VALU_DEP_1)
	v_add_co_ci_u32_e64 v2, s0, s1, v2, s0
	s_mov_b32 s13, 0
	s_lshl_b64 s[4:5], s[30:31], 14
	.p2align	6
.LBB114_2:                              ; =>This Inner Loop Header: Depth=1
	global_load_b128 v[9:12], v[1:2], off
	v_add_nc_u32_e32 v4, 0x400, v4
	v_add_co_u32 v1, s0, v1, s4
	s_delay_alu instid0(VALU_DEP_1) | instskip(NEXT) | instid1(VALU_DEP_3)
	v_add_co_ci_u32_e64 v2, s0, s5, v2, s0
	v_cmp_le_i32_e64 s1, s24, v4
	s_delay_alu instid0(VALU_DEP_1)
	s_or_b32 s13, s1, s13
	s_waitcnt vmcnt(0)
	ds_store_2addr_b64 v3, v[9:10], v[11:12] offset1:1
	v_add_nc_u32_e32 v3, 0x4000, v3
	s_and_not1_b32 exec_lo, exec_lo, s13
	s_cbranch_execnz .LBB114_2
; %bb.3:
	s_or_b32 exec_lo, exec_lo, s13
	v_mad_i64_i32 v[1:2], null, s12, v0, 0
	s_add_i32 s4, s25, s3
	s_ashr_i32 s13, s12, 31
	s_add_i32 s23, s4, s26
	s_lshl_b64 s[4:5], s[14:15], 4
	s_lshl_b64 s[0:1], s[20:21], 4
	;; [unrolled: 1-line block ×3, first 2 shown]
	s_delay_alu instid0(VALU_DEP_1)
	v_lshlrev_b64 v[1:2], 4, v[1:2]
	s_add_u32 s4, s10, s4
	s_addc_u32 s5, s11, s5
	s_add_u32 s0, s4, s0
	s_addc_u32 s1, s5, s1
	;; [unrolled: 2-line block ×3, first 2 shown]
	v_add_co_u32 v3, s0, s0, v1
	s_delay_alu instid0(VALU_DEP_1) | instskip(SKIP_2) | instid1(VALU_DEP_4)
	v_add_co_ci_u32_e64 v4, s0, s1, v2, s0
	v_mov_b32_e32 v1, 0
	v_dual_mov_b32 v2, 0 :: v_dual_mov_b32 v9, v0
	v_add_co_u32 v5, s0, v3, 8
	s_delay_alu instid0(VALU_DEP_1) | instskip(NEXT) | instid1(VALU_DEP_3)
	v_add_co_ci_u32_e64 v6, s0, 0, v4, s0
	v_dual_mov_b32 v4, v2 :: v_dual_mov_b32 v3, v1
	s_lshl_b64 s[4:5], s[12:13], 14
	s_mov_b32 s13, 0
	.p2align	6
.LBB114_4:                              ; =>This Inner Loop Header: Depth=1
	global_load_b128 v[10:13], v[5:6], off offset:-8
	ds_load_2addr_b64 v[14:17], v8 offset1:1
	v_add_nc_u32_e32 v9, 0x400, v9
	v_add_co_u32 v5, s1, v5, s4
	v_add_nc_u32_e32 v8, 0x4000, v8
	v_add_co_ci_u32_e64 v6, s1, s5, v6, s1
	s_delay_alu instid0(VALU_DEP_4) | instskip(NEXT) | instid1(VALU_DEP_1)
	v_cmp_le_i32_e64 s0, s24, v9
	s_or_b32 s13, s0, s13
	s_waitcnt vmcnt(0) lgkmcnt(0)
	v_mul_f64 v[18:19], v[16:17], v[12:13]
	v_mul_f64 v[12:13], v[14:15], v[12:13]
	s_delay_alu instid0(VALU_DEP_2) | instskip(NEXT) | instid1(VALU_DEP_2)
	v_fma_f64 v[14:15], v[14:15], v[10:11], -v[18:19]
	v_fma_f64 v[10:11], v[16:17], v[10:11], v[12:13]
	s_delay_alu instid0(VALU_DEP_2) | instskip(NEXT) | instid1(VALU_DEP_2)
	v_add_f64 v[3:4], v[3:4], v[14:15]
	v_add_f64 v[1:2], v[1:2], v[10:11]
	s_and_not1_b32 exec_lo, exec_lo, s13
	s_cbranch_execnz .LBB114_4
; %bb.5:
	s_or_b32 exec_lo, exec_lo, s13
.LBB114_6:
	s_delay_alu instid0(SALU_CYCLE_1) | instskip(SKIP_2) | instid1(VALU_DEP_1)
	s_or_b32 exec_lo, exec_lo, s28
	v_mbcnt_lo_u32_b32 v10, -1, 0
	s_mov_b32 s1, exec_lo
	v_cmp_ne_u32_e64 s0, 31, v10
	s_delay_alu instid0(VALU_DEP_1) | instskip(SKIP_1) | instid1(VALU_DEP_2)
	v_add_co_ci_u32_e64 v5, s0, 0, v10, s0
	v_cmp_gt_u32_e64 s0, 30, v10
	v_lshlrev_b32_e32 v9, 2, v5
	ds_bpermute_b32 v5, v9, v3
	ds_bpermute_b32 v6, v9, v4
	ds_bpermute_b32 v8, v9, v1
	ds_bpermute_b32 v9, v9, v2
	s_waitcnt lgkmcnt(2)
	v_add_f64 v[3:4], v[3:4], v[5:6]
	v_cndmask_b32_e64 v5, 0, 1, s0
	s_waitcnt lgkmcnt(0)
	v_add_f64 v[1:2], v[1:2], v[8:9]
	v_cmp_gt_u32_e64 s0, 28, v10
	s_delay_alu instid0(VALU_DEP_3) | instskip(NEXT) | instid1(VALU_DEP_1)
	v_lshlrev_b32_e32 v5, 1, v5
	v_add_lshl_u32 v9, v5, v10, 2
	ds_bpermute_b32 v5, v9, v3
	ds_bpermute_b32 v6, v9, v4
	ds_bpermute_b32 v8, v9, v1
	ds_bpermute_b32 v9, v9, v2
	s_waitcnt lgkmcnt(2)
	v_add_f64 v[3:4], v[3:4], v[5:6]
	v_cndmask_b32_e64 v5, 0, 1, s0
	s_waitcnt lgkmcnt(0)
	v_add_f64 v[1:2], v[1:2], v[8:9]
	v_cmp_gt_u32_e64 s0, 24, v10
	s_delay_alu instid0(VALU_DEP_3) | instskip(NEXT) | instid1(VALU_DEP_1)
	v_lshlrev_b32_e32 v5, 2, v5
	v_add_lshl_u32 v9, v5, v10, 2
	;; [unrolled: 13-line block ×3, first 2 shown]
	ds_bpermute_b32 v5, v9, v3
	ds_bpermute_b32 v6, v9, v4
	;; [unrolled: 1-line block ×4, first 2 shown]
	s_waitcnt lgkmcnt(2)
	v_add_f64 v[3:4], v[3:4], v[5:6]
	s_waitcnt lgkmcnt(0)
	v_add_f64 v[5:6], v[1:2], v[8:9]
	v_cndmask_b32_e64 v1, 0, 1, s0
	s_delay_alu instid0(VALU_DEP_1) | instskip(NEXT) | instid1(VALU_DEP_1)
	v_lshlrev_b32_e32 v1, 4, v1
	v_add_lshl_u32 v9, v1, v10, 2
	ds_bpermute_b32 v1, v9, v3
	ds_bpermute_b32 v2, v9, v4
	;; [unrolled: 1-line block ×4, first 2 shown]
	s_waitcnt lgkmcnt(2)
	v_add_f64 v[1:2], v[3:4], v[1:2]
	s_waitcnt lgkmcnt(0)
	v_add_f64 v[3:4], v[5:6], v[8:9]
	v_and_b32_e32 v5, 31, v0
	s_delay_alu instid0(VALU_DEP_1)
	v_cmpx_eq_u32_e32 0, v5
	s_cbranch_execz .LBB114_8
; %bb.7:
	v_lshrrev_b32_e32 v5, 1, v0
	s_delay_alu instid0(VALU_DEP_1)
	v_add_nc_u32_e32 v5, 0, v5
	ds_store_2addr_b64 v5, v[1:2], v[3:4] offset1:1
.LBB114_8:
	s_or_b32 exec_lo, exec_lo, s1
	s_delay_alu instid0(SALU_CYCLE_1)
	s_mov_b32 s1, exec_lo
	s_waitcnt lgkmcnt(0)
	s_barrier
	buffer_gl0_inv
	v_cmpx_eq_u32_e32 0, v0
	s_cbranch_execz .LBB114_10
; %bb.9:
	v_mov_b32_e32 v16, 0
	ds_load_2addr_b64 v[8:11], v16 offset0:2 offset1:3
	ds_load_2addr_b64 v[12:15], v16 offset0:4 offset1:5
	s_waitcnt lgkmcnt(1)
	v_add_f64 v[1:2], v[1:2], v[8:9]
	v_add_f64 v[3:4], v[3:4], v[10:11]
	s_waitcnt lgkmcnt(0)
	s_delay_alu instid0(VALU_DEP_2) | instskip(NEXT) | instid1(VALU_DEP_2)
	v_add_f64 v[5:6], v[1:2], v[12:13]
	v_add_f64 v[12:13], v[3:4], v[14:15]
	ds_load_2addr_b64 v[1:4], v16 offset0:6 offset1:7
	ds_load_2addr_b64 v[8:11], v16 offset0:8 offset1:9
	s_waitcnt lgkmcnt(1)
	v_add_f64 v[1:2], v[5:6], v[1:2]
	v_add_f64 v[3:4], v[12:13], v[3:4]
	s_waitcnt lgkmcnt(0)
	s_delay_alu instid0(VALU_DEP_2) | instskip(NEXT) | instid1(VALU_DEP_2)
	v_add_f64 v[5:6], v[1:2], v[8:9]
	v_add_f64 v[12:13], v[3:4], v[10:11]
	;; [unrolled: 9-line block ×15, first 2 shown]
	ds_load_2addr_b64 v[1:4], v16 offset0:62 offset1:63
	s_waitcnt lgkmcnt(0)
	v_add_f64 v[1:2], v[5:6], v[1:2]
	v_add_f64 v[3:4], v[8:9], v[3:4]
	ds_store_2addr_b64 v16, v[1:2], v[3:4] offset1:1
.LBB114_10:
	s_or_b32 exec_lo, exec_lo, s1
	s_waitcnt lgkmcnt(0)
	s_barrier
	buffer_gl0_inv
	s_and_saveexec_b32 s0, vcc_lo
	s_cbranch_execz .LBB114_13
; %bb.11:
	s_mul_i32 s0, s2, s9
	s_mul_hi_u32 s1, s2, s8
	s_mul_i32 s4, s27, s8
	s_add_i32 s0, s1, s0
	v_mov_b32_e32 v1, 0
	s_add_i32 s1, s0, s4
	s_mul_i32 s0, s2, s8
	v_add3_u32 v7, v7, 0, 0x200
	s_lshl_b64 s[0:1], s[0:1], 4
	ds_load_2addr_b64 v[3:6], v1 offset1:1
	s_add_u32 s0, s6, s0
	s_addc_u32 s1, s7, s1
	s_ashr_i32 s13, s12, 31
	s_load_b128 s[4:7], s[0:1], 0x0
	s_add_i32 s0, s25, s3
	s_lshl_b64 s[2:3], s[14:15], 4
	s_add_i32 s23, s0, s26
	s_delay_alu instid0(SALU_CYCLE_1)
	s_lshl_b64 s[0:1], s[22:23], 4
	s_waitcnt lgkmcnt(0)
	v_mul_f64 v[1:2], s[4:5], v[3:4]
	v_mul_f64 v[8:9], s[4:5], v[5:6]
	s_lshl_b64 s[4:5], s[20:21], 4
	s_add_u32 s2, s10, s2
	s_addc_u32 s3, s11, s3
	s_add_u32 s2, s2, s4
	s_addc_u32 s3, s3, s5
	;; [unrolled: 2-line block ×3, first 2 shown]
	s_lshl_b64 s[2:3], s[12:13], 14
	s_delay_alu instid0(VALU_DEP_2) | instskip(NEXT) | instid1(VALU_DEP_2)
	v_fma_f64 v[1:2], s[6:7], v[5:6], -v[1:2]
	v_fma_f64 v[3:4], v[3:4], -s[6:7], -v[8:9]
	v_mad_i64_i32 v[5:6], null, s12, v0, 0
	s_delay_alu instid0(VALU_DEP_1) | instskip(NEXT) | instid1(VALU_DEP_1)
	v_lshlrev_b64 v[5:6], 4, v[5:6]
	v_add_co_u32 v5, vcc_lo, s0, v5
	s_delay_alu instid0(VALU_DEP_2) | instskip(SKIP_1) | instid1(VALU_DEP_2)
	v_add_co_ci_u32_e32 v6, vcc_lo, s1, v6, vcc_lo
	s_mov_b32 s1, 0
	v_add_co_u32 v5, vcc_lo, v5, 8
	s_delay_alu instid0(VALU_DEP_2)
	v_add_co_ci_u32_e32 v6, vcc_lo, 0, v6, vcc_lo
	.p2align	6
.LBB114_12:                             ; =>This Inner Loop Header: Depth=1
	global_load_b128 v[8:11], v[5:6], off offset:-8
	ds_load_2addr_b64 v[12:15], v7 offset1:1
	v_add_nc_u32_e32 v0, 0x400, v0
	v_add_nc_u32_e32 v7, 0x4000, v7
	s_delay_alu instid0(VALU_DEP_2) | instskip(SKIP_4) | instid1(VALU_DEP_2)
	v_cmp_le_i32_e32 vcc_lo, s24, v0
	s_or_b32 s1, vcc_lo, s1
	s_waitcnt lgkmcnt(0)
	v_mul_f64 v[16:17], v[3:4], v[14:15]
	v_mul_f64 v[14:15], v[1:2], v[14:15]
	v_fma_f64 v[16:17], v[1:2], v[12:13], v[16:17]
	s_delay_alu instid0(VALU_DEP_2) | instskip(SKIP_1) | instid1(VALU_DEP_2)
	v_fma_f64 v[12:13], v[3:4], v[12:13], -v[14:15]
	s_waitcnt vmcnt(0)
	v_add_f64 v[8:9], v[8:9], v[16:17]
	s_delay_alu instid0(VALU_DEP_2) | instskip(SKIP_2) | instid1(VALU_DEP_1)
	v_add_f64 v[10:11], v[10:11], v[12:13]
	global_store_b128 v[5:6], v[8:11], off offset:-8
	v_add_co_u32 v5, s0, v5, s2
	v_add_co_ci_u32_e64 v6, s0, s3, v6, s0
	s_and_not1_b32 exec_lo, exec_lo, s1
	s_cbranch_execnz .LBB114_12
.LBB114_13:
	s_nop 0
	s_sendmsg sendmsg(MSG_DEALLOC_VGPRS)
	s_endpgm
	.section	.rodata,"a",@progbits
	.p2align	6, 0x0
	.amdhsa_kernel _ZN9rocsolver6v33100L17larf_right_kernelILi1024E19rocblas_complex_numIdEiPS3_EEvT1_S5_T2_lS5_lPKT0_lS6_lS5_l
		.amdhsa_group_segment_fixed_size 0
		.amdhsa_private_segment_fixed_size 0
		.amdhsa_kernarg_size 88
		.amdhsa_user_sgpr_count 13
		.amdhsa_user_sgpr_dispatch_ptr 0
		.amdhsa_user_sgpr_queue_ptr 0
		.amdhsa_user_sgpr_kernarg_segment_ptr 1
		.amdhsa_user_sgpr_dispatch_id 0
		.amdhsa_user_sgpr_private_segment_size 0
		.amdhsa_wavefront_size32 1
		.amdhsa_uses_dynamic_stack 0
		.amdhsa_enable_private_segment 0
		.amdhsa_system_sgpr_workgroup_id_x 1
		.amdhsa_system_sgpr_workgroup_id_y 1
		.amdhsa_system_sgpr_workgroup_id_z 1
		.amdhsa_system_sgpr_workgroup_info 0
		.amdhsa_system_vgpr_workitem_id 0
		.amdhsa_next_free_vgpr 20
		.amdhsa_next_free_sgpr 34
		.amdhsa_reserve_vcc 1
		.amdhsa_float_round_mode_32 0
		.amdhsa_float_round_mode_16_64 0
		.amdhsa_float_denorm_mode_32 3
		.amdhsa_float_denorm_mode_16_64 3
		.amdhsa_dx10_clamp 1
		.amdhsa_ieee_mode 1
		.amdhsa_fp16_overflow 0
		.amdhsa_workgroup_processor_mode 1
		.amdhsa_memory_ordered 1
		.amdhsa_forward_progress 0
		.amdhsa_shared_vgpr_count 0
		.amdhsa_exception_fp_ieee_invalid_op 0
		.amdhsa_exception_fp_denorm_src 0
		.amdhsa_exception_fp_ieee_div_zero 0
		.amdhsa_exception_fp_ieee_overflow 0
		.amdhsa_exception_fp_ieee_underflow 0
		.amdhsa_exception_fp_ieee_inexact 0
		.amdhsa_exception_int_div_zero 0
	.end_amdhsa_kernel
	.section	.text._ZN9rocsolver6v33100L17larf_right_kernelILi1024E19rocblas_complex_numIdEiPS3_EEvT1_S5_T2_lS5_lPKT0_lS6_lS5_l,"axG",@progbits,_ZN9rocsolver6v33100L17larf_right_kernelILi1024E19rocblas_complex_numIdEiPS3_EEvT1_S5_T2_lS5_lPKT0_lS6_lS5_l,comdat
.Lfunc_end114:
	.size	_ZN9rocsolver6v33100L17larf_right_kernelILi1024E19rocblas_complex_numIdEiPS3_EEvT1_S5_T2_lS5_lPKT0_lS6_lS5_l, .Lfunc_end114-_ZN9rocsolver6v33100L17larf_right_kernelILi1024E19rocblas_complex_numIdEiPS3_EEvT1_S5_T2_lS5_lPKT0_lS6_lS5_l
                                        ; -- End function
	.section	.AMDGPU.csdata,"",@progbits
; Kernel info:
; codeLenInByte = 2520
; NumSgprs: 36
; NumVgprs: 20
; ScratchSize: 0
; MemoryBound: 0
; FloatMode: 240
; IeeeMode: 1
; LDSByteSize: 0 bytes/workgroup (compile time only)
; SGPRBlocks: 4
; VGPRBlocks: 2
; NumSGPRsForWavesPerEU: 36
; NumVGPRsForWavesPerEU: 20
; Occupancy: 16
; WaveLimiterHint : 0
; COMPUTE_PGM_RSRC2:SCRATCH_EN: 0
; COMPUTE_PGM_RSRC2:USER_SGPR: 13
; COMPUTE_PGM_RSRC2:TRAP_HANDLER: 0
; COMPUTE_PGM_RSRC2:TGID_X_EN: 1
; COMPUTE_PGM_RSRC2:TGID_Y_EN: 1
; COMPUTE_PGM_RSRC2:TGID_Z_EN: 1
; COMPUTE_PGM_RSRC2:TIDIG_COMP_CNT: 0
	.section	.text._ZN9rocsolver6v33100L12restore_diagI19rocblas_complex_numIdEidPS3_EEvPT1_llT2_lT0_lS8_,"axG",@progbits,_ZN9rocsolver6v33100L12restore_diagI19rocblas_complex_numIdEidPS3_EEvPT1_llT2_lT0_lS8_,comdat
	.globl	_ZN9rocsolver6v33100L12restore_diagI19rocblas_complex_numIdEidPS3_EEvPT1_llT2_lT0_lS8_ ; -- Begin function _ZN9rocsolver6v33100L12restore_diagI19rocblas_complex_numIdEidPS3_EEvPT1_llT2_lT0_lS8_
	.p2align	8
	.type	_ZN9rocsolver6v33100L12restore_diagI19rocblas_complex_numIdEidPS3_EEvPT1_llT2_lT0_lS8_,@function
_ZN9rocsolver6v33100L12restore_diagI19rocblas_complex_numIdEidPS3_EEvPT1_llT2_lT0_lS8_: ; @_ZN9rocsolver6v33100L12restore_diagI19rocblas_complex_numIdEidPS3_EEvPT1_llT2_lT0_lS8_
; %bb.0:
	s_clause 0x1
	s_load_b32 s2, s[0:1], 0x4c
	s_load_b32 s3, s[0:1], 0x38
	v_bfe_u32 v2, v0, 10, 10
	s_waitcnt lgkmcnt(0)
	s_lshr_b32 s2, s2, 16
	s_delay_alu instid0(VALU_DEP_1) | instid1(SALU_CYCLE_1)
	v_mad_u64_u32 v[0:1], null, s15, s2, v[2:3]
	s_mov_b32 s2, exec_lo
	s_delay_alu instid0(VALU_DEP_1)
	v_cmpx_gt_i32_e64 s3, v0
	s_cbranch_execz .LBB115_2
; %bb.1:
	s_clause 0x3
	s_load_b64 s[2:3], s[0:1], 0x30
	s_load_b256 s[4:11], s[0:1], 0x0
	s_load_b32 s12, s[0:1], 0x28
	s_load_b64 s[0:1], s[0:1], 0x20
	s_ashr_i32 s13, s14, 31
	s_waitcnt lgkmcnt(0)
	s_mul_i32 s3, s14, s3
	s_mul_hi_u32 s15, s14, s2
	s_mul_i32 s16, s13, s2
	s_add_i32 s3, s15, s3
	s_mul_i32 s2, s14, s2
	s_add_i32 s3, s3, s16
	s_mul_i32 s9, s14, s9
	s_lshl_b64 s[2:3], s[2:3], 4
	s_mul_hi_u32 s15, s14, s8
	s_add_u32 s2, s10, s2
	s_addc_u32 s3, s11, s3
	s_lshl_b64 s[0:1], s[0:1], 4
	s_mul_i32 s13, s13, s8
	s_add_u32 s2, s2, s0
	v_mad_u64_u32 v[2:3], null, v0, s12, v[0:1]
	v_ashrrev_i32_e32 v1, 31, v0
	s_addc_u32 s3, s3, s1
	s_add_i32 s1, s15, s9
	s_mul_i32 s0, s14, s8
	s_add_i32 s1, s1, s13
	v_lshlrev_b64 v[0:1], 3, v[0:1]
	s_lshl_b64 s[0:1], s[0:1], 3
	v_ashrrev_i32_e32 v3, 31, v2
	s_add_u32 s4, s4, s0
	s_addc_u32 s5, s5, s1
	s_lshl_b64 s[0:1], s[6:7], 3
	s_delay_alu instid0(SALU_CYCLE_1)
	s_add_u32 s0, s4, s0
	s_addc_u32 s1, s5, s1
	v_add_co_u32 v0, vcc_lo, s0, v0
	v_add_co_ci_u32_e32 v1, vcc_lo, s1, v1, vcc_lo
	v_lshlrev_b64 v[3:4], 4, v[2:3]
	v_mov_b32_e32 v2, 0
	global_load_b64 v[0:1], v[0:1], off
	v_add_co_u32 v5, vcc_lo, s2, v3
	v_add_co_ci_u32_e32 v6, vcc_lo, s3, v4, vcc_lo
	v_mov_b32_e32 v3, v2
	s_waitcnt vmcnt(0)
	global_store_b128 v[5:6], v[0:3], off
.LBB115_2:
	s_nop 0
	s_sendmsg sendmsg(MSG_DEALLOC_VGPRS)
	s_endpgm
	.section	.rodata,"a",@progbits
	.p2align	6, 0x0
	.amdhsa_kernel _ZN9rocsolver6v33100L12restore_diagI19rocblas_complex_numIdEidPS3_EEvPT1_llT2_lT0_lS8_
		.amdhsa_group_segment_fixed_size 0
		.amdhsa_private_segment_fixed_size 0
		.amdhsa_kernarg_size 320
		.amdhsa_user_sgpr_count 14
		.amdhsa_user_sgpr_dispatch_ptr 0
		.amdhsa_user_sgpr_queue_ptr 0
		.amdhsa_user_sgpr_kernarg_segment_ptr 1
		.amdhsa_user_sgpr_dispatch_id 0
		.amdhsa_user_sgpr_private_segment_size 0
		.amdhsa_wavefront_size32 1
		.amdhsa_uses_dynamic_stack 0
		.amdhsa_enable_private_segment 0
		.amdhsa_system_sgpr_workgroup_id_x 1
		.amdhsa_system_sgpr_workgroup_id_y 1
		.amdhsa_system_sgpr_workgroup_id_z 0
		.amdhsa_system_sgpr_workgroup_info 0
		.amdhsa_system_vgpr_workitem_id 1
		.amdhsa_next_free_vgpr 7
		.amdhsa_next_free_sgpr 17
		.amdhsa_reserve_vcc 1
		.amdhsa_float_round_mode_32 0
		.amdhsa_float_round_mode_16_64 0
		.amdhsa_float_denorm_mode_32 3
		.amdhsa_float_denorm_mode_16_64 3
		.amdhsa_dx10_clamp 1
		.amdhsa_ieee_mode 1
		.amdhsa_fp16_overflow 0
		.amdhsa_workgroup_processor_mode 1
		.amdhsa_memory_ordered 1
		.amdhsa_forward_progress 0
		.amdhsa_shared_vgpr_count 0
		.amdhsa_exception_fp_ieee_invalid_op 0
		.amdhsa_exception_fp_denorm_src 0
		.amdhsa_exception_fp_ieee_div_zero 0
		.amdhsa_exception_fp_ieee_overflow 0
		.amdhsa_exception_fp_ieee_underflow 0
		.amdhsa_exception_fp_ieee_inexact 0
		.amdhsa_exception_int_div_zero 0
	.end_amdhsa_kernel
	.section	.text._ZN9rocsolver6v33100L12restore_diagI19rocblas_complex_numIdEidPS3_EEvPT1_llT2_lT0_lS8_,"axG",@progbits,_ZN9rocsolver6v33100L12restore_diagI19rocblas_complex_numIdEidPS3_EEvPT1_llT2_lT0_lS8_,comdat
.Lfunc_end115:
	.size	_ZN9rocsolver6v33100L12restore_diagI19rocblas_complex_numIdEidPS3_EEvPT1_llT2_lT0_lS8_, .Lfunc_end115-_ZN9rocsolver6v33100L12restore_diagI19rocblas_complex_numIdEidPS3_EEvPT1_llT2_lT0_lS8_
                                        ; -- End function
	.section	.AMDGPU.csdata,"",@progbits
; Kernel info:
; codeLenInByte = 308
; NumSgprs: 19
; NumVgprs: 7
; ScratchSize: 0
; MemoryBound: 0
; FloatMode: 240
; IeeeMode: 1
; LDSByteSize: 0 bytes/workgroup (compile time only)
; SGPRBlocks: 2
; VGPRBlocks: 0
; NumSGPRsForWavesPerEU: 19
; NumVGPRsForWavesPerEU: 7
; Occupancy: 16
; WaveLimiterHint : 0
; COMPUTE_PGM_RSRC2:SCRATCH_EN: 0
; COMPUTE_PGM_RSRC2:USER_SGPR: 14
; COMPUTE_PGM_RSRC2:TRAP_HANDLER: 0
; COMPUTE_PGM_RSRC2:TGID_X_EN: 1
; COMPUTE_PGM_RSRC2:TGID_Y_EN: 1
; COMPUTE_PGM_RSRC2:TGID_Z_EN: 0
; COMPUTE_PGM_RSRC2:TIDIG_COMP_CNT: 1
	.section	.text._ZN9rocsolver6v33100L14set_triangularI19rocblas_complex_numIdEPS3_TnNSt9enable_ifIX18rocblas_is_complexIT_EEiE4typeELi0EEEviiT0_iilPS6_lSA_il15rocblas_direct_15rocblas_storev_b,"axG",@progbits,_ZN9rocsolver6v33100L14set_triangularI19rocblas_complex_numIdEPS3_TnNSt9enable_ifIX18rocblas_is_complexIT_EEiE4typeELi0EEEviiT0_iilPS6_lSA_il15rocblas_direct_15rocblas_storev_b,comdat
	.globl	_ZN9rocsolver6v33100L14set_triangularI19rocblas_complex_numIdEPS3_TnNSt9enable_ifIX18rocblas_is_complexIT_EEiE4typeELi0EEEviiT0_iilPS6_lSA_il15rocblas_direct_15rocblas_storev_b ; -- Begin function _ZN9rocsolver6v33100L14set_triangularI19rocblas_complex_numIdEPS3_TnNSt9enable_ifIX18rocblas_is_complexIT_EEiE4typeELi0EEEviiT0_iilPS6_lSA_il15rocblas_direct_15rocblas_storev_b
	.p2align	8
	.type	_ZN9rocsolver6v33100L14set_triangularI19rocblas_complex_numIdEPS3_TnNSt9enable_ifIX18rocblas_is_complexIT_EEiE4typeELi0EEEviiT0_iilPS6_lSA_il15rocblas_direct_15rocblas_storev_b,@function
_ZN9rocsolver6v33100L14set_triangularI19rocblas_complex_numIdEPS3_TnNSt9enable_ifIX18rocblas_is_complexIT_EEiE4typeELi0EEEviiT0_iilPS6_lSA_il15rocblas_direct_15rocblas_storev_b: ; @_ZN9rocsolver6v33100L14set_triangularI19rocblas_complex_numIdEPS3_TnNSt9enable_ifIX18rocblas_is_complexIT_EEiE4typeELi0EEEviiT0_iilPS6_lSA_il15rocblas_direct_15rocblas_storev_b
; %bb.0:
	s_clause 0x1
	s_load_b32 s2, s[0:1], 0x64
	s_load_b64 s[16:17], s[0:1], 0x0
	v_and_b32_e32 v1, 0x3ff, v0
	v_bfe_u32 v2, v0, 10, 10
	s_waitcnt lgkmcnt(0)
	s_lshr_b32 s3, s2, 16
	s_and_b32 s2, s2, 0xffff
	s_delay_alu instid0(VALU_DEP_1) | instid1(SALU_CYCLE_1)
	v_mad_u64_u32 v[6:7], null, s13, s2, v[1:2]
	v_mad_u64_u32 v[0:1], null, s14, s3, v[2:3]
	s_mov_b32 s2, exec_lo
	s_delay_alu instid0(VALU_DEP_1) | instskip(NEXT) | instid1(VALU_DEP_1)
	v_max_u32_e32 v1, v6, v0
	v_cmpx_gt_u32_e64 s17, v1
	s_cbranch_execz .LBB116_36
; %bb.1:
	s_clause 0x2
	s_load_b256 s[4:11], s[0:1], 0x18
	s_load_b64 s[2:3], s[0:1], 0x40
	s_load_b32 s12, s[0:1], 0x38
	s_waitcnt lgkmcnt(0)
	s_mul_i32 s9, s15, s9
	s_mul_hi_u32 s13, s15, s8
	s_mul_i32 s8, s15, s8
	s_add_i32 s9, s13, s9
	s_mul_i32 s3, s15, s3
	s_lshl_b64 s[8:9], s[8:9], 4
	s_mul_hi_u32 s18, s15, s2
	s_add_u32 s13, s6, s8
	s_mul_i32 s2, s15, s2
	s_addc_u32 s14, s7, s9
	s_add_i32 s3, s18, s3
	s_delay_alu instid0(SALU_CYCLE_1) | instskip(NEXT) | instid1(SALU_CYCLE_1)
	s_lshl_b64 s[2:3], s[2:3], 4
	s_add_u32 s6, s10, s2
	s_addc_u32 s7, s11, s3
	s_mov_b32 s2, exec_lo
	v_cmpx_ne_u32_e64 v0, v6
	s_xor_b32 s18, exec_lo, s2
	s_cbranch_execz .LBB116_34
; %bb.2:
	s_clause 0x1
	s_load_b128 s[8:11], s[0:1], 0x8
	s_load_b128 s[0:3], s[0:1], 0x48
	s_waitcnt lgkmcnt(0)
	s_mul_i32 s3, s15, s5
	s_mul_hi_u32 s5, s15, s4
	s_mul_i32 s4, s15, s4
	s_add_i32 s5, s5, s3
	v_mov_b32_e32 v7, 0
	s_lshl_b64 s[4:5], s[4:5], 4
	s_ashr_i32 s21, s10, 31
	s_mov_b32 s20, s10
	s_add_u32 s3, s8, s4
	s_addc_u32 s8, s9, s5
	s_lshl_b64 s[4:5], s[20:21], 4
	s_delay_alu instid0(SALU_CYCLE_1) | instskip(SKIP_3) | instid1(SALU_CYCLE_1)
	s_add_u32 s3, s3, s4
	s_addc_u32 s4, s8, s5
	s_bitcmp1_b32 s2, 0
	s_cselect_b32 s2, -1, 0
	s_xor_b32 s2, s2, -1
	s_cmpk_lg_i32 s0, 0xab
	s_mov_b32 s0, -1
	s_cbranch_scc0 .LBB116_18
; %bb.3:
	s_mov_b32 s0, exec_lo
	v_cmpx_le_u32_e64 v0, v6
	s_xor_b32 s0, exec_lo, s0
	s_cbranch_execz .LBB116_5
; %bb.4:
	v_mad_u64_u32 v[2:3], null, v6, s12, 0
	s_ashr_i32 s5, s12, 31
	s_delay_alu instid0(VALU_DEP_1) | instskip(NEXT) | instid1(VALU_DEP_1)
	v_mov_b32_e32 v1, v3
	v_mad_u64_u32 v[3:4], null, v6, s5, v[1:2]
	v_mov_b32_e32 v1, 0
	s_delay_alu instid0(VALU_DEP_1) | instskip(NEXT) | instid1(VALU_DEP_3)
	v_lshlrev_b64 v[8:9], 4, v[0:1]
	v_lshlrev_b64 v[4:5], 4, v[2:3]
	v_mov_b32_e32 v2, v1
	v_mov_b32_e32 v3, v1
	s_delay_alu instid0(VALU_DEP_3) | instskip(NEXT) | instid1(VALU_DEP_4)
	v_add_co_u32 v10, vcc_lo, s6, v4
	v_add_co_ci_u32_e32 v5, vcc_lo, s7, v5, vcc_lo
	v_mov_b32_e32 v4, v1
	s_delay_alu instid0(VALU_DEP_3) | instskip(NEXT) | instid1(VALU_DEP_3)
	v_add_co_u32 v8, vcc_lo, v10, v8
	v_add_co_ci_u32_e32 v9, vcc_lo, v5, v9, vcc_lo
	v_mov_b32_e32 v5, v1
	global_store_b128 v[8:9], v[2:5], off
.LBB116_5:
	s_and_not1_saveexec_b32 s0, s0
	s_cbranch_execz .LBB116_17
; %bb.6:
	v_lshlrev_b64 v[1:2], 4, v[6:7]
	s_cmpk_lg_i32 s1, 0xb5
	s_mov_b32 s5, -1
	s_delay_alu instid0(VALU_DEP_1) | instskip(NEXT) | instid1(VALU_DEP_2)
	v_add_co_u32 v1, vcc_lo, s13, v1
	v_add_co_ci_u32_e32 v2, vcc_lo, s14, v2, vcc_lo
	global_load_b128 v[2:5], v[1:2], off
	s_cbranch_scc0 .LBB116_12
; %bb.7:
	v_mov_b32_e32 v1, 0
	s_and_not1_b32 vcc_lo, exec_lo, s2
	s_delay_alu instid0(VALU_DEP_1)
	v_lshlrev_b64 v[8:9], 4, v[0:1]
	s_cbranch_vccnz .LBB116_9
; %bb.8:
	s_sub_i32 s5, s16, s17
	v_mad_u64_u32 v[18:19], null, v6, s12, 0
	v_add_nc_u32_e32 v13, s5, v6
	s_ashr_i32 s5, s11, 31
	s_delay_alu instid0(VALU_DEP_1) | instskip(NEXT) | instid1(VALU_DEP_1)
	v_mad_u64_u32 v[10:11], null, v13, s11, 0
	v_mov_b32_e32 v1, v11
	s_waitcnt vmcnt(0)
	s_delay_alu instid0(VALU_DEP_1) | instskip(SKIP_1) | instid1(VALU_DEP_1)
	v_mad_u64_u32 v[11:12], null, v13, s5, v[1:2]
	s_ashr_i32 s5, s12, 31
	v_lshlrev_b64 v[10:11], 4, v[10:11]
	s_delay_alu instid0(VALU_DEP_1) | instskip(NEXT) | instid1(VALU_DEP_2)
	v_add_co_u32 v1, vcc_lo, s3, v10
	v_add_co_ci_u32_e32 v11, vcc_lo, s4, v11, vcc_lo
	s_delay_alu instid0(VALU_DEP_2) | instskip(NEXT) | instid1(VALU_DEP_2)
	v_add_co_u32 v10, vcc_lo, v1, v8
	v_add_co_ci_u32_e32 v11, vcc_lo, v11, v9, vcc_lo
	v_mov_b32_e32 v1, v19
	global_load_b128 v[10:13], v[10:11], off
	s_waitcnt vmcnt(0)
	v_mul_f64 v[14:15], v[2:3], v[10:11]
	v_mul_f64 v[16:17], v[2:3], v[12:13]
	s_delay_alu instid0(VALU_DEP_2) | instskip(NEXT) | instid1(VALU_DEP_2)
	v_fma_f64 v[12:13], v[4:5], v[12:13], -v[14:15]
	v_fma_f64 v[14:15], v[10:11], -v[4:5], -v[16:17]
	v_mad_u64_u32 v[10:11], null, v6, s5, v[1:2]
	s_mov_b32 s5, 0
	s_delay_alu instid0(VALU_DEP_1) | instskip(NEXT) | instid1(VALU_DEP_1)
	v_mov_b32_e32 v19, v10
	v_lshlrev_b64 v[10:11], 4, v[18:19]
	s_delay_alu instid0(VALU_DEP_1) | instskip(NEXT) | instid1(VALU_DEP_2)
	v_add_co_u32 v1, vcc_lo, s6, v10
	v_add_co_ci_u32_e32 v11, vcc_lo, s7, v11, vcc_lo
	s_delay_alu instid0(VALU_DEP_2) | instskip(NEXT) | instid1(VALU_DEP_2)
	v_add_co_u32 v10, vcc_lo, v1, v8
	v_add_co_ci_u32_e32 v11, vcc_lo, v11, v9, vcc_lo
	global_store_b128 v[10:11], v[12:15], off
.LBB116_9:
	s_and_not1_b32 vcc_lo, exec_lo, s5
	s_cbranch_vccnz .LBB116_11
; %bb.10:
	v_mad_u64_u32 v[10:11], null, v6, s12, 0
	s_sub_i32 s5, s16, s17
	s_delay_alu instid0(SALU_CYCLE_1) | instskip(SKIP_1) | instid1(VALU_DEP_2)
	v_add_nc_u32_e32 v16, s5, v6
	s_ashr_i32 s5, s12, 31
	v_mov_b32_e32 v1, v11
	s_delay_alu instid0(VALU_DEP_2) | instskip(NEXT) | instid1(VALU_DEP_1)
	v_mad_u64_u32 v[12:13], null, v16, s11, 0
	v_mov_b32_e32 v11, v13
	s_waitcnt vmcnt(0)
	s_delay_alu instid0(VALU_DEP_3)
	v_mad_u64_u32 v[13:14], null, v6, s5, v[1:2]
	s_ashr_i32 s5, s11, 31
	s_delay_alu instid0(VALU_DEP_2) | instid1(SALU_CYCLE_1)
	v_mad_u64_u32 v[14:15], null, v16, s5, v[11:12]
	s_delay_alu instid0(VALU_DEP_2) | instskip(NEXT) | instid1(VALU_DEP_2)
	v_mov_b32_e32 v11, v13
	v_mov_b32_e32 v13, v14
	s_delay_alu instid0(VALU_DEP_2) | instskip(NEXT) | instid1(VALU_DEP_2)
	v_lshlrev_b64 v[10:11], 4, v[10:11]
	v_lshlrev_b64 v[12:13], 4, v[12:13]
	s_delay_alu instid0(VALU_DEP_2) | instskip(NEXT) | instid1(VALU_DEP_3)
	v_add_co_u32 v1, vcc_lo, s6, v10
	v_add_co_ci_u32_e32 v10, vcc_lo, s7, v11, vcc_lo
	s_delay_alu instid0(VALU_DEP_3) | instskip(NEXT) | instid1(VALU_DEP_4)
	v_add_co_u32 v11, vcc_lo, s3, v12
	v_add_co_ci_u32_e32 v13, vcc_lo, s4, v13, vcc_lo
	s_delay_alu instid0(VALU_DEP_4) | instskip(NEXT) | instid1(VALU_DEP_4)
	v_add_co_u32 v16, vcc_lo, v1, v8
	v_add_co_ci_u32_e32 v17, vcc_lo, v10, v9, vcc_lo
	s_delay_alu instid0(VALU_DEP_4) | instskip(NEXT) | instid1(VALU_DEP_4)
	v_add_co_u32 v12, vcc_lo, v11, v8
	v_add_co_ci_u32_e32 v13, vcc_lo, v13, v9, vcc_lo
	global_load_b128 v[8:11], v[16:17], off
	global_load_b128 v[12:15], v[12:13], off
	s_waitcnt vmcnt(0)
	v_add_f64 v[12:13], v[12:13], v[8:9]
	v_add_f64 v[8:9], v[14:15], v[10:11]
	s_delay_alu instid0(VALU_DEP_2) | instskip(NEXT) | instid1(VALU_DEP_2)
	v_mul_f64 v[10:11], v[2:3], v[12:13]
	v_mul_f64 v[14:15], v[2:3], v[8:9]
	s_delay_alu instid0(VALU_DEP_2) | instskip(NEXT) | instid1(VALU_DEP_2)
	v_fma_f64 v[8:9], v[4:5], v[8:9], -v[10:11]
	v_fma_f64 v[10:11], v[12:13], -v[4:5], -v[14:15]
	global_store_b128 v[16:17], v[8:11], off
.LBB116_11:
	s_mov_b32 s5, 0
.LBB116_12:
	s_delay_alu instid0(SALU_CYCLE_1)
	s_and_not1_b32 vcc_lo, exec_lo, s5
	s_cbranch_vccnz .LBB116_17
; %bb.13:
	s_and_not1_b32 vcc_lo, exec_lo, s2
	s_mov_b32 s5, -1
	s_cbranch_vccnz .LBB116_15
; %bb.14:
	v_mad_u64_u32 v[8:9], null, v0, s11, 0
	s_ashr_i32 s5, s11, 31
	v_mad_u64_u32 v[17:18], null, v6, s12, 0
	s_delay_alu instid0(VALU_DEP_2) | instskip(SKIP_1) | instid1(VALU_DEP_1)
	v_dual_mov_b32 v12, 0 :: v_dual_mov_b32 v1, v9
	s_waitcnt vmcnt(0)
	v_mad_u64_u32 v[9:10], null, v0, s5, v[1:2]
	s_sub_i32 s5, s16, s17
	s_delay_alu instid0(SALU_CYCLE_1) | instskip(SKIP_1) | instid1(VALU_DEP_2)
	v_add_nc_u32_e32 v11, s5, v6
	s_ashr_i32 s5, s12, 31
	v_lshlrev_b64 v[8:9], 4, v[8:9]
	s_delay_alu instid0(VALU_DEP_2) | instskip(NEXT) | instid1(VALU_DEP_2)
	v_lshlrev_b64 v[10:11], 4, v[11:12]
	v_add_co_u32 v1, vcc_lo, s3, v8
	s_delay_alu instid0(VALU_DEP_3) | instskip(NEXT) | instid1(VALU_DEP_2)
	v_add_co_ci_u32_e32 v9, vcc_lo, s4, v9, vcc_lo
	v_add_co_u32 v8, vcc_lo, v1, v10
	s_delay_alu instid0(VALU_DEP_2)
	v_add_co_ci_u32_e32 v9, vcc_lo, v9, v11, vcc_lo
	v_mov_b32_e32 v1, v18
	global_load_b128 v[8:11], v[8:9], off
	s_waitcnt vmcnt(0)
	v_mul_f64 v[13:14], v[4:5], v[10:11]
	v_mul_f64 v[15:16], v[4:5], v[8:9]
	s_delay_alu instid0(VALU_DEP_2) | instskip(NEXT) | instid1(VALU_DEP_2)
	v_fma_f64 v[8:9], v[8:9], -v[2:3], -v[13:14]
	v_fma_f64 v[10:11], v[2:3], v[10:11], -v[15:16]
	v_mad_u64_u32 v[13:14], null, v6, s5, v[1:2]
	v_mov_b32_e32 v1, v12
	s_mov_b32 s5, 0
	s_delay_alu instid0(VALU_DEP_1) | instskip(NEXT) | instid1(VALU_DEP_3)
	v_lshlrev_b64 v[14:15], 4, v[0:1]
	v_mov_b32_e32 v18, v13
	s_delay_alu instid0(VALU_DEP_1) | instskip(NEXT) | instid1(VALU_DEP_1)
	v_lshlrev_b64 v[12:13], 4, v[17:18]
	v_add_co_u32 v1, vcc_lo, s6, v12
	s_delay_alu instid0(VALU_DEP_2) | instskip(NEXT) | instid1(VALU_DEP_2)
	v_add_co_ci_u32_e32 v13, vcc_lo, s7, v13, vcc_lo
	v_add_co_u32 v12, vcc_lo, v1, v14
	s_delay_alu instid0(VALU_DEP_2)
	v_add_co_ci_u32_e32 v13, vcc_lo, v13, v15, vcc_lo
	global_store_b128 v[12:13], v[8:11], off
.LBB116_15:
	s_and_not1_b32 vcc_lo, exec_lo, s5
	s_cbranch_vccnz .LBB116_17
; %bb.16:
	v_mad_u64_u32 v[8:9], null, v0, s11, 0
	v_mad_u64_u32 v[10:11], null, v6, s12, 0
	s_ashr_i32 s5, s11, 31
	s_delay_alu instid0(VALU_DEP_2) | instskip(NEXT) | instid1(VALU_DEP_2)
	v_mov_b32_e32 v1, v9
	v_mov_b32_e32 v9, v11
	s_waitcnt vmcnt(0)
	s_delay_alu instid0(VALU_DEP_2) | instskip(SKIP_2) | instid1(VALU_DEP_1)
	v_mad_u64_u32 v[11:12], null, v0, s5, v[1:2]
	v_mov_b32_e32 v1, 0
	s_ashr_i32 s5, s12, 31
	v_mov_b32_e32 v14, v1
	v_mad_u64_u32 v[12:13], null, v6, s5, v[9:10]
	s_delay_alu instid0(VALU_DEP_4) | instskip(SKIP_3) | instid1(VALU_DEP_3)
	v_mov_b32_e32 v9, v11
	s_sub_i32 s5, s16, s17
	v_lshlrev_b64 v[15:16], 4, v[0:1]
	v_add_nc_u32_e32 v13, s5, v6
	v_lshlrev_b64 v[8:9], 4, v[8:9]
	v_mov_b32_e32 v11, v12
	s_delay_alu instid0(VALU_DEP_3) | instskip(NEXT) | instid1(VALU_DEP_2)
	v_lshlrev_b64 v[12:13], 4, v[13:14]
	v_lshlrev_b64 v[10:11], 4, v[10:11]
	s_delay_alu instid0(VALU_DEP_4) | instskip(SKIP_1) | instid1(VALU_DEP_3)
	v_add_co_u32 v1, vcc_lo, s3, v8
	v_add_co_ci_u32_e32 v9, vcc_lo, s4, v9, vcc_lo
	v_add_co_u32 v10, vcc_lo, s6, v10
	s_delay_alu instid0(VALU_DEP_4) | instskip(NEXT) | instid1(VALU_DEP_4)
	v_add_co_ci_u32_e32 v11, vcc_lo, s7, v11, vcc_lo
	v_add_co_u32 v8, vcc_lo, v1, v12
	s_delay_alu instid0(VALU_DEP_4) | instskip(NEXT) | instid1(VALU_DEP_4)
	v_add_co_ci_u32_e32 v9, vcc_lo, v9, v13, vcc_lo
	v_add_co_u32 v17, vcc_lo, v10, v15
	s_delay_alu instid0(VALU_DEP_4)
	v_add_co_ci_u32_e32 v18, vcc_lo, v11, v16, vcc_lo
	global_load_b128 v[8:11], v[8:9], off
	global_load_b128 v[12:15], v[17:18], off
	s_waitcnt vmcnt(0)
	v_add_f64 v[8:9], v[8:9], v[12:13]
	v_add_f64 v[10:11], v[14:15], -v[10:11]
	s_delay_alu instid0(VALU_DEP_2) | instskip(NEXT) | instid1(VALU_DEP_2)
	v_mul_f64 v[12:13], v[2:3], v[8:9]
	v_mul_f64 v[14:15], v[2:3], v[10:11]
	s_delay_alu instid0(VALU_DEP_2) | instskip(NEXT) | instid1(VALU_DEP_2)
	v_fma_f64 v[1:2], v[4:5], v[10:11], -v[12:13]
	v_fma_f64 v[3:4], v[8:9], -v[4:5], -v[14:15]
	global_store_b128 v[17:18], v[1:4], off
.LBB116_17:
	s_or_b32 exec_lo, exec_lo, s0
	s_mov_b32 s0, 0
.LBB116_18:
	s_delay_alu instid0(SALU_CYCLE_1)
	s_and_not1_b32 vcc_lo, exec_lo, s0
	s_cbranch_vccnz .LBB116_34
; %bb.19:
	s_mov_b32 s0, exec_lo
	v_cmpx_ge_u32_e64 v0, v6
	s_xor_b32 s0, exec_lo, s0
	s_cbranch_execz .LBB116_21
; %bb.20:
	s_waitcnt vmcnt(0)
	v_mad_u64_u32 v[2:3], null, v6, s12, 0
	s_ashr_i32 s5, s12, 31
	s_delay_alu instid0(VALU_DEP_1) | instskip(NEXT) | instid1(VALU_DEP_1)
	v_mov_b32_e32 v1, v3
	v_mad_u64_u32 v[3:4], null, v6, s5, v[1:2]
	v_mov_b32_e32 v1, 0
	s_delay_alu instid0(VALU_DEP_1) | instskip(NEXT) | instid1(VALU_DEP_3)
	v_lshlrev_b64 v[4:5], 4, v[0:1]
	v_lshlrev_b64 v[2:3], 4, v[2:3]
	v_mov_b32_e32 v0, v1
	s_delay_alu instid0(VALU_DEP_2) | instskip(NEXT) | instid1(VALU_DEP_3)
	v_add_co_u32 v6, vcc_lo, s6, v2
	v_add_co_ci_u32_e32 v3, vcc_lo, s7, v3, vcc_lo
	v_mov_b32_e32 v2, v1
	s_delay_alu instid0(VALU_DEP_3) | instskip(NEXT) | instid1(VALU_DEP_3)
	v_add_co_u32 v4, vcc_lo, v6, v4
	v_add_co_ci_u32_e32 v5, vcc_lo, v3, v5, vcc_lo
	v_mov_b32_e32 v3, v1
                                        ; implicit-def: $vgpr6_vgpr7
	global_store_b128 v[4:5], v[0:3], off
                                        ; implicit-def: $vgpr0_vgpr1
.LBB116_21:
	s_and_not1_saveexec_b32 s0, s0
	s_cbranch_execz .LBB116_33
; %bb.22:
	v_lshlrev_b64 v[7:8], 4, v[6:7]
	s_cmpk_lg_i32 s1, 0xb5
	s_mov_b32 s1, -1
	s_delay_alu instid0(VALU_DEP_1) | instskip(SKIP_1) | instid1(VALU_DEP_2)
	v_add_co_u32 v1, vcc_lo, s13, v7
	s_waitcnt vmcnt(0)
	v_add_co_ci_u32_e32 v2, vcc_lo, s14, v8, vcc_lo
	global_load_b128 v[2:5], v[1:2], off
	v_cndmask_b32_e64 v1, 0, 1, s2
	s_delay_alu instid0(VALU_DEP_1)
	v_cmp_ne_u32_e32 vcc_lo, 1, v1
	s_cbranch_scc0 .LBB116_28
; %bb.23:
	v_mov_b32_e32 v1, 0
	s_and_b32 vcc_lo, exec_lo, vcc_lo
	s_delay_alu instid0(VALU_DEP_1)
	v_lshlrev_b64 v[9:10], 4, v[0:1]
	s_cbranch_vccnz .LBB116_25
; %bb.24:
	v_mad_u64_u32 v[11:12], null, v6, s11, 0
	s_ashr_i32 s1, s11, 31
	v_mad_u64_u32 v[19:20], null, v6, s12, 0
	s_delay_alu instid0(VALU_DEP_2) | instskip(SKIP_1) | instid1(VALU_DEP_1)
	v_mov_b32_e32 v1, v12
	s_waitcnt vmcnt(0)
	v_mad_u64_u32 v[12:13], null, v6, s1, v[1:2]
	s_ashr_i32 s1, s12, 31
	s_delay_alu instid0(VALU_DEP_1) | instskip(NEXT) | instid1(VALU_DEP_1)
	v_lshlrev_b64 v[11:12], 4, v[11:12]
	v_add_co_u32 v1, vcc_lo, s3, v11
	s_delay_alu instid0(VALU_DEP_2) | instskip(NEXT) | instid1(VALU_DEP_2)
	v_add_co_ci_u32_e32 v12, vcc_lo, s4, v12, vcc_lo
	v_add_co_u32 v11, vcc_lo, v1, v9
	s_delay_alu instid0(VALU_DEP_2)
	v_add_co_ci_u32_e32 v12, vcc_lo, v12, v10, vcc_lo
	v_mov_b32_e32 v1, v20
	global_load_b128 v[11:14], v[11:12], off
	s_waitcnt vmcnt(0)
	v_mul_f64 v[15:16], v[2:3], v[11:12]
	v_mul_f64 v[17:18], v[2:3], v[13:14]
	s_delay_alu instid0(VALU_DEP_2) | instskip(NEXT) | instid1(VALU_DEP_2)
	v_fma_f64 v[13:14], v[4:5], v[13:14], -v[15:16]
	v_fma_f64 v[15:16], v[11:12], -v[4:5], -v[17:18]
	v_mad_u64_u32 v[11:12], null, v6, s1, v[1:2]
	s_mov_b32 s1, 0
	s_delay_alu instid0(VALU_DEP_1) | instskip(NEXT) | instid1(VALU_DEP_1)
	v_mov_b32_e32 v20, v11
	v_lshlrev_b64 v[11:12], 4, v[19:20]
	s_delay_alu instid0(VALU_DEP_1) | instskip(NEXT) | instid1(VALU_DEP_2)
	v_add_co_u32 v1, vcc_lo, s6, v11
	v_add_co_ci_u32_e32 v12, vcc_lo, s7, v12, vcc_lo
	s_delay_alu instid0(VALU_DEP_2) | instskip(NEXT) | instid1(VALU_DEP_2)
	v_add_co_u32 v11, vcc_lo, v1, v9
	v_add_co_ci_u32_e32 v12, vcc_lo, v12, v10, vcc_lo
	global_store_b128 v[11:12], v[13:16], off
.LBB116_25:
	s_and_not1_b32 vcc_lo, exec_lo, s1
	s_cbranch_vccnz .LBB116_27
; %bb.26:
	v_mad_u64_u32 v[11:12], null, v6, s11, 0
	v_mad_u64_u32 v[13:14], null, v6, s12, 0
	s_ashr_i32 s1, s11, 31
	s_delay_alu instid0(VALU_DEP_1) | instskip(SKIP_1) | instid1(VALU_DEP_1)
	v_dual_mov_b32 v1, v12 :: v_dual_mov_b32 v12, v14
	s_waitcnt vmcnt(0)
	v_mad_u64_u32 v[14:15], null, v6, s1, v[1:2]
	s_ashr_i32 s1, s12, 31
	s_delay_alu instid0(VALU_DEP_2) | instid1(SALU_CYCLE_1)
	v_mad_u64_u32 v[15:16], null, v6, s1, v[12:13]
	s_delay_alu instid0(VALU_DEP_2) | instskip(NEXT) | instid1(VALU_DEP_2)
	v_mov_b32_e32 v12, v14
	v_mov_b32_e32 v14, v15
	s_delay_alu instid0(VALU_DEP_2) | instskip(NEXT) | instid1(VALU_DEP_2)
	v_lshlrev_b64 v[11:12], 4, v[11:12]
	v_lshlrev_b64 v[13:14], 4, v[13:14]
	s_delay_alu instid0(VALU_DEP_2) | instskip(NEXT) | instid1(VALU_DEP_3)
	v_add_co_u32 v1, vcc_lo, s3, v11
	v_add_co_ci_u32_e32 v12, vcc_lo, s4, v12, vcc_lo
	s_delay_alu instid0(VALU_DEP_3) | instskip(NEXT) | instid1(VALU_DEP_4)
	v_add_co_u32 v13, vcc_lo, s6, v13
	v_add_co_ci_u32_e32 v14, vcc_lo, s7, v14, vcc_lo
	s_delay_alu instid0(VALU_DEP_4) | instskip(NEXT) | instid1(VALU_DEP_4)
	v_add_co_u32 v11, vcc_lo, v1, v9
	v_add_co_ci_u32_e32 v12, vcc_lo, v12, v10, vcc_lo
	s_delay_alu instid0(VALU_DEP_4) | instskip(NEXT) | instid1(VALU_DEP_4)
	v_add_co_u32 v17, vcc_lo, v13, v9
	v_add_co_ci_u32_e32 v18, vcc_lo, v14, v10, vcc_lo
	global_load_b128 v[9:12], v[11:12], off
	global_load_b128 v[13:16], v[17:18], off
	s_waitcnt vmcnt(0)
	v_add_f64 v[13:14], v[9:10], v[13:14]
	v_add_f64 v[9:10], v[11:12], v[15:16]
	s_delay_alu instid0(VALU_DEP_2) | instskip(NEXT) | instid1(VALU_DEP_2)
	v_mul_f64 v[11:12], v[2:3], v[13:14]
	v_mul_f64 v[15:16], v[2:3], v[9:10]
	s_delay_alu instid0(VALU_DEP_2) | instskip(NEXT) | instid1(VALU_DEP_2)
	v_fma_f64 v[9:10], v[4:5], v[9:10], -v[11:12]
	v_fma_f64 v[11:12], v[13:14], -v[4:5], -v[15:16]
	global_store_b128 v[17:18], v[9:12], off
.LBB116_27:
	s_mov_b32 s1, 0
.LBB116_28:
	s_delay_alu instid0(SALU_CYCLE_1)
	s_and_not1_b32 vcc_lo, exec_lo, s1
	s_cbranch_vccnz .LBB116_33
; %bb.29:
	v_mov_b32_e32 v1, 0
	s_and_not1_b32 vcc_lo, exec_lo, s2
	s_mov_b32 s1, -1
	s_delay_alu instid0(VALU_DEP_1)
	v_lshlrev_b64 v[9:10], 4, v[0:1]
	s_cbranch_vccnz .LBB116_31
; %bb.30:
	v_mad_u64_u32 v[11:12], null, v0, s11, 0
	s_ashr_i32 s1, s11, 31
	v_mad_u64_u32 v[19:20], null, v6, s12, 0
	s_delay_alu instid0(VALU_DEP_2) | instskip(SKIP_1) | instid1(VALU_DEP_1)
	v_mov_b32_e32 v1, v12
	s_waitcnt vmcnt(0)
	v_mad_u64_u32 v[12:13], null, v0, s1, v[1:2]
	s_ashr_i32 s1, s12, 31
	s_delay_alu instid0(VALU_DEP_1) | instskip(NEXT) | instid1(VALU_DEP_1)
	v_lshlrev_b64 v[11:12], 4, v[11:12]
	v_add_co_u32 v1, vcc_lo, s3, v11
	s_delay_alu instid0(VALU_DEP_2) | instskip(NEXT) | instid1(VALU_DEP_2)
	v_add_co_ci_u32_e32 v12, vcc_lo, s4, v12, vcc_lo
	v_add_co_u32 v11, vcc_lo, v1, v7
	s_delay_alu instid0(VALU_DEP_2)
	v_add_co_ci_u32_e32 v12, vcc_lo, v12, v8, vcc_lo
	v_mov_b32_e32 v1, v20
	global_load_b128 v[11:14], v[11:12], off
	s_waitcnt vmcnt(0)
	v_mul_f64 v[15:16], v[4:5], v[13:14]
	v_mul_f64 v[17:18], v[4:5], v[11:12]
	s_delay_alu instid0(VALU_DEP_2) | instskip(NEXT) | instid1(VALU_DEP_2)
	v_fma_f64 v[11:12], v[11:12], -v[2:3], -v[15:16]
	v_fma_f64 v[13:14], v[2:3], v[13:14], -v[17:18]
	v_mad_u64_u32 v[15:16], null, v6, s1, v[1:2]
	s_mov_b32 s1, 0
	s_delay_alu instid0(VALU_DEP_1) | instskip(NEXT) | instid1(VALU_DEP_1)
	v_mov_b32_e32 v20, v15
	v_lshlrev_b64 v[15:16], 4, v[19:20]
	s_delay_alu instid0(VALU_DEP_1) | instskip(NEXT) | instid1(VALU_DEP_2)
	v_add_co_u32 v1, vcc_lo, s6, v15
	v_add_co_ci_u32_e32 v16, vcc_lo, s7, v16, vcc_lo
	s_delay_alu instid0(VALU_DEP_2) | instskip(NEXT) | instid1(VALU_DEP_2)
	v_add_co_u32 v15, vcc_lo, v1, v9
	v_add_co_ci_u32_e32 v16, vcc_lo, v16, v10, vcc_lo
	global_store_b128 v[15:16], v[11:14], off
.LBB116_31:
	s_and_not1_b32 vcc_lo, exec_lo, s1
	s_cbranch_vccnz .LBB116_33
; %bb.32:
	v_mad_u64_u32 v[11:12], null, v0, s11, 0
	v_mad_u64_u32 v[13:14], null, v6, s12, 0
	s_ashr_i32 s1, s11, 31
	s_delay_alu instid0(VALU_DEP_1) | instskip(SKIP_1) | instid1(VALU_DEP_1)
	v_dual_mov_b32 v1, v12 :: v_dual_mov_b32 v12, v14
	s_waitcnt vmcnt(0)
	v_mad_u64_u32 v[14:15], null, v0, s1, v[1:2]
	s_ashr_i32 s1, s12, 31
	s_delay_alu instid0(VALU_DEP_2) | instid1(SALU_CYCLE_1)
	v_mad_u64_u32 v[0:1], null, v6, s1, v[12:13]
	s_delay_alu instid0(VALU_DEP_2) | instskip(NEXT) | instid1(VALU_DEP_2)
	v_mov_b32_e32 v12, v14
	v_mov_b32_e32 v14, v0
	s_delay_alu instid0(VALU_DEP_2) | instskip(NEXT) | instid1(VALU_DEP_2)
	v_lshlrev_b64 v[0:1], 4, v[11:12]
	v_lshlrev_b64 v[11:12], 4, v[13:14]
	s_delay_alu instid0(VALU_DEP_2) | instskip(NEXT) | instid1(VALU_DEP_3)
	v_add_co_u32 v0, vcc_lo, s3, v0
	v_add_co_ci_u32_e32 v1, vcc_lo, s4, v1, vcc_lo
	s_delay_alu instid0(VALU_DEP_3) | instskip(NEXT) | instid1(VALU_DEP_4)
	v_add_co_u32 v6, vcc_lo, s6, v11
	v_add_co_ci_u32_e32 v11, vcc_lo, s7, v12, vcc_lo
	s_delay_alu instid0(VALU_DEP_4) | instskip(NEXT) | instid1(VALU_DEP_4)
	v_add_co_u32 v0, vcc_lo, v0, v7
	v_add_co_ci_u32_e32 v1, vcc_lo, v1, v8, vcc_lo
	s_delay_alu instid0(VALU_DEP_4) | instskip(NEXT) | instid1(VALU_DEP_4)
	v_add_co_u32 v14, vcc_lo, v6, v9
	v_add_co_ci_u32_e32 v15, vcc_lo, v11, v10, vcc_lo
	global_load_b128 v[6:9], v[0:1], off
	global_load_b128 v[10:13], v[14:15], off
	s_waitcnt vmcnt(0)
	v_add_f64 v[6:7], v[6:7], v[10:11]
	v_add_f64 v[0:1], v[12:13], -v[8:9]
	s_delay_alu instid0(VALU_DEP_2) | instskip(NEXT) | instid1(VALU_DEP_2)
	v_mul_f64 v[8:9], v[2:3], v[6:7]
	v_mul_f64 v[2:3], v[2:3], v[0:1]
	s_delay_alu instid0(VALU_DEP_2) | instskip(NEXT) | instid1(VALU_DEP_2)
	v_fma_f64 v[0:1], v[4:5], v[0:1], -v[8:9]
	v_fma_f64 v[2:3], v[6:7], -v[4:5], -v[2:3]
	global_store_b128 v[14:15], v[0:3], off
.LBB116_33:
	s_or_b32 exec_lo, exec_lo, s0
                                        ; implicit-def: $vgpr6_vgpr7
.LBB116_34:
	s_and_not1_saveexec_b32 s0, s18
	s_cbranch_execz .LBB116_36
; %bb.35:
	v_mov_b32_e32 v7, 0
	s_ashr_i32 s0, s12, 31
	s_waitcnt vmcnt(0)
	s_delay_alu instid0(VALU_DEP_1) | instskip(SKIP_1) | instid1(VALU_DEP_2)
	v_lshlrev_b64 v[4:5], 4, v[6:7]
	v_mad_u64_u32 v[7:8], null, v6, s12, 0
	v_add_co_u32 v0, vcc_lo, s13, v4
	s_delay_alu instid0(VALU_DEP_3) | instskip(NEXT) | instid1(VALU_DEP_3)
	v_add_co_ci_u32_e32 v1, vcc_lo, s14, v5, vcc_lo
	v_mad_u64_u32 v[9:10], null, v6, s0, v[8:9]
	global_load_b128 v[0:3], v[0:1], off
	v_mov_b32_e32 v8, v9
	s_delay_alu instid0(VALU_DEP_1) | instskip(NEXT) | instid1(VALU_DEP_1)
	v_lshlrev_b64 v[6:7], 4, v[7:8]
	v_add_co_u32 v6, vcc_lo, s6, v6
	s_delay_alu instid0(VALU_DEP_2) | instskip(NEXT) | instid1(VALU_DEP_2)
	v_add_co_ci_u32_e32 v7, vcc_lo, s7, v7, vcc_lo
	v_add_co_u32 v4, vcc_lo, v6, v4
	s_delay_alu instid0(VALU_DEP_2)
	v_add_co_ci_u32_e32 v5, vcc_lo, v7, v5, vcc_lo
	s_waitcnt vmcnt(0)
	global_store_b128 v[4:5], v[0:3], off
.LBB116_36:
	s_nop 0
	s_sendmsg sendmsg(MSG_DEALLOC_VGPRS)
	s_endpgm
	.section	.rodata,"a",@progbits
	.p2align	6, 0x0
	.amdhsa_kernel _ZN9rocsolver6v33100L14set_triangularI19rocblas_complex_numIdEPS3_TnNSt9enable_ifIX18rocblas_is_complexIT_EEiE4typeELi0EEEviiT0_iilPS6_lSA_il15rocblas_direct_15rocblas_storev_b
		.amdhsa_group_segment_fixed_size 0
		.amdhsa_private_segment_fixed_size 0
		.amdhsa_kernarg_size 344
		.amdhsa_user_sgpr_count 13
		.amdhsa_user_sgpr_dispatch_ptr 0
		.amdhsa_user_sgpr_queue_ptr 0
		.amdhsa_user_sgpr_kernarg_segment_ptr 1
		.amdhsa_user_sgpr_dispatch_id 0
		.amdhsa_user_sgpr_private_segment_size 0
		.amdhsa_wavefront_size32 1
		.amdhsa_uses_dynamic_stack 0
		.amdhsa_enable_private_segment 0
		.amdhsa_system_sgpr_workgroup_id_x 1
		.amdhsa_system_sgpr_workgroup_id_y 1
		.amdhsa_system_sgpr_workgroup_id_z 1
		.amdhsa_system_sgpr_workgroup_info 0
		.amdhsa_system_vgpr_workitem_id 1
		.amdhsa_next_free_vgpr 21
		.amdhsa_next_free_sgpr 22
		.amdhsa_reserve_vcc 1
		.amdhsa_float_round_mode_32 0
		.amdhsa_float_round_mode_16_64 0
		.amdhsa_float_denorm_mode_32 3
		.amdhsa_float_denorm_mode_16_64 3
		.amdhsa_dx10_clamp 1
		.amdhsa_ieee_mode 1
		.amdhsa_fp16_overflow 0
		.amdhsa_workgroup_processor_mode 1
		.amdhsa_memory_ordered 1
		.amdhsa_forward_progress 0
		.amdhsa_shared_vgpr_count 0
		.amdhsa_exception_fp_ieee_invalid_op 0
		.amdhsa_exception_fp_denorm_src 0
		.amdhsa_exception_fp_ieee_div_zero 0
		.amdhsa_exception_fp_ieee_overflow 0
		.amdhsa_exception_fp_ieee_underflow 0
		.amdhsa_exception_fp_ieee_inexact 0
		.amdhsa_exception_int_div_zero 0
	.end_amdhsa_kernel
	.section	.text._ZN9rocsolver6v33100L14set_triangularI19rocblas_complex_numIdEPS3_TnNSt9enable_ifIX18rocblas_is_complexIT_EEiE4typeELi0EEEviiT0_iilPS6_lSA_il15rocblas_direct_15rocblas_storev_b,"axG",@progbits,_ZN9rocsolver6v33100L14set_triangularI19rocblas_complex_numIdEPS3_TnNSt9enable_ifIX18rocblas_is_complexIT_EEiE4typeELi0EEEviiT0_iilPS6_lSA_il15rocblas_direct_15rocblas_storev_b,comdat
.Lfunc_end116:
	.size	_ZN9rocsolver6v33100L14set_triangularI19rocblas_complex_numIdEPS3_TnNSt9enable_ifIX18rocblas_is_complexIT_EEiE4typeELi0EEEviiT0_iilPS6_lSA_il15rocblas_direct_15rocblas_storev_b, .Lfunc_end116-_ZN9rocsolver6v33100L14set_triangularI19rocblas_complex_numIdEPS3_TnNSt9enable_ifIX18rocblas_is_complexIT_EEiE4typeELi0EEEviiT0_iilPS6_lSA_il15rocblas_direct_15rocblas_storev_b
                                        ; -- End function
	.section	.AMDGPU.csdata,"",@progbits
; Kernel info:
; codeLenInByte = 2900
; NumSgprs: 24
; NumVgprs: 21
; ScratchSize: 0
; MemoryBound: 1
; FloatMode: 240
; IeeeMode: 1
; LDSByteSize: 0 bytes/workgroup (compile time only)
; SGPRBlocks: 2
; VGPRBlocks: 2
; NumSGPRsForWavesPerEU: 24
; NumVGPRsForWavesPerEU: 21
; Occupancy: 16
; WaveLimiterHint : 0
; COMPUTE_PGM_RSRC2:SCRATCH_EN: 0
; COMPUTE_PGM_RSRC2:USER_SGPR: 13
; COMPUTE_PGM_RSRC2:TRAP_HANDLER: 0
; COMPUTE_PGM_RSRC2:TGID_X_EN: 1
; COMPUTE_PGM_RSRC2:TGID_Y_EN: 1
; COMPUTE_PGM_RSRC2:TGID_Z_EN: 1
; COMPUTE_PGM_RSRC2:TIDIG_COMP_CNT: 1
	.section	.text._ZN9rocsolver6v33100L7set_tauI19rocblas_complex_numIdEEEviPT_l,"axG",@progbits,_ZN9rocsolver6v33100L7set_tauI19rocblas_complex_numIdEEEviPT_l,comdat
	.globl	_ZN9rocsolver6v33100L7set_tauI19rocblas_complex_numIdEEEviPT_l ; -- Begin function _ZN9rocsolver6v33100L7set_tauI19rocblas_complex_numIdEEEviPT_l
	.p2align	8
	.type	_ZN9rocsolver6v33100L7set_tauI19rocblas_complex_numIdEEEviPT_l,@function
_ZN9rocsolver6v33100L7set_tauI19rocblas_complex_numIdEEEviPT_l: ; @_ZN9rocsolver6v33100L7set_tauI19rocblas_complex_numIdEEEviPT_l
; %bb.0:
	s_clause 0x1
	s_load_b32 s2, s[0:1], 0x24
	s_load_b32 s3, s[0:1], 0x0
	s_waitcnt lgkmcnt(0)
	s_and_b32 s2, s2, 0xffff
	s_delay_alu instid0(SALU_CYCLE_1) | instskip(SKIP_1) | instid1(VALU_DEP_1)
	v_mad_u64_u32 v[1:2], null, s14, s2, v[0:1]
	s_mov_b32 s2, exec_lo
	v_cmpx_gt_u32_e64 s3, v1
	s_cbranch_execz .LBB117_2
; %bb.1:
	s_load_b128 s[0:3], s[0:1], 0x8
	v_mov_b32_e32 v2, 0
	s_delay_alu instid0(VALU_DEP_1)
	v_lshlrev_b64 v[0:1], 4, v[1:2]
	s_waitcnt lgkmcnt(0)
	s_mul_i32 s3, s15, s3
	s_mul_hi_u32 s4, s15, s2
	s_mul_i32 s2, s15, s2
	s_add_i32 s3, s4, s3
	s_delay_alu instid0(SALU_CYCLE_1) | instskip(NEXT) | instid1(SALU_CYCLE_1)
	s_lshl_b64 s[2:3], s[2:3], 4
	s_add_u32 s0, s0, s2
	s_addc_u32 s1, s1, s3
	v_add_co_u32 v4, vcc_lo, s0, v0
	v_add_co_ci_u32_e32 v5, vcc_lo, s1, v1, vcc_lo
	global_load_b128 v[0:3], v[4:5], off
	s_waitcnt vmcnt(0)
	v_xor_b32_e32 v1, 0x80000000, v1
	v_xor_b32_e32 v3, 0x80000000, v3
	global_store_b128 v[4:5], v[0:3], off
.LBB117_2:
	s_nop 0
	s_sendmsg sendmsg(MSG_DEALLOC_VGPRS)
	s_endpgm
	.section	.rodata,"a",@progbits
	.p2align	6, 0x0
	.amdhsa_kernel _ZN9rocsolver6v33100L7set_tauI19rocblas_complex_numIdEEEviPT_l
		.amdhsa_group_segment_fixed_size 0
		.amdhsa_private_segment_fixed_size 0
		.amdhsa_kernarg_size 280
		.amdhsa_user_sgpr_count 14
		.amdhsa_user_sgpr_dispatch_ptr 0
		.amdhsa_user_sgpr_queue_ptr 0
		.amdhsa_user_sgpr_kernarg_segment_ptr 1
		.amdhsa_user_sgpr_dispatch_id 0
		.amdhsa_user_sgpr_private_segment_size 0
		.amdhsa_wavefront_size32 1
		.amdhsa_uses_dynamic_stack 0
		.amdhsa_enable_private_segment 0
		.amdhsa_system_sgpr_workgroup_id_x 1
		.amdhsa_system_sgpr_workgroup_id_y 1
		.amdhsa_system_sgpr_workgroup_id_z 0
		.amdhsa_system_sgpr_workgroup_info 0
		.amdhsa_system_vgpr_workitem_id 0
		.amdhsa_next_free_vgpr 6
		.amdhsa_next_free_sgpr 16
		.amdhsa_reserve_vcc 1
		.amdhsa_float_round_mode_32 0
		.amdhsa_float_round_mode_16_64 0
		.amdhsa_float_denorm_mode_32 3
		.amdhsa_float_denorm_mode_16_64 3
		.amdhsa_dx10_clamp 1
		.amdhsa_ieee_mode 1
		.amdhsa_fp16_overflow 0
		.amdhsa_workgroup_processor_mode 1
		.amdhsa_memory_ordered 1
		.amdhsa_forward_progress 0
		.amdhsa_shared_vgpr_count 0
		.amdhsa_exception_fp_ieee_invalid_op 0
		.amdhsa_exception_fp_denorm_src 0
		.amdhsa_exception_fp_ieee_div_zero 0
		.amdhsa_exception_fp_ieee_overflow 0
		.amdhsa_exception_fp_ieee_underflow 0
		.amdhsa_exception_fp_ieee_inexact 0
		.amdhsa_exception_int_div_zero 0
	.end_amdhsa_kernel
	.section	.text._ZN9rocsolver6v33100L7set_tauI19rocblas_complex_numIdEEEviPT_l,"axG",@progbits,_ZN9rocsolver6v33100L7set_tauI19rocblas_complex_numIdEEEviPT_l,comdat
.Lfunc_end117:
	.size	_ZN9rocsolver6v33100L7set_tauI19rocblas_complex_numIdEEEviPT_l, .Lfunc_end117-_ZN9rocsolver6v33100L7set_tauI19rocblas_complex_numIdEEEviPT_l
                                        ; -- End function
	.section	.AMDGPU.csdata,"",@progbits
; Kernel info:
; codeLenInByte = 180
; NumSgprs: 18
; NumVgprs: 6
; ScratchSize: 0
; MemoryBound: 0
; FloatMode: 240
; IeeeMode: 1
; LDSByteSize: 0 bytes/workgroup (compile time only)
; SGPRBlocks: 2
; VGPRBlocks: 0
; NumSGPRsForWavesPerEU: 18
; NumVGPRsForWavesPerEU: 6
; Occupancy: 16
; WaveLimiterHint : 0
; COMPUTE_PGM_RSRC2:SCRATCH_EN: 0
; COMPUTE_PGM_RSRC2:USER_SGPR: 14
; COMPUTE_PGM_RSRC2:TRAP_HANDLER: 0
; COMPUTE_PGM_RSRC2:TGID_X_EN: 1
; COMPUTE_PGM_RSRC2:TGID_Y_EN: 1
; COMPUTE_PGM_RSRC2:TGID_Z_EN: 0
; COMPUTE_PGM_RSRC2:TIDIG_COMP_CNT: 0
	.section	.text._ZN9rocsolver6v33100L20larft_kernel_forwardI19rocblas_complex_numIdEPS3_EEv15rocblas_storev_iiT0_iilPT_lS8_il,"axG",@progbits,_ZN9rocsolver6v33100L20larft_kernel_forwardI19rocblas_complex_numIdEPS3_EEv15rocblas_storev_iiT0_iilPT_lS8_il,comdat
	.globl	_ZN9rocsolver6v33100L20larft_kernel_forwardI19rocblas_complex_numIdEPS3_EEv15rocblas_storev_iiT0_iilPT_lS8_il ; -- Begin function _ZN9rocsolver6v33100L20larft_kernel_forwardI19rocblas_complex_numIdEPS3_EEv15rocblas_storev_iiT0_iilPT_lS8_il
	.p2align	8
	.type	_ZN9rocsolver6v33100L20larft_kernel_forwardI19rocblas_complex_numIdEPS3_EEv15rocblas_storev_iiT0_iilPT_lS8_il,@function
_ZN9rocsolver6v33100L20larft_kernel_forwardI19rocblas_complex_numIdEPS3_EEv15rocblas_storev_iiT0_iilPT_lS8_il: ; @_ZN9rocsolver6v33100L20larft_kernel_forwardI19rocblas_complex_numIdEPS3_EEv15rocblas_storev_iiT0_iilPT_lS8_il
; %bb.0:
	s_clause 0x4
	s_load_b64 s[20:21], s[0:1], 0x48
	s_load_b128 s[16:19], s[0:1], 0x0
	s_load_b32 s13, s[0:1], 0x5c
	s_load_b256 s[4:11], s[0:1], 0x20
	s_load_b32 s3, s[0:1], 0x40
	s_ashr_i32 s12, s15, 31
	v_lshlrev_b32_e32 v11, 4, v0
	s_waitcnt lgkmcnt(0)
	s_mul_i32 s2, s15, s21
	s_mul_hi_u32 s14, s15, s20
	s_mul_i32 s19, s12, s20
	s_add_i32 s2, s14, s2
	s_mul_i32 s20, s15, s20
	s_add_i32 s21, s2, s19
	v_cmp_gt_i32_e64 s2, s18, v0
	s_lshl_b64 s[20:21], s[20:21], 4
	s_and_b32 s19, s13, 0xffff
	s_add_u32 s28, s10, s20
	s_addc_u32 s29, s11, s21
	s_and_saveexec_b32 s10, s2
	s_cbranch_execz .LBB118_5
; %bb.1:
	v_add_nc_u32_e32 v1, 16, v11
	s_lshl_b32 s13, s18, 4
	v_mov_b32_e32 v5, v0
	s_add_i32 s14, s13, 16
	s_add_i32 s20, s3, 1
	v_mul_lo_u32 v3, s18, v1
	v_mad_u64_u32 v[1:2], null, v0, s3, v[0:1]
	s_mov_b32 s11, 0
	s_mul_i32 s14, s14, s19
	s_mul_i32 s20, s20, s19
	s_delay_alu instid0(VALU_DEP_2)
	v_add3_u32 v4, v3, v11, 0
	.p2align	6
.LBB118_2:                              ; =>This Loop Header: Depth=1
                                        ;     Child Loop BB118_3 Depth 2
	s_delay_alu instid0(VALU_DEP_2) | instskip(NEXT) | instid1(VALU_DEP_2)
	v_mov_b32_e32 v2, v1
	v_dual_mov_b32 v6, v4 :: v_dual_mov_b32 v7, v5
	s_mov_b32 s21, 0
	.p2align	6
.LBB118_3:                              ;   Parent Loop BB118_2 Depth=1
                                        ; =>  This Inner Loop Header: Depth=2
	s_delay_alu instid0(VALU_DEP_2) | instskip(NEXT) | instid1(VALU_DEP_2)
	v_ashrrev_i32_e32 v3, 31, v2
	v_add_nc_u32_e32 v7, 1, v7
	s_delay_alu instid0(VALU_DEP_2) | instskip(SKIP_1) | instid1(VALU_DEP_2)
	v_lshlrev_b64 v[8:9], 4, v[2:3]
	v_add_nc_u32_e32 v2, s3, v2
	v_add_co_u32 v8, vcc_lo, s28, v8
	s_delay_alu instid0(VALU_DEP_3)
	v_add_co_ci_u32_e32 v9, vcc_lo, s29, v9, vcc_lo
	v_cmp_le_i32_e32 vcc_lo, s18, v7
	global_load_b128 v[12:15], v[8:9], off
	s_or_b32 s21, vcc_lo, s21
	s_waitcnt vmcnt(0)
	ds_store_2addr_b64 v6, v[12:13], v[14:15] offset1:1
	v_add_nc_u32_e32 v6, s13, v6
	s_and_not1_b32 exec_lo, exec_lo, s21
	s_cbranch_execnz .LBB118_3
; %bb.4:                                ;   in Loop: Header=BB118_2 Depth=1
	s_or_b32 exec_lo, exec_lo, s21
	v_add_nc_u32_e32 v5, s19, v5
	v_add_nc_u32_e32 v4, s14, v4
	;; [unrolled: 1-line block ×3, first 2 shown]
	s_delay_alu instid0(VALU_DEP_3) | instskip(SKIP_1) | instid1(SALU_CYCLE_1)
	v_cmp_le_i32_e32 vcc_lo, s18, v5
	s_or_b32 s11, vcc_lo, s11
	s_and_not1_b32 exec_lo, exec_lo, s11
	s_cbranch_execnz .LBB118_2
.LBB118_5:
	s_or_b32 exec_lo, exec_lo, s10
	s_cmp_lt_i32 s18, 2
	s_waitcnt lgkmcnt(0)
	s_barrier
	buffer_gl0_inv
	s_cbranch_scc1 .LBB118_29
; %bb.6:
	s_load_b128 s[20:23], s[0:1], 0x10
	s_mul_i32 s1, s15, s9
	s_mul_hi_u32 s10, s15, s8
	s_mul_i32 s11, s12, s8
	s_add_i32 s1, s10, s1
	s_mul_i32 s0, s15, s8
	s_add_i32 s1, s1, s11
	s_mul_i32 s12, s4, s12
	s_lshl_b64 s[0:1], s[0:1], 4
	s_mul_hi_u32 s13, s4, s15
	v_dual_mov_b32 v2, 0 :: v_dual_add_nc_u32 v3, 16, v11
	s_mul_i32 s5, s5, s15
	s_mul_i32 s4, s4, s15
	v_or_b32_e32 v1, 8, v11
	s_delay_alu instid0(VALU_DEP_2)
	v_mul_lo_u32 v3, s18, v3
	v_add_nc_u32_e32 v14, 0, v11
	s_mov_b32 s9, 0
	s_mov_b32 s8, 1
	s_waitcnt lgkmcnt(0)
	s_ashr_i32 s11, s22, 31
	s_add_u32 s30, s6, s0
	s_addc_u32 s31, s7, s1
	s_lshl_b32 s33, s18, 4
	s_mov_b32 s10, s22
	s_add_i32 s34, s33, 0
	s_cmpk_lg_i32 s16, 0xb5
	s_mov_b32 s6, s23
	s_cselect_b32 s16, -1, 0
	s_add_i32 s0, s13, s12
	v_mul_lo_u32 v12, v0, s23
	s_add_i32 s5, s0, s5
	s_lshl_b64 s[0:1], s[10:11], 4
	s_lshl_b64 s[4:5], s[4:5], 4
	v_add3_u32 v13, v3, v11, 0
	s_add_u32 s0, s4, s0
	s_addc_u32 s1, s5, s1
	s_add_u32 s22, s20, s0
	s_addc_u32 s35, s21, s1
	s_ashr_i32 s7, s23, 31
	s_lshl_b32 s10, s23, 1
	s_lshl_b32 s36, s19, 4
	s_lshl_b64 s[12:13], s[6:7], 4
	s_add_u32 s14, s22, 32
	s_addc_u32 s15, s35, 0
	s_add_i32 s38, s33, 16
	s_mul_i32 s37, s23, s19
	s_mul_i32 s38, s38, s19
	s_mov_b64 s[20:21], 0
	s_mov_b32 s24, s23
	s_branch .LBB118_8
.LBB118_7:                              ;   in Loop: Header=BB118_8 Depth=1
	s_set_inst_prefetch_distance 0x2
	s_or_b32 exec_lo, exec_lo, s0
	s_add_i32 s8, s8, 1
	s_add_u32 s20, s20, 16
	s_addc_u32 s21, s21, 0
	s_add_i32 s10, s10, s23
	s_add_u32 s14, s14, 16
	s_addc_u32 s15, s15, 0
	s_add_i32 s24, s24, s23
	s_cmp_eq_u32 s8, s18
	s_waitcnt lgkmcnt(0)
	s_barrier
	buffer_gl0_inv
	s_cbranch_scc1 .LBB118_29
.LBB118_8:                              ; =>This Loop Header: Depth=1
                                        ;     Child Loop BB118_12 Depth 2
                                        ;       Child Loop BB118_14 Depth 3
                                        ;     Child Loop BB118_20 Depth 2
                                        ;       Child Loop BB118_22 Depth 3
	;; [unrolled: 2-line block ×3, first 2 shown]
	s_mul_i32 s0, s8, s18
	s_not_b32 s40, s8
	s_lshl_b32 s0, s0, 4
	s_add_i32 s40, s40, s17
	s_add_i32 s39, s34, s0
	v_cmp_gt_u32_e64 s0, s8, v0
	s_and_b32 vcc_lo, exec_lo, s16
	s_mov_b32 s1, -1
	s_cbranch_vccz .LBB118_16
; %bb.9:                                ;   in Loop: Header=BB118_8 Depth=1
	s_delay_alu instid0(VALU_DEP_1)
	s_and_saveexec_b32 s25, s0
	s_cbranch_execz .LBB118_15
; %bb.10:                               ;   in Loop: Header=BB118_8 Depth=1
	s_ashr_i32 s11, s10, 31
	v_dual_mov_b32 v4, v2 :: v_dual_mov_b32 v3, v1
	s_lshl_b64 s[0:1], s[10:11], 4
	v_mov_b32_e32 v9, v0
	s_add_u32 s26, s22, s0
	s_addc_u32 s27, s35, s1
	s_cmp_gt_i32 s40, 0
	s_mov_b32 s41, 0
	s_cselect_b32 s11, -1, 0
	s_lshl_b64 s[0:1], s[8:9], 4
	s_delay_alu instid0(SALU_CYCLE_1)
	s_add_u32 s0, s30, s0
	s_addc_u32 s1, s31, s1
	s_load_b128 s[4:7], s[0:1], 0x0
	s_branch .LBB118_12
.LBB118_11:                             ;   in Loop: Header=BB118_12 Depth=2
	s_waitcnt lgkmcnt(0)
	s_delay_alu instid0(VALU_DEP_1) | instskip(NEXT) | instid1(VALU_DEP_2)
	v_mul_f64 v[15:16], v[5:6], s[6:7]
	v_mul_f64 v[17:18], v[7:8], s[6:7]
	v_lshlrev_b32_e32 v10, 4, v9
	v_add_nc_u32_e32 v9, s19, v9
	v_add_co_u32 v3, s0, v3, s36
	s_delay_alu instid0(VALU_DEP_1) | instskip(NEXT) | instid1(VALU_DEP_3)
	v_add_co_ci_u32_e64 v4, s0, 0, v4, s0
	v_cmp_le_u32_e32 vcc_lo, s8, v9
	s_or_b32 s41, vcc_lo, s41
	v_fma_f64 v[15:16], v[7:8], s[4:5], -v[15:16]
	v_fma_f64 v[17:18], v[5:6], s[4:5], v[17:18]
	v_add_nc_u32_e32 v5, s39, v10
	v_add_nc_u32_e32 v10, 0, v10
	ds_load_2addr_b64 v[5:8], v5 offset1:1
	s_waitcnt lgkmcnt(0)
	v_add_f64 v[5:6], v[5:6], v[15:16]
	v_add_f64 v[7:8], v[17:18], v[7:8]
	ds_store_2addr_b64 v10, v[5:6], v[7:8] offset1:1
	s_and_not1_b32 exec_lo, exec_lo, s41
	s_cbranch_execz .LBB118_15
.LBB118_12:                             ;   Parent Loop BB118_8 Depth=1
                                        ; =>  This Loop Header: Depth=2
                                        ;       Child Loop BB118_14 Depth 3
	v_mov_b32_e32 v5, 0
	v_mov_b32_e32 v6, 0
	s_and_not1_b32 vcc_lo, exec_lo, s11
	s_delay_alu instid0(VALU_DEP_1)
	v_dual_mov_b32 v8, v6 :: v_dual_mov_b32 v7, v5
	s_cbranch_vccnz .LBB118_11
; %bb.13:                               ;   in Loop: Header=BB118_12 Depth=2
	v_mov_b32_e32 v5, 0
	v_mov_b32_e32 v6, 0
	s_mov_b32 s42, 0
	s_mov_b64 s[0:1], s[26:27]
	s_delay_alu instid0(VALU_DEP_1)
	v_dual_mov_b32 v8, v6 :: v_dual_mov_b32 v7, v5
	.p2align	6
.LBB118_14:                             ;   Parent Loop BB118_8 Depth=1
                                        ;     Parent Loop BB118_12 Depth=2
                                        ; =>    This Inner Loop Header: Depth=3
	v_add_co_u32 v15, vcc_lo, s0, v3
	v_add_co_ci_u32_e32 v16, vcc_lo, s1, v4, vcc_lo
	s_add_u32 s44, s0, s20
	s_addc_u32 s45, s1, s21
	s_add_i32 s42, s42, 1
	s_load_b128 s[44:47], s[44:45], 0x10
	global_load_b128 v[15:18], v[15:16], off offset:-8
	s_add_u32 s0, s0, s12
	s_addc_u32 s1, s1, s13
	s_cmp_ge_i32 s42, s40
	s_waitcnt vmcnt(0) lgkmcnt(0)
	v_mul_f64 v[19:20], s[46:47], v[17:18]
	v_mul_f64 v[21:22], s[46:47], v[15:16]
	s_delay_alu instid0(VALU_DEP_2) | instskip(NEXT) | instid1(VALU_DEP_2)
	v_fma_f64 v[15:16], s[44:45], v[15:16], v[19:20]
	v_fma_f64 v[17:18], s[44:45], v[17:18], -v[21:22]
	s_delay_alu instid0(VALU_DEP_2) | instskip(NEXT) | instid1(VALU_DEP_2)
	v_add_f64 v[7:8], v[7:8], v[15:16]
	v_add_f64 v[5:6], v[5:6], v[17:18]
	s_cbranch_scc0 .LBB118_14
	s_branch .LBB118_11
.LBB118_15:                             ;   in Loop: Header=BB118_8 Depth=1
	s_or_b32 exec_lo, exec_lo, s25
	s_mov_b32 s1, 0
.LBB118_16:                             ;   in Loop: Header=BB118_8 Depth=1
	s_delay_alu instid0(SALU_CYCLE_1)
	s_and_not1_b32 vcc_lo, exec_lo, s1
	s_cbranch_vccnz .LBB118_24
; %bb.17:                               ;   in Loop: Header=BB118_8 Depth=1
	s_mov_b32 s11, exec_lo
	v_cmpx_gt_u32_e64 s8, v0
	s_cbranch_execz .LBB118_23
; %bb.18:                               ;   in Loop: Header=BB118_8 Depth=1
	s_ashr_i32 s25, s24, 31
	v_mov_b32_e32 v3, v12
	s_lshl_b64 s[0:1], s[24:25], 4
	s_cmp_gt_i32 s40, 0
	v_mov_b32_e32 v15, v0
	s_cselect_b32 s25, -1, 0
	s_lshl_b64 s[4:5], s[8:9], 4
	s_mov_b32 s41, 0
	s_add_u32 s4, s30, s4
	s_addc_u32 s5, s31, s5
	s_load_b128 s[4:7], s[4:5], 0x0
	s_branch .LBB118_20
.LBB118_19:                             ;   in Loop: Header=BB118_20 Depth=2
	s_waitcnt lgkmcnt(0)
	s_delay_alu instid0(VALU_DEP_1) | instskip(NEXT) | instid1(VALU_DEP_2)
	v_mul_f64 v[9:10], v[5:6], s[6:7]
	v_mul_f64 v[16:17], v[7:8], s[6:7]
	v_add_nc_u32_e32 v3, s37, v3
	s_delay_alu instid0(VALU_DEP_3) | instskip(NEXT) | instid1(VALU_DEP_3)
	v_fma_f64 v[8:9], v[7:8], s[4:5], -v[9:10]
	v_fma_f64 v[16:17], v[5:6], s[4:5], v[16:17]
	v_lshlrev_b32_e32 v10, 4, v15
	v_add_nc_u32_e32 v15, s19, v15
	s_delay_alu instid0(VALU_DEP_2) | instskip(NEXT) | instid1(VALU_DEP_2)
	v_add_nc_u32_e32 v4, s39, v10
	v_cmp_le_u32_e32 vcc_lo, s8, v15
	ds_load_2addr_b64 v[4:7], v4 offset1:1
	s_or_b32 s41, vcc_lo, s41
	s_waitcnt lgkmcnt(0)
	v_add_f64 v[4:5], v[4:5], v[8:9]
	v_add_f64 v[6:7], v[16:17], v[6:7]
	v_add_nc_u32_e32 v8, 0, v10
	ds_store_2addr_b64 v8, v[4:5], v[6:7] offset1:1
	s_and_not1_b32 exec_lo, exec_lo, s41
	s_cbranch_execz .LBB118_23
.LBB118_20:                             ;   Parent Loop BB118_8 Depth=1
                                        ; =>  This Loop Header: Depth=2
                                        ;       Child Loop BB118_22 Depth 3
	v_mov_b32_e32 v5, 0
	v_mov_b32_e32 v6, 0
	s_and_not1_b32 vcc_lo, exec_lo, s25
	s_delay_alu instid0(VALU_DEP_1)
	v_dual_mov_b32 v8, v6 :: v_dual_mov_b32 v7, v5
	s_cbranch_vccnz .LBB118_19
; %bb.21:                               ;   in Loop: Header=BB118_20 Depth=2
	v_ashrrev_i32_e32 v4, 31, v3
	v_mov_b32_e32 v5, 0
	v_mov_b32_e32 v6, 0
	s_mov_b32 s42, 0
	s_mov_b64 s[26:27], s[14:15]
	v_lshlrev_b64 v[9:10], 4, v[3:4]
	s_delay_alu instid0(VALU_DEP_2)
	v_dual_mov_b32 v8, v6 :: v_dual_mov_b32 v7, v5
	.p2align	6
.LBB118_22:                             ;   Parent Loop BB118_8 Depth=1
                                        ;     Parent Loop BB118_20 Depth=2
                                        ; =>    This Inner Loop Header: Depth=3
	s_delay_alu instid0(VALU_DEP_2) | instskip(NEXT) | instid1(VALU_DEP_3)
	v_add_co_u32 v16, vcc_lo, s26, v9
	v_add_co_ci_u32_e32 v17, vcc_lo, s27, v10, vcc_lo
	s_add_u32 s44, s26, s0
	s_addc_u32 s45, s27, s1
	s_add_i32 s42, s42, 1
	global_load_b128 v[16:19], v[16:17], off
	s_load_b128 s[44:47], s[44:45], 0x0
	s_add_u32 s26, s26, 16
	s_addc_u32 s27, s27, 0
	s_cmp_ge_i32 s42, s40
	s_waitcnt vmcnt(0) lgkmcnt(0)
	v_mul_f64 v[20:21], v[18:19], s[46:47]
	v_mul_f64 v[18:19], v[18:19], s[44:45]
	s_delay_alu instid0(VALU_DEP_2) | instskip(NEXT) | instid1(VALU_DEP_2)
	v_fma_f64 v[20:21], v[16:17], s[44:45], v[20:21]
	v_fma_f64 v[16:17], v[16:17], s[46:47], -v[18:19]
	s_delay_alu instid0(VALU_DEP_2) | instskip(NEXT) | instid1(VALU_DEP_2)
	v_add_f64 v[7:8], v[7:8], v[20:21]
	v_add_f64 v[5:6], v[5:6], v[16:17]
	s_cbranch_scc0 .LBB118_22
	s_branch .LBB118_19
.LBB118_23:                             ;   in Loop: Header=BB118_8 Depth=1
	s_or_b32 exec_lo, exec_lo, s11
.LBB118_24:                             ;   in Loop: Header=BB118_8 Depth=1
	s_delay_alu instid0(SALU_CYCLE_1)
	s_mov_b32 s0, exec_lo
	s_waitcnt lgkmcnt(0)
	s_barrier
	buffer_gl0_inv
	v_cmpx_gt_u32_e64 s8, v0
	s_cbranch_execz .LBB118_7
; %bb.25:                               ;   in Loop: Header=BB118_8 Depth=1
	v_dual_mov_b32 v7, v14 :: v_dual_mov_b32 v8, v13
	v_mov_b32_e32 v9, v0
	s_mov_b32 s1, 0
	s_set_inst_prefetch_distance 0x1
	.p2align	6
.LBB118_26:                             ;   Parent Loop BB118_8 Depth=1
                                        ; =>  This Loop Header: Depth=2
                                        ;       Child Loop BB118_27 Depth 3
	s_delay_alu instid0(VALU_DEP_2) | instskip(SKIP_3) | instid1(VALU_DEP_2)
	v_dual_mov_b32 v3, 0 :: v_dual_mov_b32 v10, v7
	v_dual_mov_b32 v4, 0 :: v_dual_mov_b32 v15, v8
	v_mov_b32_e32 v16, v9
	s_mov_b32 s4, 0
	v_dual_mov_b32 v6, v4 :: v_dual_mov_b32 v5, v3
	.p2align	6
.LBB118_27:                             ;   Parent Loop BB118_8 Depth=1
                                        ;     Parent Loop BB118_26 Depth=2
                                        ; =>    This Inner Loop Header: Depth=3
	ds_load_2addr_b64 v[17:20], v10 offset1:1
	ds_load_2addr_b64 v[21:24], v15 offset1:1
	v_add_nc_u32_e32 v16, 1, v16
	v_add_nc_u32_e32 v15, s33, v15
	;; [unrolled: 1-line block ×3, first 2 shown]
	s_delay_alu instid0(VALU_DEP_3) | instskip(SKIP_4) | instid1(VALU_DEP_2)
	v_cmp_le_u32_e32 vcc_lo, s8, v16
	s_or_b32 s4, vcc_lo, s4
	s_waitcnt lgkmcnt(0)
	v_mul_f64 v[25:26], v[19:20], v[23:24]
	v_mul_f64 v[23:24], v[17:18], v[23:24]
	v_fma_f64 v[17:18], v[17:18], v[21:22], -v[25:26]
	s_delay_alu instid0(VALU_DEP_2) | instskip(NEXT) | instid1(VALU_DEP_2)
	v_fma_f64 v[19:20], v[19:20], v[21:22], v[23:24]
	v_add_f64 v[3:4], v[3:4], v[17:18]
	s_delay_alu instid0(VALU_DEP_2)
	v_add_f64 v[5:6], v[5:6], v[19:20]
	s_and_not1_b32 exec_lo, exec_lo, s4
	s_cbranch_execnz .LBB118_27
; %bb.28:                               ;   in Loop: Header=BB118_26 Depth=2
	s_or_b32 exec_lo, exec_lo, s4
	v_lshl_add_u32 v10, v9, 4, s39
	v_add_nc_u32_e32 v9, s19, v9
	v_add_nc_u32_e32 v8, s38, v8
	;; [unrolled: 1-line block ×3, first 2 shown]
	ds_store_2addr_b64 v10, v[3:4], v[5:6] offset1:1
	v_cmp_le_u32_e32 vcc_lo, s8, v9
	s_or_b32 s1, vcc_lo, s1
	s_delay_alu instid0(SALU_CYCLE_1)
	s_and_not1_b32 exec_lo, exec_lo, s1
	s_cbranch_execnz .LBB118_26
	s_branch .LBB118_7
.LBB118_29:
	s_and_saveexec_b32 s0, s2
	s_cbranch_execz .LBB118_34
; %bb.30:
	v_add_nc_u32_e32 v1, 16, v11
	s_lshl_b32 s2, s18, 4
	s_add_i32 s1, s3, 1
	s_add_i32 s5, s2, 16
	s_mul_i32 s1, s1, s19
	v_mul_lo_u32 v3, s18, v1
	v_mad_u64_u32 v[1:2], null, v0, s3, v[0:1]
	s_mov_b32 s4, 0
	s_mul_i32 s5, s5, s19
	s_delay_alu instid0(VALU_DEP_2)
	v_add3_u32 v4, v3, v11, 0
	.p2align	6
.LBB118_31:                             ; =>This Loop Header: Depth=1
                                        ;     Child Loop BB118_32 Depth 2
	s_delay_alu instid0(VALU_DEP_1)
	v_dual_mov_b32 v5, v4 :: v_dual_mov_b32 v2, v1
	v_mov_b32_e32 v6, v0
	s_mov_b32 s6, 0
	.p2align	6
.LBB118_32:                             ;   Parent Loop BB118_31 Depth=1
                                        ; =>  This Inner Loop Header: Depth=2
	ds_load_2addr_b64 v[7:10], v5 offset1:1
	v_ashrrev_i32_e32 v3, 31, v2
	v_add_nc_u32_e32 v6, 1, v6
	v_add_nc_u32_e32 v5, s2, v5
	s_delay_alu instid0(VALU_DEP_3) | instskip(NEXT) | instid1(VALU_DEP_3)
	v_lshlrev_b64 v[11:12], 4, v[2:3]
	v_cmp_le_i32_e32 vcc_lo, s18, v6
	v_add_nc_u32_e32 v2, s3, v2
	s_or_b32 s6, vcc_lo, s6
	s_delay_alu instid0(VALU_DEP_3) | instskip(NEXT) | instid1(VALU_DEP_1)
	v_add_co_u32 v11, s0, s28, v11
	v_add_co_ci_u32_e64 v12, s0, s29, v12, s0
	s_waitcnt lgkmcnt(0)
	global_store_b128 v[11:12], v[7:10], off
	s_and_not1_b32 exec_lo, exec_lo, s6
	s_cbranch_execnz .LBB118_32
; %bb.33:                               ;   in Loop: Header=BB118_31 Depth=1
	s_or_b32 exec_lo, exec_lo, s6
	v_add_nc_u32_e32 v0, s19, v0
	v_add_nc_u32_e32 v1, s1, v1
	;; [unrolled: 1-line block ×3, first 2 shown]
	s_delay_alu instid0(VALU_DEP_3) | instskip(SKIP_1) | instid1(SALU_CYCLE_1)
	v_cmp_le_i32_e32 vcc_lo, s18, v0
	s_or_b32 s4, vcc_lo, s4
	s_and_not1_b32 exec_lo, exec_lo, s4
	s_cbranch_execnz .LBB118_31
.LBB118_34:
	s_nop 0
	s_sendmsg sendmsg(MSG_DEALLOC_VGPRS)
	s_endpgm
	.section	.rodata,"a",@progbits
	.p2align	6, 0x0
	.amdhsa_kernel _ZN9rocsolver6v33100L20larft_kernel_forwardI19rocblas_complex_numIdEPS3_EEv15rocblas_storev_iiT0_iilPT_lS8_il
		.amdhsa_group_segment_fixed_size 0
		.amdhsa_private_segment_fixed_size 0
		.amdhsa_kernarg_size 336
		.amdhsa_user_sgpr_count 14
		.amdhsa_user_sgpr_dispatch_ptr 0
		.amdhsa_user_sgpr_queue_ptr 0
		.amdhsa_user_sgpr_kernarg_segment_ptr 1
		.amdhsa_user_sgpr_dispatch_id 0
		.amdhsa_user_sgpr_private_segment_size 0
		.amdhsa_wavefront_size32 1
		.amdhsa_uses_dynamic_stack 0
		.amdhsa_enable_private_segment 0
		.amdhsa_system_sgpr_workgroup_id_x 1
		.amdhsa_system_sgpr_workgroup_id_y 1
		.amdhsa_system_sgpr_workgroup_id_z 0
		.amdhsa_system_sgpr_workgroup_info 0
		.amdhsa_system_vgpr_workitem_id 0
		.amdhsa_next_free_vgpr 27
		.amdhsa_next_free_sgpr 48
		.amdhsa_reserve_vcc 1
		.amdhsa_float_round_mode_32 0
		.amdhsa_float_round_mode_16_64 0
		.amdhsa_float_denorm_mode_32 3
		.amdhsa_float_denorm_mode_16_64 3
		.amdhsa_dx10_clamp 1
		.amdhsa_ieee_mode 1
		.amdhsa_fp16_overflow 0
		.amdhsa_workgroup_processor_mode 1
		.amdhsa_memory_ordered 1
		.amdhsa_forward_progress 0
		.amdhsa_shared_vgpr_count 0
		.amdhsa_exception_fp_ieee_invalid_op 0
		.amdhsa_exception_fp_denorm_src 0
		.amdhsa_exception_fp_ieee_div_zero 0
		.amdhsa_exception_fp_ieee_overflow 0
		.amdhsa_exception_fp_ieee_underflow 0
		.amdhsa_exception_fp_ieee_inexact 0
		.amdhsa_exception_int_div_zero 0
	.end_amdhsa_kernel
	.section	.text._ZN9rocsolver6v33100L20larft_kernel_forwardI19rocblas_complex_numIdEPS3_EEv15rocblas_storev_iiT0_iilPT_lS8_il,"axG",@progbits,_ZN9rocsolver6v33100L20larft_kernel_forwardI19rocblas_complex_numIdEPS3_EEv15rocblas_storev_iiT0_iilPT_lS8_il,comdat
.Lfunc_end118:
	.size	_ZN9rocsolver6v33100L20larft_kernel_forwardI19rocblas_complex_numIdEPS3_EEv15rocblas_storev_iiT0_iilPT_lS8_il, .Lfunc_end118-_ZN9rocsolver6v33100L20larft_kernel_forwardI19rocblas_complex_numIdEPS3_EEv15rocblas_storev_iiT0_iilPT_lS8_il
                                        ; -- End function
	.section	.AMDGPU.csdata,"",@progbits
; Kernel info:
; codeLenInByte = 1928
; NumSgprs: 50
; NumVgprs: 27
; ScratchSize: 0
; MemoryBound: 0
; FloatMode: 240
; IeeeMode: 1
; LDSByteSize: 0 bytes/workgroup (compile time only)
; SGPRBlocks: 6
; VGPRBlocks: 3
; NumSGPRsForWavesPerEU: 50
; NumVGPRsForWavesPerEU: 27
; Occupancy: 16
; WaveLimiterHint : 0
; COMPUTE_PGM_RSRC2:SCRATCH_EN: 0
; COMPUTE_PGM_RSRC2:USER_SGPR: 14
; COMPUTE_PGM_RSRC2:TRAP_HANDLER: 0
; COMPUTE_PGM_RSRC2:TGID_X_EN: 1
; COMPUTE_PGM_RSRC2:TGID_Y_EN: 1
; COMPUTE_PGM_RSRC2:TGID_Z_EN: 0
; COMPUTE_PGM_RSRC2:TIDIG_COMP_CNT: 0
	.section	.text._ZN9rocsolver6v33100L21larft_kernel_backwardI19rocblas_complex_numIdEPS3_EEv15rocblas_storev_iiT0_iilPT_lS8_il,"axG",@progbits,_ZN9rocsolver6v33100L21larft_kernel_backwardI19rocblas_complex_numIdEPS3_EEv15rocblas_storev_iiT0_iilPT_lS8_il,comdat
	.globl	_ZN9rocsolver6v33100L21larft_kernel_backwardI19rocblas_complex_numIdEPS3_EEv15rocblas_storev_iiT0_iilPT_lS8_il ; -- Begin function _ZN9rocsolver6v33100L21larft_kernel_backwardI19rocblas_complex_numIdEPS3_EEv15rocblas_storev_iiT0_iilPT_lS8_il
	.p2align	8
	.type	_ZN9rocsolver6v33100L21larft_kernel_backwardI19rocblas_complex_numIdEPS3_EEv15rocblas_storev_iiT0_iilPT_lS8_il,@function
_ZN9rocsolver6v33100L21larft_kernel_backwardI19rocblas_complex_numIdEPS3_EEv15rocblas_storev_iiT0_iilPT_lS8_il: ; @_ZN9rocsolver6v33100L21larft_kernel_backwardI19rocblas_complex_numIdEPS3_EEv15rocblas_storev_iiT0_iilPT_lS8_il
; %bb.0:
	s_clause 0x4
	s_load_b64 s[20:21], s[0:1], 0x48
	s_load_b128 s[16:19], s[0:1], 0x0
	s_load_b32 s13, s[0:1], 0x5c
	s_load_b256 s[4:11], s[0:1], 0x20
	s_load_b32 s3, s[0:1], 0x40
	s_ashr_i32 s12, s15, 31
	v_add_nc_u32_e32 v10, 1, v0
	v_lshlrev_b32_e32 v11, 4, v0
	s_waitcnt lgkmcnt(0)
	s_mul_i32 s2, s15, s21
	s_mul_hi_u32 s14, s15, s20
	s_mul_i32 s19, s12, s20
	s_add_i32 s2, s14, s2
	s_mul_i32 s20, s15, s20
	s_add_i32 s21, s2, s19
	v_cmp_gt_i32_e64 s2, s18, v0
	s_lshl_b64 s[20:21], s[20:21], 4
	s_and_b32 s19, s13, 0xffff
	s_add_u32 s24, s10, s20
	s_addc_u32 s25, s11, s21
	s_and_saveexec_b32 s10, s2
	s_cbranch_execz .LBB119_5
; %bb.1:
	s_lshl_b32 s11, s18, 4
	v_add_nc_u32_e32 v3, 1, v0
	v_add3_u32 v4, 0, s11, v11
	v_mov_b32_e32 v5, v0
	s_mov_b32 s13, 0
	s_lshl_b32 s14, s19, 4
	.p2align	6
.LBB119_2:                              ; =>This Loop Header: Depth=1
                                        ;     Child Loop BB119_3 Depth 2
	s_delay_alu instid0(VALU_DEP_1)
	v_dual_mov_b32 v1, v5 :: v_dual_mov_b32 v6, v4
	s_mov_b32 s20, 0
	s_mov_b32 s21, 0
	.p2align	6
.LBB119_3:                              ;   Parent Loop BB119_2 Depth=1
                                        ; =>  This Inner Loop Header: Depth=2
	s_delay_alu instid0(VALU_DEP_1) | instskip(SKIP_1) | instid1(VALU_DEP_1)
	v_ashrrev_i32_e32 v2, 31, v1
	s_add_i32 s21, s21, 1
	v_lshlrev_b64 v[7:8], 4, v[1:2]
	v_add_nc_u32_e32 v1, s3, v1
	s_delay_alu instid0(VALU_DEP_2) | instskip(NEXT) | instid1(VALU_DEP_3)
	v_add_co_u32 v7, vcc_lo, s24, v7
	v_add_co_ci_u32_e32 v8, vcc_lo, s25, v8, vcc_lo
	v_cmp_eq_u32_e32 vcc_lo, s21, v3
	global_load_b128 v[12:15], v[7:8], off
	s_or_b32 s20, vcc_lo, s20
	s_waitcnt vmcnt(0)
	ds_store_2addr_b64 v6, v[12:13], v[14:15] offset1:1
	v_add_nc_u32_e32 v6, s11, v6
	s_and_not1_b32 exec_lo, exec_lo, s20
	s_cbranch_execnz .LBB119_3
; %bb.4:                                ;   in Loop: Header=BB119_2 Depth=1
	s_or_b32 exec_lo, exec_lo, s20
	v_add_nc_u32_e32 v5, s19, v5
	v_add_nc_u32_e32 v3, s19, v3
	v_add_nc_u32_e32 v4, s14, v4
	s_delay_alu instid0(VALU_DEP_3) | instskip(SKIP_1) | instid1(SALU_CYCLE_1)
	v_cmp_le_i32_e32 vcc_lo, s18, v5
	s_or_b32 s13, vcc_lo, s13
	s_and_not1_b32 exec_lo, exec_lo, s13
	s_cbranch_execnz .LBB119_2
.LBB119_5:
	s_or_b32 exec_lo, exec_lo, s10
	s_cmp_lt_i32 s18, 2
	s_waitcnt lgkmcnt(0)
	s_barrier
	buffer_gl0_inv
	s_cbranch_scc1 .LBB119_29
; %bb.6:
	s_load_b128 s[20:23], s[0:1], 0x10
	s_mul_i32 s1, s15, s9
	s_mul_hi_u32 s9, s15, s8
	s_mul_i32 s10, s12, s8
	s_add_i32 s1, s9, s1
	s_mul_i32 s0, s15, s8
	s_add_i32 s1, s1, s10
	s_mul_i32 s10, s5, s15
	s_lshl_b64 s[0:1], s[0:1], 4
	s_mul_i32 s11, s4, s12
	s_mul_hi_u32 s9, s4, s15
	s_waitcnt lgkmcnt(0)
	s_ashr_i32 s5, s22, 31
	s_add_u32 s26, s6, s0
	s_addc_u32 s27, s7, s1
	s_lshl_b32 s28, s18, 4
	s_add_i32 s8, s18, -2
	s_sub_i32 s29, s17, s18
	s_add_i32 s30, s28, 0
	s_cmpk_lg_i32 s16, 0xb5
	s_mul_i32 s0, s4, s15
	s_cselect_b32 s31, -1, 0
	s_add_i32 s1, s9, s11
	s_mov_b32 s4, s22
	s_add_i32 s1, s1, s10
	s_lshl_b64 s[4:5], s[4:5], 4
	s_lshl_b64 s[0:1], s[0:1], 4
	s_mov_b32 s9, 0
	s_add_u32 s6, s0, s4
	s_addc_u32 s7, s1, s5
	s_lshl_b64 s[0:1], s[8:9], 4
	s_mov_b32 s4, s23
	s_add_u32 s5, s20, s0
	s_addc_u32 s10, s21, s1
	s_add_u32 s11, s5, s6
	s_addc_u32 s10, s10, s7
	s_ashr_i32 s5, s23, 31
	v_add_co_u32 v1, s11, s11, v11
	s_lshl_b32 s22, s19, 4
	v_add_co_ci_u32_e64 v2, null, s10, 0, s11
	s_lshl_b64 s[10:11], s[4:5], 4
	s_add_u32 s4, s6, s20
	s_addc_u32 s5, s7, s21
	s_add_u32 s20, s4, 8
	s_addc_u32 s21, s5, 0
	;; [unrolled: 2-line block ×3, first 2 shown]
	s_add_i32 s0, s28, 16
	v_mul_lo_u32 v12, v0, s23
	s_mul_i32 s0, s18, s0
	v_add_co_u32 v1, vcc_lo, v1, 16
	s_add_i32 s0, s0, 0
	v_add_co_ci_u32_e32 v2, vcc_lo, 0, v2, vcc_lo
	v_add3_u32 v13, s0, v11, -16
	s_add_i32 s1, s18, -1
	s_mul_i32 s12, s23, s8
	s_mul_i32 s14, s23, s1
	;; [unrolled: 1-line block ×3, first 2 shown]
	s_xor_b32 s36, s28, -16
	s_branch .LBB119_8
.LBB119_7:                              ;   in Loop: Header=BB119_8 Depth=1
	s_set_inst_prefetch_distance 0x2
	s_or_b32 exec_lo, exec_lo, s0
	v_add_co_u32 v1, vcc_lo, v1, -16
	s_add_i32 s0, s8, -1
	v_add_co_ci_u32_e32 v2, vcc_lo, -1, v2, vcc_lo
	v_add_nc_u32_e32 v13, s36, v13
	s_add_u32 s33, s33, -16
	s_addc_u32 s34, s34, -1
	s_sub_i32 s12, s12, s23
	s_sub_i32 s14, s14, s23
	s_cmp_lt_i32 s8, 1
	s_mov_b32 s8, s0
	s_waitcnt lgkmcnt(0)
	s_barrier
	buffer_gl0_inv
	s_cbranch_scc1 .LBB119_29
.LBB119_8:                              ; =>This Loop Header: Depth=1
                                        ;     Child Loop BB119_12 Depth 2
                                        ;       Child Loop BB119_14 Depth 3
                                        ;     Child Loop BB119_20 Depth 2
                                        ;       Child Loop BB119_22 Depth 3
	;; [unrolled: 2-line block ×3, first 2 shown]
	s_not_b32 s37, s8
	s_lshl_b32 s0, s8, 4
	s_mul_i32 s1, s8, s18
	s_add_i32 s37, s37, s18
	s_add_i32 s38, s30, s0
	s_lshl_b32 s0, s1, 4
	s_add_i32 s39, s8, s29
	s_add_i32 s38, s38, s0
	v_cmp_gt_i32_e64 s0, s37, v0
	s_and_b32 vcc_lo, exec_lo, s31
	s_mov_b32 s1, -1
	s_cbranch_vccz .LBB119_16
; %bb.9:                                ;   in Loop: Header=BB119_8 Depth=1
	s_delay_alu instid0(VALU_DEP_1)
	s_and_saveexec_b32 s13, s0
	s_cbranch_execz .LBB119_15
; %bb.10:                               ;   in Loop: Header=BB119_8 Depth=1
	s_cmp_gt_i32 s39, 0
	v_dual_mov_b32 v4, v2 :: v_dual_mov_b32 v3, v1
	s_cselect_b32 s15, -1, 0
	s_lshl_b64 s[0:1], s[8:9], 4
	v_mov_b32_e32 v9, v0
	s_add_u32 s0, s26, s0
	s_addc_u32 s1, s27, s1
	s_mov_b32 s16, 0
	s_load_b128 s[4:7], s[0:1], 0x0
	s_add_i32 s17, s38, 16
	s_branch .LBB119_12
.LBB119_11:                             ;   in Loop: Header=BB119_12 Depth=2
	s_waitcnt lgkmcnt(0)
	s_delay_alu instid0(VALU_DEP_1) | instskip(NEXT) | instid1(VALU_DEP_2)
	v_mul_f64 v[14:15], v[5:6], s[6:7]
	v_mul_f64 v[16:17], v[7:8], s[6:7]
	v_lshlrev_b32_e32 v18, 4, v9
	v_add_nc_u32_e32 v9, s19, v9
	v_add_co_u32 v3, s0, v3, s22
	s_delay_alu instid0(VALU_DEP_1) | instskip(NEXT) | instid1(VALU_DEP_3)
	v_add_co_ci_u32_e64 v4, s0, 0, v4, s0
	v_cmp_le_i32_e32 vcc_lo, s37, v9
	s_or_b32 s16, vcc_lo, s16
	v_fma_f64 v[14:15], v[7:8], s[4:5], -v[14:15]
	v_fma_f64 v[16:17], v[5:6], s[4:5], v[16:17]
	v_add_nc_u32_e32 v5, s17, v18
	ds_load_2addr_b64 v[5:8], v5 offset1:1
	s_waitcnt lgkmcnt(0)
	v_add_f64 v[5:6], v[5:6], v[14:15]
	v_add_f64 v[7:8], v[16:17], v[7:8]
	v_add_nc_u32_e32 v14, 0, v18
	ds_store_2addr_b64 v14, v[5:6], v[7:8] offset1:1
	s_and_not1_b32 exec_lo, exec_lo, s16
	s_cbranch_execz .LBB119_15
.LBB119_12:                             ;   Parent Loop BB119_8 Depth=1
                                        ; =>  This Loop Header: Depth=2
                                        ;       Child Loop BB119_14 Depth 3
	v_mov_b32_e32 v5, 0
	v_mov_b32_e32 v6, 0
	s_and_not1_b32 vcc_lo, exec_lo, s15
	s_delay_alu instid0(VALU_DEP_1)
	v_dual_mov_b32 v8, v6 :: v_dual_mov_b32 v7, v5
	s_cbranch_vccnz .LBB119_11
; %bb.13:                               ;   in Loop: Header=BB119_12 Depth=2
	v_mov_b32_e32 v5, 0
	v_mov_b32_e32 v6, 0
	s_mov_b64 s[0:1], 0
	s_mov_b32 s40, 0
	s_delay_alu instid0(VALU_DEP_1)
	v_dual_mov_b32 v8, v6 :: v_dual_mov_b32 v7, v5
	.p2align	6
.LBB119_14:                             ;   Parent Loop BB119_8 Depth=1
                                        ;     Parent Loop BB119_12 Depth=2
                                        ; =>    This Inner Loop Header: Depth=3
	v_add_co_u32 v14, vcc_lo, v3, s0
	v_add_co_ci_u32_e32 v15, vcc_lo, s1, v4, vcc_lo
	s_add_u32 s41, s33, s0
	s_addc_u32 s43, s34, s1
	s_add_u32 s42, s41, -8
	global_load_b128 v[14:17], v[14:15], off
	s_addc_u32 s43, s43, -1
	s_add_i32 s40, s40, 1
	s_load_b128 s[44:47], s[42:43], 0x0
	s_add_u32 s0, s0, s10
	s_addc_u32 s1, s1, s11
	s_cmp_ge_i32 s40, s39
	s_waitcnt vmcnt(0) lgkmcnt(0)
	v_mul_f64 v[18:19], s[46:47], v[16:17]
	v_mul_f64 v[20:21], s[46:47], v[14:15]
	s_delay_alu instid0(VALU_DEP_2) | instskip(NEXT) | instid1(VALU_DEP_2)
	v_fma_f64 v[14:15], s[44:45], v[14:15], v[18:19]
	v_fma_f64 v[16:17], s[44:45], v[16:17], -v[20:21]
	s_delay_alu instid0(VALU_DEP_2) | instskip(NEXT) | instid1(VALU_DEP_2)
	v_add_f64 v[7:8], v[7:8], v[14:15]
	v_add_f64 v[5:6], v[5:6], v[16:17]
	s_cbranch_scc0 .LBB119_14
	s_branch .LBB119_11
.LBB119_15:                             ;   in Loop: Header=BB119_8 Depth=1
	s_or_b32 exec_lo, exec_lo, s13
	s_mov_b32 s1, 0
.LBB119_16:                             ;   in Loop: Header=BB119_8 Depth=1
	s_delay_alu instid0(SALU_CYCLE_1)
	s_and_not1_b32 vcc_lo, exec_lo, s1
	s_cbranch_vccnz .LBB119_24
; %bb.17:                               ;   in Loop: Header=BB119_8 Depth=1
	s_mov_b32 s40, exec_lo
	v_cmpx_gt_i32_e64 s37, v0
	s_cbranch_execz .LBB119_23
; %bb.18:                               ;   in Loop: Header=BB119_8 Depth=1
	s_ashr_i32 s13, s12, 31
	v_mov_b32_e32 v3, v12
	s_lshl_b64 s[0:1], s[12:13], 4
	v_mov_b32_e32 v14, v0
	s_add_u32 s0, s20, s0
	s_addc_u32 s1, s21, s1
	s_ashr_i32 s15, s14, 31
	s_delay_alu instid0(SALU_CYCLE_1) | instskip(SKIP_4) | instid1(SALU_CYCLE_1)
	s_lshl_b64 s[16:17], s[14:15], 4
	s_cmp_gt_i32 s39, 0
	s_mov_b32 s15, 0
	s_cselect_b32 s13, -1, 0
	s_lshl_b64 s[4:5], s[8:9], 4
	s_add_u32 s4, s26, s4
	s_addc_u32 s5, s27, s5
	s_add_i32 s41, s38, 16
	s_load_b128 s[4:7], s[4:5], 0x0
	s_add_u32 s42, s20, s16
	s_addc_u32 s43, s21, s17
	s_branch .LBB119_20
.LBB119_19:                             ;   in Loop: Header=BB119_20 Depth=2
	s_waitcnt lgkmcnt(0)
	s_delay_alu instid0(VALU_DEP_1) | instskip(NEXT) | instid1(VALU_DEP_2)
	v_mul_f64 v[8:9], v[4:5], s[6:7]
	v_mul_f64 v[15:16], v[6:7], s[6:7]
	v_lshlrev_b32_e32 v17, 4, v14
	v_add_nc_u32_e32 v14, s19, v14
	v_add_nc_u32_e32 v3, s35, v3
	s_delay_alu instid0(VALU_DEP_2)
	v_cmp_le_i32_e32 vcc_lo, s37, v14
	s_or_b32 s15, vcc_lo, s15
	v_fma_f64 v[8:9], v[6:7], s[4:5], -v[8:9]
	v_fma_f64 v[15:16], v[4:5], s[4:5], v[15:16]
	v_add_nc_u32_e32 v4, s41, v17
	ds_load_2addr_b64 v[4:7], v4 offset1:1
	s_waitcnt lgkmcnt(0)
	v_add_f64 v[4:5], v[4:5], v[8:9]
	v_add_f64 v[6:7], v[15:16], v[6:7]
	v_add_nc_u32_e32 v8, 0, v17
	ds_store_2addr_b64 v8, v[4:5], v[6:7] offset1:1
	s_and_not1_b32 exec_lo, exec_lo, s15
	s_cbranch_execz .LBB119_23
.LBB119_20:                             ;   Parent Loop BB119_8 Depth=1
                                        ; =>  This Loop Header: Depth=2
                                        ;       Child Loop BB119_22 Depth 3
	v_mov_b32_e32 v4, 0
	v_mov_b32_e32 v5, 0
	s_and_not1_b32 vcc_lo, exec_lo, s13
	s_delay_alu instid0(VALU_DEP_1)
	v_dual_mov_b32 v7, v5 :: v_dual_mov_b32 v6, v4
	s_cbranch_vccnz .LBB119_19
; %bb.21:                               ;   in Loop: Header=BB119_20 Depth=2
	v_ashrrev_i32_e32 v4, 31, v3
	s_mov_b32 s44, 0
	s_mov_b64 s[16:17], s[0:1]
	s_delay_alu instid0(VALU_DEP_1) | instskip(SKIP_2) | instid1(VALU_DEP_3)
	v_lshlrev_b64 v[6:7], 4, v[3:4]
	v_mov_b32_e32 v4, 0
	v_mov_b32_e32 v5, 0
	v_add_co_u32 v8, vcc_lo, s42, v6
	s_delay_alu instid0(VALU_DEP_4) | instskip(NEXT) | instid1(VALU_DEP_3)
	v_add_co_ci_u32_e32 v9, vcc_lo, s43, v7, vcc_lo
	v_dual_mov_b32 v7, v5 :: v_dual_mov_b32 v6, v4
	.p2align	6
.LBB119_22:                             ;   Parent Loop BB119_8 Depth=1
                                        ;     Parent Loop BB119_20 Depth=2
                                        ; =>    This Inner Loop Header: Depth=3
	global_load_b128 v[15:18], v[8:9], off offset:-8
	s_add_u32 s46, s16, -8
	s_addc_u32 s47, s17, -1
	v_add_co_u32 v8, vcc_lo, v8, 16
	s_load_b128 s[48:51], s[46:47], 0x0
	v_add_co_ci_u32_e32 v9, vcc_lo, 0, v9, vcc_lo
	s_add_i32 s44, s44, 1
	s_add_u32 s16, s16, 16
	s_addc_u32 s17, s17, 0
	s_cmp_ge_i32 s44, s39
	s_waitcnt vmcnt(0) lgkmcnt(0)
	v_mul_f64 v[19:20], v[17:18], s[50:51]
	v_mul_f64 v[17:18], v[17:18], s[48:49]
	s_delay_alu instid0(VALU_DEP_2) | instskip(NEXT) | instid1(VALU_DEP_2)
	v_fma_f64 v[19:20], v[15:16], s[48:49], v[19:20]
	v_fma_f64 v[15:16], v[15:16], s[50:51], -v[17:18]
	s_delay_alu instid0(VALU_DEP_2) | instskip(NEXT) | instid1(VALU_DEP_2)
	v_add_f64 v[6:7], v[6:7], v[19:20]
	v_add_f64 v[4:5], v[4:5], v[15:16]
	s_cbranch_scc0 .LBB119_22
	s_branch .LBB119_19
.LBB119_23:                             ;   in Loop: Header=BB119_8 Depth=1
	s_or_b32 exec_lo, exec_lo, s40
.LBB119_24:                             ;   in Loop: Header=BB119_8 Depth=1
	s_delay_alu instid0(SALU_CYCLE_1)
	s_mov_b32 s0, exec_lo
	s_waitcnt lgkmcnt(0)
	s_barrier
	buffer_gl0_inv
	v_cmpx_gt_i32_e64 s37, v0
	s_cbranch_execz .LBB119_7
; %bb.25:                               ;   in Loop: Header=BB119_8 Depth=1
	v_dual_mov_b32 v7, v13 :: v_dual_mov_b32 v8, v0
	s_add_i32 s38, s38, 16
	s_mov_b32 s1, 0
	s_set_inst_prefetch_distance 0x1
	.p2align	6
.LBB119_26:                             ;   Parent Loop BB119_8 Depth=1
                                        ; =>  This Loop Header: Depth=2
                                        ;       Child Loop BB119_27 Depth 3
	v_mov_b32_e32 v3, 0
	v_dual_mov_b32 v4, 0 :: v_dual_mov_b32 v9, v7
	s_mov_b32 s5, -1
	s_mov_b32 s4, 0
	s_mov_b32 s6, 0
	s_delay_alu instid0(VALU_DEP_1)
	v_dual_mov_b32 v6, v4 :: v_dual_mov_b32 v5, v3
	.p2align	6
.LBB119_27:                             ;   Parent Loop BB119_8 Depth=1
                                        ;     Parent Loop BB119_26 Depth=2
                                        ; =>    This Inner Loop Header: Depth=3
	v_mov_b32_e32 v18, s6
	s_add_i32 s5, s5, 1
	s_add_i32 s6, s6, 16
	v_cmp_eq_u32_e32 vcc_lo, s5, v8
	ds_load_2addr_b64 v[14:17], v9 offset1:1
	ds_load_2addr_b64 v[18:21], v18 offset1:1
	v_add_nc_u32_e32 v9, s28, v9
	s_or_b32 s4, vcc_lo, s4
	s_waitcnt lgkmcnt(0)
	v_mul_f64 v[22:23], v[20:21], v[16:17]
	v_mul_f64 v[16:17], v[18:19], v[16:17]
	s_delay_alu instid0(VALU_DEP_2) | instskip(NEXT) | instid1(VALU_DEP_2)
	v_fma_f64 v[18:19], v[18:19], v[14:15], -v[22:23]
	v_fma_f64 v[14:15], v[20:21], v[14:15], v[16:17]
	s_delay_alu instid0(VALU_DEP_2) | instskip(NEXT) | instid1(VALU_DEP_2)
	v_add_f64 v[3:4], v[3:4], v[18:19]
	v_add_f64 v[5:6], v[5:6], v[14:15]
	s_and_not1_b32 exec_lo, exec_lo, s4
	s_cbranch_execnz .LBB119_27
; %bb.28:                               ;   in Loop: Header=BB119_26 Depth=2
	s_or_b32 exec_lo, exec_lo, s4
	v_lshl_add_u32 v9, v8, 4, s38
	v_add_nc_u32_e32 v8, s19, v8
	v_add_nc_u32_e32 v7, s22, v7
	ds_store_2addr_b64 v9, v[3:4], v[5:6] offset1:1
	v_cmp_le_i32_e32 vcc_lo, s37, v8
	s_or_b32 s1, vcc_lo, s1
	s_delay_alu instid0(SALU_CYCLE_1)
	s_and_not1_b32 exec_lo, exec_lo, s1
	s_cbranch_execnz .LBB119_26
	s_branch .LBB119_7
.LBB119_29:
	s_and_saveexec_b32 s0, s2
	s_cbranch_execz .LBB119_34
; %bb.30:
	s_lshl_b32 s1, s18, 4
	s_mov_b32 s2, 0
	v_add3_u32 v3, 0, s1, v11
	s_lshl_b32 s4, s19, 4
	.p2align	6
.LBB119_31:                             ; =>This Loop Header: Depth=1
                                        ;     Child Loop BB119_32 Depth 2
	s_delay_alu instid0(VALU_DEP_1)
	v_dual_mov_b32 v4, v3 :: v_dual_mov_b32 v1, v0
	s_mov_b32 s5, 0
	s_mov_b32 s6, 0
	.p2align	6
.LBB119_32:                             ;   Parent Loop BB119_31 Depth=1
                                        ; =>  This Inner Loop Header: Depth=2
	ds_load_2addr_b64 v[5:8], v4 offset1:1
	v_ashrrev_i32_e32 v2, 31, v1
	s_add_i32 s6, s6, 1
	v_add_nc_u32_e32 v4, s1, v4
	v_cmp_eq_u32_e32 vcc_lo, s6, v10
	s_delay_alu instid0(VALU_DEP_3) | instskip(SKIP_2) | instid1(VALU_DEP_2)
	v_lshlrev_b64 v[11:12], 4, v[1:2]
	v_add_nc_u32_e32 v1, s3, v1
	s_or_b32 s5, vcc_lo, s5
	v_add_co_u32 v11, s0, s24, v11
	s_delay_alu instid0(VALU_DEP_1)
	v_add_co_ci_u32_e64 v12, s0, s25, v12, s0
	s_waitcnt lgkmcnt(0)
	global_store_b128 v[11:12], v[5:8], off
	s_and_not1_b32 exec_lo, exec_lo, s5
	s_cbranch_execnz .LBB119_32
; %bb.33:                               ;   in Loop: Header=BB119_31 Depth=1
	s_or_b32 exec_lo, exec_lo, s5
	v_add_nc_u32_e32 v0, s19, v0
	v_add_nc_u32_e32 v10, s19, v10
	;; [unrolled: 1-line block ×3, first 2 shown]
	s_delay_alu instid0(VALU_DEP_3) | instskip(SKIP_1) | instid1(SALU_CYCLE_1)
	v_cmp_le_i32_e32 vcc_lo, s18, v0
	s_or_b32 s2, vcc_lo, s2
	s_and_not1_b32 exec_lo, exec_lo, s2
	s_cbranch_execnz .LBB119_31
.LBB119_34:
	s_nop 0
	s_sendmsg sendmsg(MSG_DEALLOC_VGPRS)
	s_endpgm
	.section	.rodata,"a",@progbits
	.p2align	6, 0x0
	.amdhsa_kernel _ZN9rocsolver6v33100L21larft_kernel_backwardI19rocblas_complex_numIdEPS3_EEv15rocblas_storev_iiT0_iilPT_lS8_il
		.amdhsa_group_segment_fixed_size 0
		.amdhsa_private_segment_fixed_size 0
		.amdhsa_kernarg_size 336
		.amdhsa_user_sgpr_count 14
		.amdhsa_user_sgpr_dispatch_ptr 0
		.amdhsa_user_sgpr_queue_ptr 0
		.amdhsa_user_sgpr_kernarg_segment_ptr 1
		.amdhsa_user_sgpr_dispatch_id 0
		.amdhsa_user_sgpr_private_segment_size 0
		.amdhsa_wavefront_size32 1
		.amdhsa_uses_dynamic_stack 0
		.amdhsa_enable_private_segment 0
		.amdhsa_system_sgpr_workgroup_id_x 1
		.amdhsa_system_sgpr_workgroup_id_y 1
		.amdhsa_system_sgpr_workgroup_id_z 0
		.amdhsa_system_sgpr_workgroup_info 0
		.amdhsa_system_vgpr_workitem_id 0
		.amdhsa_next_free_vgpr 24
		.amdhsa_next_free_sgpr 52
		.amdhsa_reserve_vcc 1
		.amdhsa_float_round_mode_32 0
		.amdhsa_float_round_mode_16_64 0
		.amdhsa_float_denorm_mode_32 3
		.amdhsa_float_denorm_mode_16_64 3
		.amdhsa_dx10_clamp 1
		.amdhsa_ieee_mode 1
		.amdhsa_fp16_overflow 0
		.amdhsa_workgroup_processor_mode 1
		.amdhsa_memory_ordered 1
		.amdhsa_forward_progress 0
		.amdhsa_shared_vgpr_count 0
		.amdhsa_exception_fp_ieee_invalid_op 0
		.amdhsa_exception_fp_denorm_src 0
		.amdhsa_exception_fp_ieee_div_zero 0
		.amdhsa_exception_fp_ieee_overflow 0
		.amdhsa_exception_fp_ieee_underflow 0
		.amdhsa_exception_fp_ieee_inexact 0
		.amdhsa_exception_int_div_zero 0
	.end_amdhsa_kernel
	.section	.text._ZN9rocsolver6v33100L21larft_kernel_backwardI19rocblas_complex_numIdEPS3_EEv15rocblas_storev_iiT0_iilPT_lS8_il,"axG",@progbits,_ZN9rocsolver6v33100L21larft_kernel_backwardI19rocblas_complex_numIdEPS3_EEv15rocblas_storev_iiT0_iilPT_lS8_il,comdat
.Lfunc_end119:
	.size	_ZN9rocsolver6v33100L21larft_kernel_backwardI19rocblas_complex_numIdEPS3_EEv15rocblas_storev_iiT0_iilPT_lS8_il, .Lfunc_end119-_ZN9rocsolver6v33100L21larft_kernel_backwardI19rocblas_complex_numIdEPS3_EEv15rocblas_storev_iiT0_iilPT_lS8_il
                                        ; -- End function
	.section	.AMDGPU.csdata,"",@progbits
; Kernel info:
; codeLenInByte = 1952
; NumSgprs: 54
; NumVgprs: 24
; ScratchSize: 0
; MemoryBound: 0
; FloatMode: 240
; IeeeMode: 1
; LDSByteSize: 0 bytes/workgroup (compile time only)
; SGPRBlocks: 6
; VGPRBlocks: 2
; NumSGPRsForWavesPerEU: 54
; NumVGPRsForWavesPerEU: 24
; Occupancy: 16
; WaveLimiterHint : 0
; COMPUTE_PGM_RSRC2:SCRATCH_EN: 0
; COMPUTE_PGM_RSRC2:USER_SGPR: 14
; COMPUTE_PGM_RSRC2:TRAP_HANDLER: 0
; COMPUTE_PGM_RSRC2:TGID_X_EN: 1
; COMPUTE_PGM_RSRC2:TGID_Y_EN: 1
; COMPUTE_PGM_RSRC2:TGID_Z_EN: 0
; COMPUTE_PGM_RSRC2:TIDIG_COMP_CNT: 0
	.section	.text._ZN9rocsolver6v33100L9copymatA1I19rocblas_complex_numIdEPS3_EEviiT0_iilPT_,"axG",@progbits,_ZN9rocsolver6v33100L9copymatA1I19rocblas_complex_numIdEPS3_EEviiT0_iilPT_,comdat
	.globl	_ZN9rocsolver6v33100L9copymatA1I19rocblas_complex_numIdEPS3_EEviiT0_iilPT_ ; -- Begin function _ZN9rocsolver6v33100L9copymatA1I19rocblas_complex_numIdEPS3_EEviiT0_iilPT_
	.p2align	8
	.type	_ZN9rocsolver6v33100L9copymatA1I19rocblas_complex_numIdEPS3_EEviiT0_iilPT_,@function
_ZN9rocsolver6v33100L9copymatA1I19rocblas_complex_numIdEPS3_EEviiT0_iilPT_: ; @_ZN9rocsolver6v33100L9copymatA1I19rocblas_complex_numIdEPS3_EEviiT0_iilPT_
; %bb.0:
	s_clause 0x1
	s_load_b32 s2, s[0:1], 0x34
	s_load_b64 s[8:9], s[0:1], 0x0
	v_bfe_u32 v2, v0, 10, 10
	v_and_b32_e32 v3, 0x3ff, v0
	s_waitcnt lgkmcnt(0)
	s_lshr_b32 s3, s2, 16
	s_and_b32 s2, s2, 0xffff
	s_delay_alu instid0(VALU_DEP_1) | instskip(SKIP_1) | instid1(VALU_DEP_2)
	v_mad_u64_u32 v[0:1], null, s14, s3, v[2:3]
	v_mad_u64_u32 v[1:2], null, s13, s2, v[3:4]
	v_cmp_gt_u32_e32 vcc_lo, s8, v0
	s_delay_alu instid0(VALU_DEP_2) | instskip(NEXT) | instid1(VALU_DEP_1)
	v_cmp_gt_u32_e64 s2, s9, v1
	s_and_b32 s2, s2, vcc_lo
	s_delay_alu instid0(SALU_CYCLE_1)
	s_and_saveexec_b32 s3, s2
	s_cbranch_execz .LBB120_2
; %bb.1:
	s_load_b256 s[0:7], s[0:1], 0x8
	s_ashr_i32 s10, s8, 31
	s_ashr_i32 s11, s9, 31
	s_mul_hi_u32 s12, s8, s15
	s_mul_i32 s13, s8, s15
	s_mul_i32 s10, s10, s15
	s_mul_i32 s11, s13, s11
	s_mul_hi_u32 s14, s13, s9
	s_add_i32 s10, s12, s10
	s_add_i32 s11, s14, s11
	s_mul_i32 s12, s10, s9
	s_mul_i32 s10, s13, s9
	s_add_i32 s11, s11, s12
	v_mad_u64_u32 v[7:8], null, v1, s8, v[0:1]
	s_lshl_b64 s[10:11], s[10:11], 4
	s_waitcnt lgkmcnt(0)
	v_mad_u64_u32 v[5:6], null, v1, s3, v[0:1]
	s_add_u32 s9, s6, s10
	s_mul_i32 s5, s15, s5
	s_mul_hi_u32 s10, s15, s4
	v_mov_b32_e32 v6, 0
	s_mul_i32 s4, s15, s4
	s_addc_u32 s3, s7, s11
	s_add_i32 s5, s10, s5
	s_mov_b32 s6, s2
	s_lshl_b64 s[4:5], s[4:5], 4
	s_ashr_i32 s7, s2, 31
	v_lshlrev_b64 v[2:3], 4, v[5:6]
	s_add_u32 s2, s0, s4
	s_addc_u32 s4, s1, s5
	s_lshl_b64 s[0:1], s[6:7], 4
	v_mov_b32_e32 v8, v6
	s_add_u32 s0, s2, s0
	s_addc_u32 s1, s4, s1
	v_add_co_u32 v2, vcc_lo, s0, v2
	v_add_co_ci_u32_e32 v3, vcc_lo, s1, v3, vcc_lo
	v_lshlrev_b64 v[0:1], 4, v[7:8]
	global_load_b128 v[2:5], v[2:3], off
	v_add_co_u32 v0, vcc_lo, s9, v0
	v_add_co_ci_u32_e32 v1, vcc_lo, s3, v1, vcc_lo
	s_waitcnt vmcnt(0)
	global_store_b128 v[0:1], v[2:5], off
.LBB120_2:
	s_nop 0
	s_sendmsg sendmsg(MSG_DEALLOC_VGPRS)
	s_endpgm
	.section	.rodata,"a",@progbits
	.p2align	6, 0x0
	.amdhsa_kernel _ZN9rocsolver6v33100L9copymatA1I19rocblas_complex_numIdEPS3_EEviiT0_iilPT_
		.amdhsa_group_segment_fixed_size 0
		.amdhsa_private_segment_fixed_size 0
		.amdhsa_kernarg_size 296
		.amdhsa_user_sgpr_count 13
		.amdhsa_user_sgpr_dispatch_ptr 0
		.amdhsa_user_sgpr_queue_ptr 0
		.amdhsa_user_sgpr_kernarg_segment_ptr 1
		.amdhsa_user_sgpr_dispatch_id 0
		.amdhsa_user_sgpr_private_segment_size 0
		.amdhsa_wavefront_size32 1
		.amdhsa_uses_dynamic_stack 0
		.amdhsa_enable_private_segment 0
		.amdhsa_system_sgpr_workgroup_id_x 1
		.amdhsa_system_sgpr_workgroup_id_y 1
		.amdhsa_system_sgpr_workgroup_id_z 1
		.amdhsa_system_sgpr_workgroup_info 0
		.amdhsa_system_vgpr_workitem_id 1
		.amdhsa_next_free_vgpr 9
		.amdhsa_next_free_sgpr 16
		.amdhsa_reserve_vcc 1
		.amdhsa_float_round_mode_32 0
		.amdhsa_float_round_mode_16_64 0
		.amdhsa_float_denorm_mode_32 3
		.amdhsa_float_denorm_mode_16_64 3
		.amdhsa_dx10_clamp 1
		.amdhsa_ieee_mode 1
		.amdhsa_fp16_overflow 0
		.amdhsa_workgroup_processor_mode 1
		.amdhsa_memory_ordered 1
		.amdhsa_forward_progress 0
		.amdhsa_shared_vgpr_count 0
		.amdhsa_exception_fp_ieee_invalid_op 0
		.amdhsa_exception_fp_denorm_src 0
		.amdhsa_exception_fp_ieee_div_zero 0
		.amdhsa_exception_fp_ieee_overflow 0
		.amdhsa_exception_fp_ieee_underflow 0
		.amdhsa_exception_fp_ieee_inexact 0
		.amdhsa_exception_int_div_zero 0
	.end_amdhsa_kernel
	.section	.text._ZN9rocsolver6v33100L9copymatA1I19rocblas_complex_numIdEPS3_EEviiT0_iilPT_,"axG",@progbits,_ZN9rocsolver6v33100L9copymatA1I19rocblas_complex_numIdEPS3_EEviiT0_iilPT_,comdat
.Lfunc_end120:
	.size	_ZN9rocsolver6v33100L9copymatA1I19rocblas_complex_numIdEPS3_EEviiT0_iilPT_, .Lfunc_end120-_ZN9rocsolver6v33100L9copymatA1I19rocblas_complex_numIdEPS3_EEviiT0_iilPT_
                                        ; -- End function
	.section	.AMDGPU.csdata,"",@progbits
; Kernel info:
; codeLenInByte = 320
; NumSgprs: 18
; NumVgprs: 9
; ScratchSize: 0
; MemoryBound: 0
; FloatMode: 240
; IeeeMode: 1
; LDSByteSize: 0 bytes/workgroup (compile time only)
; SGPRBlocks: 2
; VGPRBlocks: 1
; NumSGPRsForWavesPerEU: 18
; NumVGPRsForWavesPerEU: 9
; Occupancy: 16
; WaveLimiterHint : 0
; COMPUTE_PGM_RSRC2:SCRATCH_EN: 0
; COMPUTE_PGM_RSRC2:USER_SGPR: 13
; COMPUTE_PGM_RSRC2:TRAP_HANDLER: 0
; COMPUTE_PGM_RSRC2:TGID_X_EN: 1
; COMPUTE_PGM_RSRC2:TGID_Y_EN: 1
; COMPUTE_PGM_RSRC2:TGID_Z_EN: 1
; COMPUTE_PGM_RSRC2:TIDIG_COMP_CNT: 1
	.section	.text._ZN9rocsolver6v33100L8addmatA1I19rocblas_complex_numIdEPS3_EEviiT0_iilPT_,"axG",@progbits,_ZN9rocsolver6v33100L8addmatA1I19rocblas_complex_numIdEPS3_EEviiT0_iilPT_,comdat
	.globl	_ZN9rocsolver6v33100L8addmatA1I19rocblas_complex_numIdEPS3_EEviiT0_iilPT_ ; -- Begin function _ZN9rocsolver6v33100L8addmatA1I19rocblas_complex_numIdEPS3_EEviiT0_iilPT_
	.p2align	8
	.type	_ZN9rocsolver6v33100L8addmatA1I19rocblas_complex_numIdEPS3_EEviiT0_iilPT_,@function
_ZN9rocsolver6v33100L8addmatA1I19rocblas_complex_numIdEPS3_EEviiT0_iilPT_: ; @_ZN9rocsolver6v33100L8addmatA1I19rocblas_complex_numIdEPS3_EEviiT0_iilPT_
; %bb.0:
	s_clause 0x1
	s_load_b32 s2, s[0:1], 0x34
	s_load_b64 s[8:9], s[0:1], 0x0
	v_bfe_u32 v2, v0, 10, 10
	v_and_b32_e32 v3, 0x3ff, v0
	s_waitcnt lgkmcnt(0)
	s_lshr_b32 s3, s2, 16
	s_and_b32 s2, s2, 0xffff
	s_delay_alu instid0(VALU_DEP_1) | instskip(SKIP_1) | instid1(VALU_DEP_2)
	v_mad_u64_u32 v[0:1], null, s14, s3, v[2:3]
	v_mad_u64_u32 v[1:2], null, s13, s2, v[3:4]
	v_cmp_gt_u32_e32 vcc_lo, s8, v0
	s_delay_alu instid0(VALU_DEP_2) | instskip(NEXT) | instid1(VALU_DEP_1)
	v_cmp_gt_u32_e64 s2, s9, v1
	s_and_b32 s2, s2, vcc_lo
	s_delay_alu instid0(SALU_CYCLE_1)
	s_and_saveexec_b32 s3, s2
	s_cbranch_execz .LBB121_2
; %bb.1:
	s_load_b256 s[0:7], s[0:1], 0x8
	s_ashr_i32 s10, s8, 31
	s_ashr_i32 s11, s9, 31
	s_mul_hi_u32 s12, s8, s15
	s_mul_i32 s13, s8, s15
	s_mul_i32 s10, s10, s15
	;; [unrolled: 1-line block ×3, first 2 shown]
	s_mul_hi_u32 s14, s13, s9
	s_add_i32 s10, s12, s10
	s_add_i32 s11, s14, s11
	s_mul_i32 s12, s10, s9
	v_mad_u64_u32 v[2:3], null, v1, s8, v[0:1]
	v_mov_b32_e32 v3, 0
	s_mul_i32 s10, s13, s9
	s_add_i32 s11, s11, s12
	s_delay_alu instid0(SALU_CYCLE_1)
	s_lshl_b64 s[8:9], s[10:11], 4
	s_waitcnt lgkmcnt(0)
	v_mad_u64_u32 v[4:5], null, v1, s3, v[0:1]
	s_add_u32 s8, s6, s8
	s_mul_i32 s5, s15, s5
	s_mul_hi_u32 s6, s15, s4
	v_mov_b32_e32 v5, v3
	s_mul_i32 s4, s15, s4
	s_addc_u32 s9, s7, s9
	s_add_i32 s5, s6, s5
	v_lshlrev_b64 v[0:1], 4, v[2:3]
	s_lshl_b64 s[4:5], s[4:5], 4
	s_mov_b32 s6, s2
	s_ashr_i32 s7, s2, 31
	v_lshlrev_b64 v[2:3], 4, v[4:5]
	s_add_u32 s2, s0, s4
	s_addc_u32 s3, s1, s5
	s_lshl_b64 s[0:1], s[6:7], 4
	v_add_co_u32 v0, vcc_lo, s8, v0
	s_add_u32 s0, s2, s0
	v_add_co_ci_u32_e32 v1, vcc_lo, s9, v1, vcc_lo
	s_addc_u32 s1, s3, s1
	v_add_co_u32 v8, vcc_lo, s0, v2
	v_add_co_ci_u32_e32 v9, vcc_lo, s1, v3, vcc_lo
	global_load_b128 v[0:3], v[0:1], off
	global_load_b128 v[4:7], v[8:9], off
	s_waitcnt vmcnt(0)
	v_add_f64 v[0:1], v[4:5], -v[0:1]
	v_add_f64 v[2:3], v[6:7], -v[2:3]
	global_store_b128 v[8:9], v[0:3], off
.LBB121_2:
	s_nop 0
	s_sendmsg sendmsg(MSG_DEALLOC_VGPRS)
	s_endpgm
	.section	.rodata,"a",@progbits
	.p2align	6, 0x0
	.amdhsa_kernel _ZN9rocsolver6v33100L8addmatA1I19rocblas_complex_numIdEPS3_EEviiT0_iilPT_
		.amdhsa_group_segment_fixed_size 0
		.amdhsa_private_segment_fixed_size 0
		.amdhsa_kernarg_size 296
		.amdhsa_user_sgpr_count 13
		.amdhsa_user_sgpr_dispatch_ptr 0
		.amdhsa_user_sgpr_queue_ptr 0
		.amdhsa_user_sgpr_kernarg_segment_ptr 1
		.amdhsa_user_sgpr_dispatch_id 0
		.amdhsa_user_sgpr_private_segment_size 0
		.amdhsa_wavefront_size32 1
		.amdhsa_uses_dynamic_stack 0
		.amdhsa_enable_private_segment 0
		.amdhsa_system_sgpr_workgroup_id_x 1
		.amdhsa_system_sgpr_workgroup_id_y 1
		.amdhsa_system_sgpr_workgroup_id_z 1
		.amdhsa_system_sgpr_workgroup_info 0
		.amdhsa_system_vgpr_workitem_id 1
		.amdhsa_next_free_vgpr 10
		.amdhsa_next_free_sgpr 16
		.amdhsa_reserve_vcc 1
		.amdhsa_float_round_mode_32 0
		.amdhsa_float_round_mode_16_64 0
		.amdhsa_float_denorm_mode_32 3
		.amdhsa_float_denorm_mode_16_64 3
		.amdhsa_dx10_clamp 1
		.amdhsa_ieee_mode 1
		.amdhsa_fp16_overflow 0
		.amdhsa_workgroup_processor_mode 1
		.amdhsa_memory_ordered 1
		.amdhsa_forward_progress 0
		.amdhsa_shared_vgpr_count 0
		.amdhsa_exception_fp_ieee_invalid_op 0
		.amdhsa_exception_fp_denorm_src 0
		.amdhsa_exception_fp_ieee_div_zero 0
		.amdhsa_exception_fp_ieee_overflow 0
		.amdhsa_exception_fp_ieee_underflow 0
		.amdhsa_exception_fp_ieee_inexact 0
		.amdhsa_exception_int_div_zero 0
	.end_amdhsa_kernel
	.section	.text._ZN9rocsolver6v33100L8addmatA1I19rocblas_complex_numIdEPS3_EEviiT0_iilPT_,"axG",@progbits,_ZN9rocsolver6v33100L8addmatA1I19rocblas_complex_numIdEPS3_EEviiT0_iilPT_,comdat
.Lfunc_end121:
	.size	_ZN9rocsolver6v33100L8addmatA1I19rocblas_complex_numIdEPS3_EEviiT0_iilPT_, .Lfunc_end121-_ZN9rocsolver6v33100L8addmatA1I19rocblas_complex_numIdEPS3_EEviiT0_iilPT_
                                        ; -- End function
	.section	.AMDGPU.csdata,"",@progbits
; Kernel info:
; codeLenInByte = 348
; NumSgprs: 18
; NumVgprs: 10
; ScratchSize: 0
; MemoryBound: 0
; FloatMode: 240
; IeeeMode: 1
; LDSByteSize: 0 bytes/workgroup (compile time only)
; SGPRBlocks: 2
; VGPRBlocks: 1
; NumSGPRsForWavesPerEU: 18
; NumVGPRsForWavesPerEU: 10
; Occupancy: 16
; WaveLimiterHint : 0
; COMPUTE_PGM_RSRC2:SCRATCH_EN: 0
; COMPUTE_PGM_RSRC2:USER_SGPR: 13
; COMPUTE_PGM_RSRC2:TRAP_HANDLER: 0
; COMPUTE_PGM_RSRC2:TGID_X_EN: 1
; COMPUTE_PGM_RSRC2:TGID_Y_EN: 1
; COMPUTE_PGM_RSRC2:TGID_Z_EN: 1
; COMPUTE_PGM_RSRC2:TIDIG_COMP_CNT: 1
	.section	.text._ZN9rocsolver6v33100L8set_diagI19rocblas_complex_numIdEiS3_PS3_TnNSt9enable_ifIXoont18rocblas_is_complexIT_E18rocblas_is_complexIT1_EEiE4typeELi0EEEvPS7_llT2_lT0_lSC_b,"axG",@progbits,_ZN9rocsolver6v33100L8set_diagI19rocblas_complex_numIdEiS3_PS3_TnNSt9enable_ifIXoont18rocblas_is_complexIT_E18rocblas_is_complexIT1_EEiE4typeELi0EEEvPS7_llT2_lT0_lSC_b,comdat
	.globl	_ZN9rocsolver6v33100L8set_diagI19rocblas_complex_numIdEiS3_PS3_TnNSt9enable_ifIXoont18rocblas_is_complexIT_E18rocblas_is_complexIT1_EEiE4typeELi0EEEvPS7_llT2_lT0_lSC_b ; -- Begin function _ZN9rocsolver6v33100L8set_diagI19rocblas_complex_numIdEiS3_PS3_TnNSt9enable_ifIXoont18rocblas_is_complexIT_E18rocblas_is_complexIT1_EEiE4typeELi0EEEvPS7_llT2_lT0_lSC_b
	.p2align	8
	.type	_ZN9rocsolver6v33100L8set_diagI19rocblas_complex_numIdEiS3_PS3_TnNSt9enable_ifIXoont18rocblas_is_complexIT_E18rocblas_is_complexIT1_EEiE4typeELi0EEEvPS7_llT2_lT0_lSC_b,@function
_ZN9rocsolver6v33100L8set_diagI19rocblas_complex_numIdEiS3_PS3_TnNSt9enable_ifIXoont18rocblas_is_complexIT_E18rocblas_is_complexIT1_EEiE4typeELi0EEEvPS7_llT2_lT0_lSC_b: ; @_ZN9rocsolver6v33100L8set_diagI19rocblas_complex_numIdEiS3_PS3_TnNSt9enable_ifIXoont18rocblas_is_complexIT_E18rocblas_is_complexIT1_EEiE4typeELi0EEEvPS7_llT2_lT0_lSC_b
; %bb.0:
	s_clause 0x1
	s_load_b32 s4, s[0:1], 0x4c
	s_load_b64 s[2:3], s[0:1], 0x38
	v_bfe_u32 v2, v0, 10, 10
	s_waitcnt lgkmcnt(0)
	s_lshr_b32 s4, s4, 16
	s_delay_alu instid0(VALU_DEP_1) | instid1(SALU_CYCLE_1)
	v_mad_u64_u32 v[0:1], null, s15, s4, v[2:3]
	s_delay_alu instid0(VALU_DEP_1)
	v_cmp_gt_i32_e32 vcc_lo, s2, v0
	s_and_saveexec_b32 s2, vcc_lo
	s_cbranch_execz .LBB122_5
; %bb.1:
	s_clause 0x3
	s_load_b32 s2, s[0:1], 0x28
	s_load_b64 s[12:13], s[0:1], 0x30
	s_load_b256 s[4:11], s[0:1], 0x0
	s_load_b64 s[0:1], s[0:1], 0x20
	s_bitcmp1_b32 s3, 0
	s_cselect_b32 s15, -1, 0
	s_ashr_i32 s16, s14, 31
	s_waitcnt lgkmcnt(0)
	v_mad_u64_u32 v[1:2], null, v0, s2, v[0:1]
	s_mul_i32 s2, s14, s13
	s_mul_hi_u32 s3, s14, s12
	s_mul_i32 s13, s16, s12
	s_add_i32 s3, s3, s2
	s_mul_i32 s2, s14, s12
	s_add_i32 s3, s3, s13
	s_delay_alu instid0(VALU_DEP_1)
	v_ashrrev_i32_e32 v2, 31, v1
	s_lshl_b64 s[2:3], s[2:3], 4
	s_mul_i32 s16, s16, s8
	s_add_u32 s2, s10, s2
	s_addc_u32 s3, s11, s3
	v_lshlrev_b64 v[1:2], 4, v[1:2]
	s_lshl_b64 s[0:1], s[0:1], 4
	s_delay_alu instid0(SALU_CYCLE_1) | instskip(SKIP_1) | instid1(VALU_DEP_1)
	s_add_u32 s0, s2, s0
	s_addc_u32 s1, s3, s1
	v_add_co_u32 v4, vcc_lo, s0, v1
	s_delay_alu instid0(VALU_DEP_2)
	v_add_co_ci_u32_e32 v5, vcc_lo, s1, v2, vcc_lo
	s_mul_i32 s0, s14, s9
	s_mul_hi_u32 s1, s14, s8
	v_ashrrev_i32_e32 v1, 31, v0
	global_load_b128 v[6:9], v[4:5], off
	s_add_i32 s1, s1, s0
	s_mul_i32 s0, s14, s8
	s_add_i32 s1, s1, s16
	v_lshlrev_b64 v[0:1], 4, v[0:1]
	s_lshl_b64 s[0:1], s[0:1], 4
	s_delay_alu instid0(SALU_CYCLE_1) | instskip(SKIP_2) | instid1(SALU_CYCLE_1)
	s_add_u32 s2, s4, s0
	s_addc_u32 s3, s5, s1
	s_lshl_b64 s[0:1], s[6:7], 4
	s_add_u32 s0, s2, s0
	s_addc_u32 s1, s3, s1
	v_add_co_u32 v0, vcc_lo, s0, v0
	v_add_co_ci_u32_e32 v1, vcc_lo, s1, v1, vcc_lo
	s_and_b32 vcc_lo, exec_lo, s15
	s_waitcnt vmcnt(0)
	global_store_b128 v[0:1], v[6:9], off
	s_cbranch_vccnz .LBB122_3
; %bb.2:
	global_load_b128 v[0:3], v[4:5], off
	s_branch .LBB122_4
.LBB122_3:
	v_mov_b32_e32 v2, 0
	v_dual_mov_b32 v3, 0 :: v_dual_mov_b32 v0, 0
	v_mov_b32_e32 v1, 0x3ff00000
.LBB122_4:
	s_waitcnt vmcnt(0)
	global_store_b128 v[4:5], v[0:3], off
.LBB122_5:
	s_nop 0
	s_sendmsg sendmsg(MSG_DEALLOC_VGPRS)
	s_endpgm
	.section	.rodata,"a",@progbits
	.p2align	6, 0x0
	.amdhsa_kernel _ZN9rocsolver6v33100L8set_diagI19rocblas_complex_numIdEiS3_PS3_TnNSt9enable_ifIXoont18rocblas_is_complexIT_E18rocblas_is_complexIT1_EEiE4typeELi0EEEvPS7_llT2_lT0_lSC_b
		.amdhsa_group_segment_fixed_size 0
		.amdhsa_private_segment_fixed_size 0
		.amdhsa_kernarg_size 320
		.amdhsa_user_sgpr_count 14
		.amdhsa_user_sgpr_dispatch_ptr 0
		.amdhsa_user_sgpr_queue_ptr 0
		.amdhsa_user_sgpr_kernarg_segment_ptr 1
		.amdhsa_user_sgpr_dispatch_id 0
		.amdhsa_user_sgpr_private_segment_size 0
		.amdhsa_wavefront_size32 1
		.amdhsa_uses_dynamic_stack 0
		.amdhsa_enable_private_segment 0
		.amdhsa_system_sgpr_workgroup_id_x 1
		.amdhsa_system_sgpr_workgroup_id_y 1
		.amdhsa_system_sgpr_workgroup_id_z 0
		.amdhsa_system_sgpr_workgroup_info 0
		.amdhsa_system_vgpr_workitem_id 1
		.amdhsa_next_free_vgpr 10
		.amdhsa_next_free_sgpr 17
		.amdhsa_reserve_vcc 1
		.amdhsa_float_round_mode_32 0
		.amdhsa_float_round_mode_16_64 0
		.amdhsa_float_denorm_mode_32 3
		.amdhsa_float_denorm_mode_16_64 3
		.amdhsa_dx10_clamp 1
		.amdhsa_ieee_mode 1
		.amdhsa_fp16_overflow 0
		.amdhsa_workgroup_processor_mode 1
		.amdhsa_memory_ordered 1
		.amdhsa_forward_progress 0
		.amdhsa_shared_vgpr_count 0
		.amdhsa_exception_fp_ieee_invalid_op 0
		.amdhsa_exception_fp_denorm_src 0
		.amdhsa_exception_fp_ieee_div_zero 0
		.amdhsa_exception_fp_ieee_overflow 0
		.amdhsa_exception_fp_ieee_underflow 0
		.amdhsa_exception_fp_ieee_inexact 0
		.amdhsa_exception_int_div_zero 0
	.end_amdhsa_kernel
	.section	.text._ZN9rocsolver6v33100L8set_diagI19rocblas_complex_numIdEiS3_PS3_TnNSt9enable_ifIXoont18rocblas_is_complexIT_E18rocblas_is_complexIT1_EEiE4typeELi0EEEvPS7_llT2_lT0_lSC_b,"axG",@progbits,_ZN9rocsolver6v33100L8set_diagI19rocblas_complex_numIdEiS3_PS3_TnNSt9enable_ifIXoont18rocblas_is_complexIT_E18rocblas_is_complexIT1_EEiE4typeELi0EEEvPS7_llT2_lT0_lSC_b,comdat
.Lfunc_end122:
	.size	_ZN9rocsolver6v33100L8set_diagI19rocblas_complex_numIdEiS3_PS3_TnNSt9enable_ifIXoont18rocblas_is_complexIT_E18rocblas_is_complexIT1_EEiE4typeELi0EEEvPS7_llT2_lT0_lSC_b, .Lfunc_end122-_ZN9rocsolver6v33100L8set_diagI19rocblas_complex_numIdEiS3_PS3_TnNSt9enable_ifIXoont18rocblas_is_complexIT_E18rocblas_is_complexIT1_EEiE4typeELi0EEEvPS7_llT2_lT0_lSC_b
                                        ; -- End function
	.section	.AMDGPU.csdata,"",@progbits
; Kernel info:
; codeLenInByte = 368
; NumSgprs: 19
; NumVgprs: 10
; ScratchSize: 0
; MemoryBound: 1
; FloatMode: 240
; IeeeMode: 1
; LDSByteSize: 0 bytes/workgroup (compile time only)
; SGPRBlocks: 2
; VGPRBlocks: 1
; NumSGPRsForWavesPerEU: 19
; NumVGPRsForWavesPerEU: 10
; Occupancy: 16
; WaveLimiterHint : 0
; COMPUTE_PGM_RSRC2:SCRATCH_EN: 0
; COMPUTE_PGM_RSRC2:USER_SGPR: 14
; COMPUTE_PGM_RSRC2:TRAP_HANDLER: 0
; COMPUTE_PGM_RSRC2:TGID_X_EN: 1
; COMPUTE_PGM_RSRC2:TGID_Y_EN: 1
; COMPUTE_PGM_RSRC2:TGID_Z_EN: 0
; COMPUTE_PGM_RSRC2:TIDIG_COMP_CNT: 1
	.section	.text._ZN9rocsolver6v33100L12restore_diagI19rocblas_complex_numIdEiS3_PS3_EEvPT1_llT2_lT0_lS8_,"axG",@progbits,_ZN9rocsolver6v33100L12restore_diagI19rocblas_complex_numIdEiS3_PS3_EEvPT1_llT2_lT0_lS8_,comdat
	.globl	_ZN9rocsolver6v33100L12restore_diagI19rocblas_complex_numIdEiS3_PS3_EEvPT1_llT2_lT0_lS8_ ; -- Begin function _ZN9rocsolver6v33100L12restore_diagI19rocblas_complex_numIdEiS3_PS3_EEvPT1_llT2_lT0_lS8_
	.p2align	8
	.type	_ZN9rocsolver6v33100L12restore_diagI19rocblas_complex_numIdEiS3_PS3_EEvPT1_llT2_lT0_lS8_,@function
_ZN9rocsolver6v33100L12restore_diagI19rocblas_complex_numIdEiS3_PS3_EEvPT1_llT2_lT0_lS8_: ; @_ZN9rocsolver6v33100L12restore_diagI19rocblas_complex_numIdEiS3_PS3_EEvPT1_llT2_lT0_lS8_
; %bb.0:
	s_clause 0x1
	s_load_b32 s2, s[0:1], 0x4c
	s_load_b32 s3, s[0:1], 0x38
	v_bfe_u32 v2, v0, 10, 10
	s_waitcnt lgkmcnt(0)
	s_lshr_b32 s2, s2, 16
	s_delay_alu instid0(VALU_DEP_1) | instid1(SALU_CYCLE_1)
	v_mad_u64_u32 v[0:1], null, s15, s2, v[2:3]
	s_mov_b32 s2, exec_lo
	s_delay_alu instid0(VALU_DEP_1)
	v_cmpx_gt_i32_e64 s3, v0
	s_cbranch_execz .LBB123_2
; %bb.1:
	s_clause 0x3
	s_load_b64 s[2:3], s[0:1], 0x30
	s_load_b256 s[4:11], s[0:1], 0x0
	s_load_b32 s12, s[0:1], 0x28
	s_load_b64 s[0:1], s[0:1], 0x20
	s_ashr_i32 s13, s14, 31
	s_waitcnt lgkmcnt(0)
	s_mul_i32 s3, s14, s3
	s_mul_hi_u32 s15, s14, s2
	s_mul_i32 s16, s13, s2
	s_add_i32 s3, s15, s3
	s_mul_i32 s2, s14, s2
	s_add_i32 s3, s3, s16
	s_mul_i32 s9, s14, s9
	s_lshl_b64 s[2:3], s[2:3], 4
	s_mul_hi_u32 s15, s14, s8
	s_add_u32 s2, s10, s2
	s_addc_u32 s3, s11, s3
	s_lshl_b64 s[0:1], s[0:1], 4
	s_mul_i32 s13, s13, s8
	s_add_u32 s2, s2, s0
	v_mad_u64_u32 v[4:5], null, v0, s12, v[0:1]
	v_ashrrev_i32_e32 v1, 31, v0
	s_addc_u32 s3, s3, s1
	s_add_i32 s1, s15, s9
	s_mul_i32 s0, s14, s8
	s_add_i32 s1, s1, s13
	v_lshlrev_b64 v[0:1], 4, v[0:1]
	s_lshl_b64 s[0:1], s[0:1], 4
	v_ashrrev_i32_e32 v5, 31, v4
	s_add_u32 s4, s4, s0
	s_addc_u32 s5, s5, s1
	s_lshl_b64 s[0:1], s[6:7], 4
	s_delay_alu instid0(SALU_CYCLE_1)
	s_add_u32 s0, s4, s0
	s_addc_u32 s1, s5, s1
	v_add_co_u32 v0, vcc_lo, s0, v0
	v_add_co_ci_u32_e32 v1, vcc_lo, s1, v1, vcc_lo
	v_lshlrev_b64 v[4:5], 4, v[4:5]
	global_load_b128 v[0:3], v[0:1], off
	v_add_co_u32 v4, vcc_lo, s2, v4
	v_add_co_ci_u32_e32 v5, vcc_lo, s3, v5, vcc_lo
	s_waitcnt vmcnt(0)
	global_store_b128 v[4:5], v[0:3], off
.LBB123_2:
	s_nop 0
	s_sendmsg sendmsg(MSG_DEALLOC_VGPRS)
	s_endpgm
	.section	.rodata,"a",@progbits
	.p2align	6, 0x0
	.amdhsa_kernel _ZN9rocsolver6v33100L12restore_diagI19rocblas_complex_numIdEiS3_PS3_EEvPT1_llT2_lT0_lS8_
		.amdhsa_group_segment_fixed_size 0
		.amdhsa_private_segment_fixed_size 0
		.amdhsa_kernarg_size 320
		.amdhsa_user_sgpr_count 14
		.amdhsa_user_sgpr_dispatch_ptr 0
		.amdhsa_user_sgpr_queue_ptr 0
		.amdhsa_user_sgpr_kernarg_segment_ptr 1
		.amdhsa_user_sgpr_dispatch_id 0
		.amdhsa_user_sgpr_private_segment_size 0
		.amdhsa_wavefront_size32 1
		.amdhsa_uses_dynamic_stack 0
		.amdhsa_enable_private_segment 0
		.amdhsa_system_sgpr_workgroup_id_x 1
		.amdhsa_system_sgpr_workgroup_id_y 1
		.amdhsa_system_sgpr_workgroup_id_z 0
		.amdhsa_system_sgpr_workgroup_info 0
		.amdhsa_system_vgpr_workitem_id 1
		.amdhsa_next_free_vgpr 6
		.amdhsa_next_free_sgpr 17
		.amdhsa_reserve_vcc 1
		.amdhsa_float_round_mode_32 0
		.amdhsa_float_round_mode_16_64 0
		.amdhsa_float_denorm_mode_32 3
		.amdhsa_float_denorm_mode_16_64 3
		.amdhsa_dx10_clamp 1
		.amdhsa_ieee_mode 1
		.amdhsa_fp16_overflow 0
		.amdhsa_workgroup_processor_mode 1
		.amdhsa_memory_ordered 1
		.amdhsa_forward_progress 0
		.amdhsa_shared_vgpr_count 0
		.amdhsa_exception_fp_ieee_invalid_op 0
		.amdhsa_exception_fp_denorm_src 0
		.amdhsa_exception_fp_ieee_div_zero 0
		.amdhsa_exception_fp_ieee_overflow 0
		.amdhsa_exception_fp_ieee_underflow 0
		.amdhsa_exception_fp_ieee_inexact 0
		.amdhsa_exception_int_div_zero 0
	.end_amdhsa_kernel
	.section	.text._ZN9rocsolver6v33100L12restore_diagI19rocblas_complex_numIdEiS3_PS3_EEvPT1_llT2_lT0_lS8_,"axG",@progbits,_ZN9rocsolver6v33100L12restore_diagI19rocblas_complex_numIdEiS3_PS3_EEvPT1_llT2_lT0_lS8_,comdat
.Lfunc_end123:
	.size	_ZN9rocsolver6v33100L12restore_diagI19rocblas_complex_numIdEiS3_PS3_EEvPT1_llT2_lT0_lS8_, .Lfunc_end123-_ZN9rocsolver6v33100L12restore_diagI19rocblas_complex_numIdEiS3_PS3_EEvPT1_llT2_lT0_lS8_
                                        ; -- End function
	.section	.AMDGPU.csdata,"",@progbits
; Kernel info:
; codeLenInByte = 300
; NumSgprs: 19
; NumVgprs: 6
; ScratchSize: 0
; MemoryBound: 0
; FloatMode: 240
; IeeeMode: 1
; LDSByteSize: 0 bytes/workgroup (compile time only)
; SGPRBlocks: 2
; VGPRBlocks: 0
; NumSGPRsForWavesPerEU: 19
; NumVGPRsForWavesPerEU: 6
; Occupancy: 16
; WaveLimiterHint : 0
; COMPUTE_PGM_RSRC2:SCRATCH_EN: 0
; COMPUTE_PGM_RSRC2:USER_SGPR: 14
; COMPUTE_PGM_RSRC2:TRAP_HANDLER: 0
; COMPUTE_PGM_RSRC2:TGID_X_EN: 1
; COMPUTE_PGM_RSRC2:TGID_Y_EN: 1
; COMPUTE_PGM_RSRC2:TGID_Z_EN: 0
; COMPUTE_PGM_RSRC2:TIDIG_COMP_CNT: 1
	.section	.text._ZN9rocsolver6v33100L8set_zeroI19rocblas_complex_numIdEPS3_EEviiT0_iil13rocblas_fill_,"axG",@progbits,_ZN9rocsolver6v33100L8set_zeroI19rocblas_complex_numIdEPS3_EEviiT0_iil13rocblas_fill_,comdat
	.globl	_ZN9rocsolver6v33100L8set_zeroI19rocblas_complex_numIdEPS3_EEviiT0_iil13rocblas_fill_ ; -- Begin function _ZN9rocsolver6v33100L8set_zeroI19rocblas_complex_numIdEPS3_EEviiT0_iil13rocblas_fill_
	.p2align	8
	.type	_ZN9rocsolver6v33100L8set_zeroI19rocblas_complex_numIdEPS3_EEviiT0_iil13rocblas_fill_,@function
_ZN9rocsolver6v33100L8set_zeroI19rocblas_complex_numIdEPS3_EEviiT0_iil13rocblas_fill_: ; @_ZN9rocsolver6v33100L8set_zeroI19rocblas_complex_numIdEPS3_EEviiT0_iil13rocblas_fill_
; %bb.0:
	s_clause 0x1
	s_load_b32 s4, s[0:1], 0x34
	s_load_b64 s[2:3], s[0:1], 0x0
	v_and_b32_e32 v2, 0x3ff, v0
	v_bfe_u32 v3, v0, 10, 10
	s_waitcnt lgkmcnt(0)
	s_lshr_b32 s5, s4, 16
	s_and_b32 s4, s4, 0xffff
	s_delay_alu instid0(VALU_DEP_1) | instid1(SALU_CYCLE_1)
	v_mad_u64_u32 v[0:1], null, s13, s4, v[2:3]
	v_mad_u64_u32 v[1:2], null, s14, s5, v[3:4]
	s_delay_alu instid0(VALU_DEP_2) | instskip(NEXT) | instid1(VALU_DEP_2)
	v_cmp_gt_u32_e32 vcc_lo, s2, v0
	v_cmp_gt_u32_e64 s2, s3, v1
	s_delay_alu instid0(VALU_DEP_1) | instskip(NEXT) | instid1(SALU_CYCLE_1)
	s_and_b32 s2, vcc_lo, s2
	s_and_saveexec_b32 s3, s2
	s_cbranch_execz .LBB124_12
; %bb.1:
	s_load_b32 s3, s[0:1], 0x20
	s_waitcnt lgkmcnt(0)
	s_cmpk_lt_i32 s3, 0x7a
	s_cbranch_scc1 .LBB124_4
; %bb.2:
	s_cmpk_gt_i32 s3, 0x7a
	s_cbranch_scc0 .LBB124_5
; %bb.3:
	s_cmpk_eq_i32 s3, 0x7b
	s_cselect_b32 s2, -1, 0
	s_cbranch_execz .LBB124_6
	s_branch .LBB124_7
.LBB124_4:
	s_mov_b32 s2, 0
	s_cbranch_execnz .LBB124_8
	s_branch .LBB124_10
.LBB124_5:
	s_mov_b32 s2, 0
.LBB124_6:
	v_cmp_gt_u32_e32 vcc_lo, v1, v0
	s_and_not1_b32 s2, s2, exec_lo
	s_and_b32 s4, vcc_lo, exec_lo
	s_delay_alu instid0(SALU_CYCLE_1)
	s_or_b32 s2, s2, s4
.LBB124_7:
	s_branch .LBB124_10
.LBB124_8:
	s_cmpk_eq_i32 s3, 0x79
	s_cbranch_scc0 .LBB124_10
; %bb.9:
	v_cmp_gt_u32_e32 vcc_lo, v0, v1
	s_and_not1_b32 s2, s2, exec_lo
	s_and_b32 s3, vcc_lo, exec_lo
	s_delay_alu instid0(SALU_CYCLE_1)
	s_or_b32 s2, s2, s3
.LBB124_10:
	s_delay_alu instid0(SALU_CYCLE_1)
	s_and_b32 exec_lo, exec_lo, s2
	s_cbranch_execz .LBB124_12
; %bb.11:
	s_clause 0x1
	s_load_b64 s[4:5], s[0:1], 0x18
	s_load_b128 s[0:3], s[0:1], 0x8
	s_waitcnt lgkmcnt(0)
	s_mul_i32 s5, s15, s5
	v_mad_u64_u32 v[2:3], null, v1, s3, v[0:1]
	s_mul_hi_u32 s6, s15, s4
	v_mov_b32_e32 v3, 0
	s_mul_i32 s4, s15, s4
	s_add_i32 s5, s6, s5
	s_ashr_i32 s3, s2, 31
	s_lshl_b64 s[4:5], s[4:5], 4
	s_delay_alu instid0(VALU_DEP_2)
	v_lshlrev_b64 v[0:1], 4, v[2:3]
	s_add_u32 s4, s0, s4
	s_addc_u32 s5, s1, s5
	s_lshl_b64 s[0:1], s[2:3], 4
	v_mov_b32_e32 v4, v3
	s_add_u32 s0, s4, s0
	s_addc_u32 s1, s5, s1
	v_add_co_u32 v0, vcc_lo, s0, v0
	v_mov_b32_e32 v2, v3
	v_add_co_ci_u32_e32 v1, vcc_lo, s1, v1, vcc_lo
	v_mov_b32_e32 v5, v3
	global_store_b128 v[0:1], v[2:5], off
.LBB124_12:
	s_nop 0
	s_sendmsg sendmsg(MSG_DEALLOC_VGPRS)
	s_endpgm
	.section	.rodata,"a",@progbits
	.p2align	6, 0x0
	.amdhsa_kernel _ZN9rocsolver6v33100L8set_zeroI19rocblas_complex_numIdEPS3_EEviiT0_iil13rocblas_fill_
		.amdhsa_group_segment_fixed_size 0
		.amdhsa_private_segment_fixed_size 0
		.amdhsa_kernarg_size 296
		.amdhsa_user_sgpr_count 13
		.amdhsa_user_sgpr_dispatch_ptr 0
		.amdhsa_user_sgpr_queue_ptr 0
		.amdhsa_user_sgpr_kernarg_segment_ptr 1
		.amdhsa_user_sgpr_dispatch_id 0
		.amdhsa_user_sgpr_private_segment_size 0
		.amdhsa_wavefront_size32 1
		.amdhsa_uses_dynamic_stack 0
		.amdhsa_enable_private_segment 0
		.amdhsa_system_sgpr_workgroup_id_x 1
		.amdhsa_system_sgpr_workgroup_id_y 1
		.amdhsa_system_sgpr_workgroup_id_z 1
		.amdhsa_system_sgpr_workgroup_info 0
		.amdhsa_system_vgpr_workitem_id 1
		.amdhsa_next_free_vgpr 6
		.amdhsa_next_free_sgpr 16
		.amdhsa_reserve_vcc 1
		.amdhsa_float_round_mode_32 0
		.amdhsa_float_round_mode_16_64 0
		.amdhsa_float_denorm_mode_32 3
		.amdhsa_float_denorm_mode_16_64 3
		.amdhsa_dx10_clamp 1
		.amdhsa_ieee_mode 1
		.amdhsa_fp16_overflow 0
		.amdhsa_workgroup_processor_mode 1
		.amdhsa_memory_ordered 1
		.amdhsa_forward_progress 0
		.amdhsa_shared_vgpr_count 0
		.amdhsa_exception_fp_ieee_invalid_op 0
		.amdhsa_exception_fp_denorm_src 0
		.amdhsa_exception_fp_ieee_div_zero 0
		.amdhsa_exception_fp_ieee_overflow 0
		.amdhsa_exception_fp_ieee_underflow 0
		.amdhsa_exception_fp_ieee_inexact 0
		.amdhsa_exception_int_div_zero 0
	.end_amdhsa_kernel
	.section	.text._ZN9rocsolver6v33100L8set_zeroI19rocblas_complex_numIdEPS3_EEviiT0_iil13rocblas_fill_,"axG",@progbits,_ZN9rocsolver6v33100L8set_zeroI19rocblas_complex_numIdEPS3_EEviiT0_iil13rocblas_fill_,comdat
.Lfunc_end124:
	.size	_ZN9rocsolver6v33100L8set_zeroI19rocblas_complex_numIdEPS3_EEviiT0_iil13rocblas_fill_, .Lfunc_end124-_ZN9rocsolver6v33100L8set_zeroI19rocblas_complex_numIdEPS3_EEviiT0_iil13rocblas_fill_
                                        ; -- End function
	.section	.AMDGPU.csdata,"",@progbits
; Kernel info:
; codeLenInByte = 364
; NumSgprs: 18
; NumVgprs: 6
; ScratchSize: 0
; MemoryBound: 0
; FloatMode: 240
; IeeeMode: 1
; LDSByteSize: 0 bytes/workgroup (compile time only)
; SGPRBlocks: 2
; VGPRBlocks: 0
; NumSGPRsForWavesPerEU: 18
; NumVGPRsForWavesPerEU: 6
; Occupancy: 16
; WaveLimiterHint : 0
; COMPUTE_PGM_RSRC2:SCRATCH_EN: 0
; COMPUTE_PGM_RSRC2:USER_SGPR: 13
; COMPUTE_PGM_RSRC2:TRAP_HANDLER: 0
; COMPUTE_PGM_RSRC2:TGID_X_EN: 1
; COMPUTE_PGM_RSRC2:TGID_Y_EN: 1
; COMPUTE_PGM_RSRC2:TGID_Z_EN: 1
; COMPUTE_PGM_RSRC2:TIDIG_COMP_CNT: 1
	.section	.text._ZN9rocsolver6v33100L16org2r_init_identI19rocblas_complex_numIdEPS3_EEviiiT0_iil,"axG",@progbits,_ZN9rocsolver6v33100L16org2r_init_identI19rocblas_complex_numIdEPS3_EEviiiT0_iil,comdat
	.globl	_ZN9rocsolver6v33100L16org2r_init_identI19rocblas_complex_numIdEPS3_EEviiiT0_iil ; -- Begin function _ZN9rocsolver6v33100L16org2r_init_identI19rocblas_complex_numIdEPS3_EEviiiT0_iil
	.p2align	8
	.type	_ZN9rocsolver6v33100L16org2r_init_identI19rocblas_complex_numIdEPS3_EEviiiT0_iil,@function
_ZN9rocsolver6v33100L16org2r_init_identI19rocblas_complex_numIdEPS3_EEviiiT0_iil: ; @_ZN9rocsolver6v33100L16org2r_init_identI19rocblas_complex_numIdEPS3_EEviiiT0_iil
; %bb.0:
	s_clause 0x1
	s_load_b32 s2, s[0:1], 0x34
	s_load_b128 s[4:7], s[0:1], 0x0
	v_and_b32_e32 v1, 0x3ff, v0
	v_bfe_u32 v0, v0, 10, 10
	s_waitcnt lgkmcnt(0)
	s_lshr_b32 s3, s2, 16
	s_and_b32 s2, s2, 0xffff
	s_delay_alu instid0(SALU_CYCLE_1) | instskip(SKIP_1) | instid1(VALU_DEP_2)
	v_mad_u64_u32 v[4:5], null, s13, s2, v[1:2]
	v_mad_u64_u32 v[2:3], null, s14, s3, v[0:1]
	v_cmp_gt_u32_e32 vcc_lo, s4, v4
	s_delay_alu instid0(VALU_DEP_2) | instskip(NEXT) | instid1(VALU_DEP_1)
	v_cmp_gt_u32_e64 s2, s5, v2
	s_and_b32 s2, vcc_lo, s2
	s_delay_alu instid0(SALU_CYCLE_1)
	s_and_saveexec_b32 s3, s2
	s_cbranch_execz .LBB125_5
; %bb.1:
	s_clause 0x1
	s_load_b64 s[4:5], s[0:1], 0x20
	s_load_b128 s[0:3], s[0:1], 0x10
                                        ; implicit-def: $vgpr0_vgpr1
	s_waitcnt lgkmcnt(0)
	s_mul_i32 s5, s15, s5
	s_mul_hi_u32 s7, s15, s4
	s_mul_i32 s4, s15, s4
	s_add_i32 s5, s7, s5
	s_ashr_i32 s9, s2, 31
	s_lshl_b64 s[4:5], s[4:5], 4
	s_mov_b32 s8, s2
	s_add_u32 s2, s0, s4
	s_addc_u32 s4, s1, s5
	s_lshl_b64 s[0:1], s[8:9], 4
	s_delay_alu instid0(SALU_CYCLE_1)
	s_add_u32 s0, s2, s0
	s_addc_u32 s1, s4, s1
	s_mov_b32 s4, 0
	s_mov_b32 s2, exec_lo
	v_cmpx_ne_u32_e64 v4, v2
	s_xor_b32 s2, exec_lo, s2
	s_cbranch_execnz .LBB125_6
; %bb.2:
	s_and_not1_saveexec_b32 s2, s2
	s_cbranch_execnz .LBB125_13
.LBB125_3:
	s_or_b32 exec_lo, exec_lo, s2
	s_delay_alu instid0(SALU_CYCLE_1)
	s_and_b32 exec_lo, exec_lo, s4
	s_cbranch_execz .LBB125_5
.LBB125_4:
	v_mov_b32_e32 v2, 0
	s_delay_alu instid0(VALU_DEP_1)
	v_mov_b32_e32 v3, v2
	global_store_b64 v[0:1], v[2:3], off
.LBB125_5:
	s_nop 0
	s_sendmsg sendmsg(MSG_DEALLOC_VGPRS)
	s_endpgm
.LBB125_6:
	s_mov_b32 s5, exec_lo
                                        ; implicit-def: $vgpr0_vgpr1
	v_cmpx_le_u32_e64 v2, v4
	s_xor_b32 s5, exec_lo, s5
	s_cbranch_execz .LBB125_10
; %bb.7:
	v_cmp_le_u32_e32 vcc_lo, s6, v2
                                        ; implicit-def: $vgpr0_vgpr1
	s_and_saveexec_b32 s6, vcc_lo
	s_delay_alu instid0(SALU_CYCLE_1)
	s_xor_b32 s6, exec_lo, s6
	s_cbranch_execz .LBB125_9
; %bb.8:
	v_mad_u64_u32 v[5:6], null, v2, s3, v[4:5]
	v_mov_b32_e32 v6, 0
	s_mov_b32 s4, exec_lo
	s_delay_alu instid0(VALU_DEP_1) | instskip(SKIP_1) | instid1(VALU_DEP_2)
	v_lshlrev_b64 v[0:1], 4, v[5:6]
	v_mov_b32_e32 v5, v6
	v_add_co_u32 v2, vcc_lo, s0, v0
	s_delay_alu instid0(VALU_DEP_3) | instskip(NEXT) | instid1(VALU_DEP_2)
	v_add_co_ci_u32_e32 v3, vcc_lo, s1, v1, vcc_lo
	v_add_co_u32 v0, vcc_lo, v2, 8
	s_delay_alu instid0(VALU_DEP_2)
	v_add_co_ci_u32_e32 v1, vcc_lo, 0, v3, vcc_lo
	global_store_b64 v[2:3], v[5:6], off
.LBB125_9:
	s_or_b32 exec_lo, exec_lo, s6
	s_delay_alu instid0(SALU_CYCLE_1)
	s_and_b32 s4, s4, exec_lo
                                        ; implicit-def: $vgpr4_vgpr5
                                        ; implicit-def: $vgpr2_vgpr3
.LBB125_10:
	s_and_not1_saveexec_b32 s5, s5
	s_cbranch_execz .LBB125_12
; %bb.11:
	v_mad_u64_u32 v[5:6], null, v2, s3, v[4:5]
	v_mov_b32_e32 v6, 0
	s_or_b32 s4, s4, exec_lo
	s_delay_alu instid0(VALU_DEP_1) | instskip(SKIP_1) | instid1(VALU_DEP_2)
	v_lshlrev_b64 v[0:1], 4, v[5:6]
	v_mov_b32_e32 v5, v6
	v_add_co_u32 v2, vcc_lo, s0, v0
	s_delay_alu instid0(VALU_DEP_3) | instskip(NEXT) | instid1(VALU_DEP_2)
	v_add_co_ci_u32_e32 v3, vcc_lo, s1, v1, vcc_lo
	v_add_co_u32 v0, vcc_lo, v2, 8
	s_delay_alu instid0(VALU_DEP_2)
	v_add_co_ci_u32_e32 v1, vcc_lo, 0, v3, vcc_lo
	global_store_b64 v[2:3], v[5:6], off
.LBB125_12:
	s_or_b32 exec_lo, exec_lo, s5
	s_delay_alu instid0(SALU_CYCLE_1)
	s_and_b32 s4, s4, exec_lo
                                        ; implicit-def: $vgpr2_vgpr3
	s_and_not1_saveexec_b32 s2, s2
	s_cbranch_execz .LBB125_3
.LBB125_13:
	v_mad_u64_u32 v[0:1], null, v2, s3, v[2:3]
	v_dual_mov_b32 v1, 0 :: v_dual_mov_b32 v4, 0x3ff00000
	s_or_b32 s4, s4, exec_lo
	s_delay_alu instid0(VALU_DEP_1) | instskip(NEXT) | instid1(VALU_DEP_1)
	v_lshlrev_b64 v[2:3], 4, v[0:1]
	v_add_co_u32 v5, vcc_lo, s0, v2
	s_delay_alu instid0(VALU_DEP_2) | instskip(SKIP_1) | instid1(VALU_DEP_3)
	v_add_co_ci_u32_e32 v6, vcc_lo, s1, v3, vcc_lo
	v_mov_b32_e32 v3, v1
	v_add_co_u32 v0, vcc_lo, v5, 8
	s_delay_alu instid0(VALU_DEP_3) | instskip(SKIP_2) | instid1(SALU_CYCLE_1)
	v_add_co_ci_u32_e32 v1, vcc_lo, 0, v6, vcc_lo
	global_store_b64 v[5:6], v[3:4], off
	s_or_b32 exec_lo, exec_lo, s2
	s_and_b32 exec_lo, exec_lo, s4
	s_cbranch_execnz .LBB125_4
	s_branch .LBB125_5
	.section	.rodata,"a",@progbits
	.p2align	6, 0x0
	.amdhsa_kernel _ZN9rocsolver6v33100L16org2r_init_identI19rocblas_complex_numIdEPS3_EEviiiT0_iil
		.amdhsa_group_segment_fixed_size 0
		.amdhsa_private_segment_fixed_size 0
		.amdhsa_kernarg_size 296
		.amdhsa_user_sgpr_count 13
		.amdhsa_user_sgpr_dispatch_ptr 0
		.amdhsa_user_sgpr_queue_ptr 0
		.amdhsa_user_sgpr_kernarg_segment_ptr 1
		.amdhsa_user_sgpr_dispatch_id 0
		.amdhsa_user_sgpr_private_segment_size 0
		.amdhsa_wavefront_size32 1
		.amdhsa_uses_dynamic_stack 0
		.amdhsa_enable_private_segment 0
		.amdhsa_system_sgpr_workgroup_id_x 1
		.amdhsa_system_sgpr_workgroup_id_y 1
		.amdhsa_system_sgpr_workgroup_id_z 1
		.amdhsa_system_sgpr_workgroup_info 0
		.amdhsa_system_vgpr_workitem_id 1
		.amdhsa_next_free_vgpr 7
		.amdhsa_next_free_sgpr 16
		.amdhsa_reserve_vcc 1
		.amdhsa_float_round_mode_32 0
		.amdhsa_float_round_mode_16_64 0
		.amdhsa_float_denorm_mode_32 3
		.amdhsa_float_denorm_mode_16_64 3
		.amdhsa_dx10_clamp 1
		.amdhsa_ieee_mode 1
		.amdhsa_fp16_overflow 0
		.amdhsa_workgroup_processor_mode 1
		.amdhsa_memory_ordered 1
		.amdhsa_forward_progress 0
		.amdhsa_shared_vgpr_count 0
		.amdhsa_exception_fp_ieee_invalid_op 0
		.amdhsa_exception_fp_denorm_src 0
		.amdhsa_exception_fp_ieee_div_zero 0
		.amdhsa_exception_fp_ieee_overflow 0
		.amdhsa_exception_fp_ieee_underflow 0
		.amdhsa_exception_fp_ieee_inexact 0
		.amdhsa_exception_int_div_zero 0
	.end_amdhsa_kernel
	.section	.text._ZN9rocsolver6v33100L16org2r_init_identI19rocblas_complex_numIdEPS3_EEviiiT0_iil,"axG",@progbits,_ZN9rocsolver6v33100L16org2r_init_identI19rocblas_complex_numIdEPS3_EEviiiT0_iil,comdat
.Lfunc_end125:
	.size	_ZN9rocsolver6v33100L16org2r_init_identI19rocblas_complex_numIdEPS3_EEviiiT0_iil, .Lfunc_end125-_ZN9rocsolver6v33100L16org2r_init_identI19rocblas_complex_numIdEPS3_EEviiiT0_iil
                                        ; -- End function
	.section	.AMDGPU.csdata,"",@progbits
; Kernel info:
; codeLenInByte = 580
; NumSgprs: 18
; NumVgprs: 7
; ScratchSize: 0
; MemoryBound: 0
; FloatMode: 240
; IeeeMode: 1
; LDSByteSize: 0 bytes/workgroup (compile time only)
; SGPRBlocks: 2
; VGPRBlocks: 0
; NumSGPRsForWavesPerEU: 18
; NumVGPRsForWavesPerEU: 7
; Occupancy: 16
; WaveLimiterHint : 0
; COMPUTE_PGM_RSRC2:SCRATCH_EN: 0
; COMPUTE_PGM_RSRC2:USER_SGPR: 13
; COMPUTE_PGM_RSRC2:TRAP_HANDLER: 0
; COMPUTE_PGM_RSRC2:TGID_X_EN: 1
; COMPUTE_PGM_RSRC2:TGID_Y_EN: 1
; COMPUTE_PGM_RSRC2:TGID_Z_EN: 1
; COMPUTE_PGM_RSRC2:TIDIG_COMP_CNT: 1
	.section	.text._ZN9rocsolver6v33100L12subtract_tauI19rocblas_complex_numIdEPS3_EEviiT0_iilPT_l,"axG",@progbits,_ZN9rocsolver6v33100L12subtract_tauI19rocblas_complex_numIdEPS3_EEviiT0_iilPT_l,comdat
	.globl	_ZN9rocsolver6v33100L12subtract_tauI19rocblas_complex_numIdEPS3_EEviiT0_iilPT_l ; -- Begin function _ZN9rocsolver6v33100L12subtract_tauI19rocblas_complex_numIdEPS3_EEviiT0_iilPT_l
	.p2align	8
	.type	_ZN9rocsolver6v33100L12subtract_tauI19rocblas_complex_numIdEPS3_EEviiT0_iilPT_l,@function
_ZN9rocsolver6v33100L12subtract_tauI19rocblas_complex_numIdEPS3_EEviiT0_iilPT_l: ; @_ZN9rocsolver6v33100L12subtract_tauI19rocblas_complex_numIdEPS3_EEviiT0_iilPT_l
; %bb.0:
	s_clause 0x3
	s_load_b64 s[8:9], s[0:1], 0x10
	s_load_b128 s[4:7], s[0:1], 0x18
	s_load_b64 s[10:11], s[0:1], 0x28
	s_load_b128 s[0:3], s[0:1], 0x0
	s_waitcnt lgkmcnt(0)
	s_ashr_i32 s13, s8, 31
	s_mov_b32 s12, s8
	s_mul_i32 s5, s15, s5
	s_mul_hi_u32 s8, s15, s4
	s_mul_i32 s4, s15, s4
	s_add_i32 s5, s8, s5
	s_mul_i32 s8, s15, s11
	s_lshl_b64 s[4:5], s[4:5], 4
	s_mul_hi_u32 s11, s15, s10
	s_add_u32 s14, s2, s4
	s_addc_u32 s5, s3, s5
	s_lshl_b64 s[2:3], s[12:13], 4
	s_mul_i32 s4, s15, s10
	s_add_u32 s10, s14, s2
	s_addc_u32 s12, s5, s3
	s_add_i32 s5, s11, s8
	s_mul_i32 s1, s9, s1
	s_lshl_b64 s[2:3], s[4:5], 4
	s_delay_alu instid0(SALU_CYCLE_1) | instskip(SKIP_4) | instid1(SALU_CYCLE_1)
	s_add_u32 s2, s6, s2
	s_addc_u32 s3, s7, s3
	s_add_i32 s0, s1, s0
	s_load_b128 s[4:7], s[2:3], 0x0
	s_ashr_i32 s1, s0, 31
	s_lshl_b64 s[0:1], s[0:1], 4
	s_waitcnt lgkmcnt(0)
	s_xor_b32 s8, s5, 0x80000000
	s_xor_b32 s7, s7, 0x80000000
	v_dual_mov_b32 v4, 0 :: v_dual_mov_b32 v1, s8
	v_dual_mov_b32 v0, s4 :: v_dual_mov_b32 v3, s7
	v_mov_b32_e32 v2, s6
	s_add_u32 s0, s10, s0
	s_addc_u32 s1, s12, s1
	global_store_b128 v4, v[0:3], s[2:3]
	v_add_f64 v[0:1], -s[4:5], 1.0
	global_store_b128 v4, v[0:3], s[0:1]
	s_nop 0
	s_sendmsg sendmsg(MSG_DEALLOC_VGPRS)
	s_endpgm
	.section	.rodata,"a",@progbits
	.p2align	6, 0x0
	.amdhsa_kernel _ZN9rocsolver6v33100L12subtract_tauI19rocblas_complex_numIdEPS3_EEviiT0_iilPT_l
		.amdhsa_group_segment_fixed_size 0
		.amdhsa_private_segment_fixed_size 0
		.amdhsa_kernarg_size 48
		.amdhsa_user_sgpr_count 15
		.amdhsa_user_sgpr_dispatch_ptr 0
		.amdhsa_user_sgpr_queue_ptr 0
		.amdhsa_user_sgpr_kernarg_segment_ptr 1
		.amdhsa_user_sgpr_dispatch_id 0
		.amdhsa_user_sgpr_private_segment_size 0
		.amdhsa_wavefront_size32 1
		.amdhsa_uses_dynamic_stack 0
		.amdhsa_enable_private_segment 0
		.amdhsa_system_sgpr_workgroup_id_x 1
		.amdhsa_system_sgpr_workgroup_id_y 0
		.amdhsa_system_sgpr_workgroup_id_z 0
		.amdhsa_system_sgpr_workgroup_info 0
		.amdhsa_system_vgpr_workitem_id 0
		.amdhsa_next_free_vgpr 5
		.amdhsa_next_free_sgpr 16
		.amdhsa_reserve_vcc 0
		.amdhsa_float_round_mode_32 0
		.amdhsa_float_round_mode_16_64 0
		.amdhsa_float_denorm_mode_32 3
		.amdhsa_float_denorm_mode_16_64 3
		.amdhsa_dx10_clamp 1
		.amdhsa_ieee_mode 1
		.amdhsa_fp16_overflow 0
		.amdhsa_workgroup_processor_mode 1
		.amdhsa_memory_ordered 1
		.amdhsa_forward_progress 0
		.amdhsa_shared_vgpr_count 0
		.amdhsa_exception_fp_ieee_invalid_op 0
		.amdhsa_exception_fp_denorm_src 0
		.amdhsa_exception_fp_ieee_div_zero 0
		.amdhsa_exception_fp_ieee_overflow 0
		.amdhsa_exception_fp_ieee_underflow 0
		.amdhsa_exception_fp_ieee_inexact 0
		.amdhsa_exception_int_div_zero 0
	.end_amdhsa_kernel
	.section	.text._ZN9rocsolver6v33100L12subtract_tauI19rocblas_complex_numIdEPS3_EEviiT0_iilPT_l,"axG",@progbits,_ZN9rocsolver6v33100L12subtract_tauI19rocblas_complex_numIdEPS3_EEviiT0_iilPT_l,comdat
.Lfunc_end126:
	.size	_ZN9rocsolver6v33100L12subtract_tauI19rocblas_complex_numIdEPS3_EEviiT0_iilPT_l, .Lfunc_end126-_ZN9rocsolver6v33100L12subtract_tauI19rocblas_complex_numIdEPS3_EEviiT0_iilPT_l
                                        ; -- End function
	.section	.AMDGPU.csdata,"",@progbits
; Kernel info:
; codeLenInByte = 228
; NumSgprs: 16
; NumVgprs: 5
; ScratchSize: 0
; MemoryBound: 0
; FloatMode: 240
; IeeeMode: 1
; LDSByteSize: 0 bytes/workgroup (compile time only)
; SGPRBlocks: 1
; VGPRBlocks: 0
; NumSGPRsForWavesPerEU: 16
; NumVGPRsForWavesPerEU: 5
; Occupancy: 16
; WaveLimiterHint : 0
; COMPUTE_PGM_RSRC2:SCRATCH_EN: 0
; COMPUTE_PGM_RSRC2:USER_SGPR: 15
; COMPUTE_PGM_RSRC2:TRAP_HANDLER: 0
; COMPUTE_PGM_RSRC2:TGID_X_EN: 1
; COMPUTE_PGM_RSRC2:TGID_Y_EN: 0
; COMPUTE_PGM_RSRC2:TGID_Z_EN: 0
; COMPUTE_PGM_RSRC2:TIDIG_COMP_CNT: 0
	.section	.text._ZN9rocsolver6v33100L6restauI19rocblas_complex_numIdEEEviPT_l,"axG",@progbits,_ZN9rocsolver6v33100L6restauI19rocblas_complex_numIdEEEviPT_l,comdat
	.globl	_ZN9rocsolver6v33100L6restauI19rocblas_complex_numIdEEEviPT_l ; -- Begin function _ZN9rocsolver6v33100L6restauI19rocblas_complex_numIdEEEviPT_l
	.p2align	8
	.type	_ZN9rocsolver6v33100L6restauI19rocblas_complex_numIdEEEviPT_l,@function
_ZN9rocsolver6v33100L6restauI19rocblas_complex_numIdEEEviPT_l: ; @_ZN9rocsolver6v33100L6restauI19rocblas_complex_numIdEEEviPT_l
; %bb.0:
	s_clause 0x1
	s_load_b32 s2, s[0:1], 0x24
	s_load_b32 s3, s[0:1], 0x0
	s_waitcnt lgkmcnt(0)
	s_and_b32 s2, s2, 0xffff
	s_delay_alu instid0(SALU_CYCLE_1) | instskip(SKIP_1) | instid1(VALU_DEP_1)
	v_mad_u64_u32 v[1:2], null, s14, s2, v[0:1]
	s_mov_b32 s2, exec_lo
	v_cmpx_gt_u32_e64 s3, v1
	s_cbranch_execz .LBB127_2
; %bb.1:
	s_load_b128 s[0:3], s[0:1], 0x8
	v_mov_b32_e32 v2, 0
	s_delay_alu instid0(VALU_DEP_1)
	v_lshlrev_b64 v[0:1], 4, v[1:2]
	s_waitcnt lgkmcnt(0)
	s_mul_i32 s3, s15, s3
	s_mul_hi_u32 s4, s15, s2
	s_mul_i32 s2, s15, s2
	s_add_i32 s3, s4, s3
	s_delay_alu instid0(SALU_CYCLE_1) | instskip(NEXT) | instid1(SALU_CYCLE_1)
	s_lshl_b64 s[2:3], s[2:3], 4
	s_add_u32 s0, s0, s2
	s_addc_u32 s1, s1, s3
	v_add_co_u32 v4, vcc_lo, s0, v0
	v_add_co_ci_u32_e32 v5, vcc_lo, s1, v1, vcc_lo
	global_load_b128 v[0:3], v[4:5], off
	s_waitcnt vmcnt(0)
	v_xor_b32_e32 v1, 0x80000000, v1
	v_xor_b32_e32 v3, 0x80000000, v3
	global_store_b128 v[4:5], v[0:3], off
.LBB127_2:
	s_nop 0
	s_sendmsg sendmsg(MSG_DEALLOC_VGPRS)
	s_endpgm
	.section	.rodata,"a",@progbits
	.p2align	6, 0x0
	.amdhsa_kernel _ZN9rocsolver6v33100L6restauI19rocblas_complex_numIdEEEviPT_l
		.amdhsa_group_segment_fixed_size 0
		.amdhsa_private_segment_fixed_size 0
		.amdhsa_kernarg_size 280
		.amdhsa_user_sgpr_count 14
		.amdhsa_user_sgpr_dispatch_ptr 0
		.amdhsa_user_sgpr_queue_ptr 0
		.amdhsa_user_sgpr_kernarg_segment_ptr 1
		.amdhsa_user_sgpr_dispatch_id 0
		.amdhsa_user_sgpr_private_segment_size 0
		.amdhsa_wavefront_size32 1
		.amdhsa_uses_dynamic_stack 0
		.amdhsa_enable_private_segment 0
		.amdhsa_system_sgpr_workgroup_id_x 1
		.amdhsa_system_sgpr_workgroup_id_y 1
		.amdhsa_system_sgpr_workgroup_id_z 0
		.amdhsa_system_sgpr_workgroup_info 0
		.amdhsa_system_vgpr_workitem_id 0
		.amdhsa_next_free_vgpr 6
		.amdhsa_next_free_sgpr 16
		.amdhsa_reserve_vcc 1
		.amdhsa_float_round_mode_32 0
		.amdhsa_float_round_mode_16_64 0
		.amdhsa_float_denorm_mode_32 3
		.amdhsa_float_denorm_mode_16_64 3
		.amdhsa_dx10_clamp 1
		.amdhsa_ieee_mode 1
		.amdhsa_fp16_overflow 0
		.amdhsa_workgroup_processor_mode 1
		.amdhsa_memory_ordered 1
		.amdhsa_forward_progress 0
		.amdhsa_shared_vgpr_count 0
		.amdhsa_exception_fp_ieee_invalid_op 0
		.amdhsa_exception_fp_denorm_src 0
		.amdhsa_exception_fp_ieee_div_zero 0
		.amdhsa_exception_fp_ieee_overflow 0
		.amdhsa_exception_fp_ieee_underflow 0
		.amdhsa_exception_fp_ieee_inexact 0
		.amdhsa_exception_int_div_zero 0
	.end_amdhsa_kernel
	.section	.text._ZN9rocsolver6v33100L6restauI19rocblas_complex_numIdEEEviPT_l,"axG",@progbits,_ZN9rocsolver6v33100L6restauI19rocblas_complex_numIdEEEviPT_l,comdat
.Lfunc_end127:
	.size	_ZN9rocsolver6v33100L6restauI19rocblas_complex_numIdEEEviPT_l, .Lfunc_end127-_ZN9rocsolver6v33100L6restauI19rocblas_complex_numIdEEEviPT_l
                                        ; -- End function
	.section	.AMDGPU.csdata,"",@progbits
; Kernel info:
; codeLenInByte = 180
; NumSgprs: 18
; NumVgprs: 6
; ScratchSize: 0
; MemoryBound: 0
; FloatMode: 240
; IeeeMode: 1
; LDSByteSize: 0 bytes/workgroup (compile time only)
; SGPRBlocks: 2
; VGPRBlocks: 0
; NumSGPRsForWavesPerEU: 18
; NumVGPRsForWavesPerEU: 6
; Occupancy: 16
; WaveLimiterHint : 0
; COMPUTE_PGM_RSRC2:SCRATCH_EN: 0
; COMPUTE_PGM_RSRC2:USER_SGPR: 14
; COMPUTE_PGM_RSRC2:TRAP_HANDLER: 0
; COMPUTE_PGM_RSRC2:TGID_X_EN: 1
; COMPUTE_PGM_RSRC2:TGID_Y_EN: 1
; COMPUTE_PGM_RSRC2:TGID_Z_EN: 0
; COMPUTE_PGM_RSRC2:TIDIG_COMP_CNT: 0
	.section	.text._ZN9rocsolver6v33100L15copyshift_rightI19rocblas_complex_numIdEPS3_EEvbiT0_iilPT_iil,"axG",@progbits,_ZN9rocsolver6v33100L15copyshift_rightI19rocblas_complex_numIdEPS3_EEvbiT0_iilPT_iil,comdat
	.globl	_ZN9rocsolver6v33100L15copyshift_rightI19rocblas_complex_numIdEPS3_EEvbiT0_iilPT_iil ; -- Begin function _ZN9rocsolver6v33100L15copyshift_rightI19rocblas_complex_numIdEPS3_EEvbiT0_iilPT_iil
	.p2align	8
	.type	_ZN9rocsolver6v33100L15copyshift_rightI19rocblas_complex_numIdEPS3_EEvbiT0_iilPT_iil,@function
_ZN9rocsolver6v33100L15copyshift_rightI19rocblas_complex_numIdEPS3_EEvbiT0_iilPT_iil: ; @_ZN9rocsolver6v33100L15copyshift_rightI19rocblas_complex_numIdEPS3_EEvbiT0_iilPT_iil
; %bb.0:
	s_clause 0x3
	s_load_b128 s[8:11], s[0:1], 0x0
	s_load_b32 s2, s[0:1], 0x44
	s_load_b128 s[4:7], s[0:1], 0x18
	s_load_b64 s[16:17], s[0:1], 0x10
	v_bfe_u32 v1, v0, 10, 10
	v_and_b32_e32 v0, 0x3ff, v0
	s_waitcnt lgkmcnt(0)
	s_bitcmp1_b32 s8, 0
	s_cselect_b32 s3, -1, 0
	s_lshr_b32 s8, s2, 16
	s_and_b32 s2, s2, 0xffff
	v_mad_u64_u32 v[4:5], null, s14, s8, v[1:2]
	v_mad_u64_u32 v[5:6], null, s13, s2, v[0:1]
	s_mul_i32 s2, s15, s5
	s_mul_hi_u32 s5, s15, s4
	s_mul_i32 s4, s15, s4
	s_add_i32 s5, s5, s2
	s_xor_b32 s8, s3, -1
	s_lshl_b64 s[4:5], s[4:5], 4
	s_delay_alu instid0(VALU_DEP_1)
	v_or_b32_e32 v0, v5, v4
	s_ashr_i32 s3, s16, 31
	s_mov_b32 s2, s16
	s_add_u32 s4, s10, s4
	s_addc_u32 s5, s11, s5
	v_cmp_eq_u32_e32 vcc_lo, 0, v0
	s_lshl_b64 s[2:3], s[2:3], 4
	s_delay_alu instid0(SALU_CYCLE_1) | instskip(SKIP_2) | instid1(SALU_CYCLE_1)
	s_add_u32 s4, s4, s2
	s_addc_u32 s5, s5, s3
	s_and_b32 s3, vcc_lo, s8
	s_and_saveexec_b32 s2, s3
	s_cbranch_execz .LBB128_2
; %bb.1:
	v_dual_mov_b32 v0, 0 :: v_dual_mov_b32 v1, 0x3ff00000
	s_delay_alu instid0(VALU_DEP_1)
	v_mov_b32_e32 v2, v0
	v_mov_b32_e32 v3, v0
	global_store_b128 v0, v[0:3], s[4:5]
.LBB128_2:
	s_or_b32 exec_lo, exec_lo, s2
	v_max_u32_e32 v0, v4, v5
	v_cmp_le_u32_e64 s2, v4, v5
	s_delay_alu instid0(VALU_DEP_2) | instskip(NEXT) | instid1(VALU_DEP_2)
	v_cmp_gt_u32_e32 vcc_lo, s9, v0
	s_and_b32 s2, s2, vcc_lo
	s_delay_alu instid0(SALU_CYCLE_1)
	s_and_saveexec_b32 s3, s2
	s_cbranch_execz .LBB128_11
; %bb.3:
	s_load_b128 s[0:3], s[0:1], 0x28
	v_mad_u64_u32 v[0:1], null, v4, v4, v[4:5]
	s_delay_alu instid0(VALU_DEP_1)
	v_lshrrev_b32_e32 v6, 1, v0
	s_waitcnt lgkmcnt(0)
	s_mul_i32 s3, s15, s3
	s_mul_hi_u32 s9, s15, s2
	s_mul_i32 s2, s15, s2
	s_add_i32 s3, s9, s3
	s_ashr_i32 s11, s0, 31
	s_lshl_b64 s[2:3], s[2:3], 4
	s_mov_b32 s10, s0
	s_add_u32 s0, s6, s2
	s_addc_u32 s6, s7, s3
	s_lshl_b64 s[2:3], s[10:11], 4
	s_delay_alu instid0(SALU_CYCLE_1)
	s_add_u32 s0, s0, s2
	s_addc_u32 s2, s6, s3
	s_and_b32 vcc_lo, exec_lo, s8
	s_mov_b32 s3, -1
	s_cbranch_vccz .LBB128_7
; %bb.4:
	v_mad_u64_u32 v[0:1], null, v4, s1, v[5:6]
	v_mov_b32_e32 v1, 0
	s_mov_b32 s3, 0
	s_mov_b32 s6, exec_lo
	s_delay_alu instid0(VALU_DEP_2) | instskip(NEXT) | instid1(VALU_DEP_1)
	v_sub_nc_u32_e32 v0, v0, v6
	v_lshlrev_b64 v[2:3], 4, v[0:1]
	s_delay_alu instid0(VALU_DEP_1) | instskip(NEXT) | instid1(VALU_DEP_2)
	v_add_co_u32 v2, vcc_lo, s0, v2
	v_add_co_ci_u32_e32 v3, vcc_lo, s2, v3, vcc_lo
	global_load_b128 v[7:10], v[2:3], off
	v_mul_lo_u32 v2, v4, s17
	s_delay_alu instid0(VALU_DEP_1) | instskip(NEXT) | instid1(VALU_DEP_1)
	v_add3_u32 v0, v5, v2, 1
	v_lshlrev_b64 v[11:12], 4, v[0:1]
	s_delay_alu instid0(VALU_DEP_1) | instskip(NEXT) | instid1(VALU_DEP_2)
	v_add_co_u32 v11, vcc_lo, s4, v11
	v_add_co_ci_u32_e32 v12, vcc_lo, s5, v12, vcc_lo
	s_waitcnt vmcnt(0)
	global_store_b128 v[11:12], v[7:10], off
	v_cmpx_eq_u32_e64 v5, v4
	s_cbranch_execz .LBB128_6
; %bb.5:
	v_dual_mov_b32 v3, v1 :: v_dual_add_nc_u32 v0, s17, v2
	v_mov_b32_e32 v2, v1
	s_delay_alu instid0(VALU_DEP_2) | instskip(SKIP_1) | instid1(VALU_DEP_2)
	v_lshlrev_b64 v[7:8], 4, v[0:1]
	v_mov_b32_e32 v0, v1
	v_add_co_u32 v7, vcc_lo, s4, v7
	s_delay_alu instid0(VALU_DEP_3)
	v_add_co_ci_u32_e32 v8, vcc_lo, s5, v8, vcc_lo
	global_store_b128 v[7:8], v[0:3], off
.LBB128_6:
	s_or_b32 exec_lo, exec_lo, s6
.LBB128_7:
	s_delay_alu instid0(SALU_CYCLE_1)
	s_and_not1_b32 vcc_lo, exec_lo, s3
	s_cbranch_vccnz .LBB128_11
; %bb.8:
	v_mov_b32_e32 v0, 0
	v_mov_b32_e32 v1, 0
	s_mov_b32 s3, exec_lo
	s_delay_alu instid0(VALU_DEP_1)
	v_dual_mov_b32 v3, v1 :: v_dual_mov_b32 v2, v0
	v_cmpx_ne_u32_e32 0, v4
	s_cbranch_execz .LBB128_10
; %bb.9:
	v_dual_mov_b32 v1, 0 :: v_dual_add_nc_u32 v0, -1, v4
	s_delay_alu instid0(VALU_DEP_1) | instskip(NEXT) | instid1(VALU_DEP_1)
	v_mul_lo_u32 v0, v0, s17
	v_add3_u32 v0, v5, v0, 1
	s_delay_alu instid0(VALU_DEP_1) | instskip(NEXT) | instid1(VALU_DEP_1)
	v_lshlrev_b64 v[0:1], 4, v[0:1]
	v_add_co_u32 v0, vcc_lo, s4, v0
	s_delay_alu instid0(VALU_DEP_2)
	v_add_co_ci_u32_e32 v1, vcc_lo, s5, v1, vcc_lo
	global_load_b128 v[0:3], v[0:1], off
.LBB128_10:
	s_or_b32 exec_lo, exec_lo, s3
	v_mad_u64_u32 v[7:8], null, v4, s1, v[5:6]
	v_mov_b32_e32 v5, 0
	s_delay_alu instid0(VALU_DEP_2) | instskip(NEXT) | instid1(VALU_DEP_1)
	v_sub_nc_u32_e32 v4, v7, v6
	v_lshlrev_b64 v[4:5], 4, v[4:5]
	s_delay_alu instid0(VALU_DEP_1) | instskip(NEXT) | instid1(VALU_DEP_2)
	v_add_co_u32 v4, vcc_lo, s0, v4
	v_add_co_ci_u32_e32 v5, vcc_lo, s2, v5, vcc_lo
	s_waitcnt vmcnt(0)
	global_store_b128 v[4:5], v[0:3], off
.LBB128_11:
	s_nop 0
	s_sendmsg sendmsg(MSG_DEALLOC_VGPRS)
	s_endpgm
	.section	.rodata,"a",@progbits
	.p2align	6, 0x0
	.amdhsa_kernel _ZN9rocsolver6v33100L15copyshift_rightI19rocblas_complex_numIdEPS3_EEvbiT0_iilPT_iil
		.amdhsa_group_segment_fixed_size 0
		.amdhsa_private_segment_fixed_size 0
		.amdhsa_kernarg_size 312
		.amdhsa_user_sgpr_count 13
		.amdhsa_user_sgpr_dispatch_ptr 0
		.amdhsa_user_sgpr_queue_ptr 0
		.amdhsa_user_sgpr_kernarg_segment_ptr 1
		.amdhsa_user_sgpr_dispatch_id 0
		.amdhsa_user_sgpr_private_segment_size 0
		.amdhsa_wavefront_size32 1
		.amdhsa_uses_dynamic_stack 0
		.amdhsa_enable_private_segment 0
		.amdhsa_system_sgpr_workgroup_id_x 1
		.amdhsa_system_sgpr_workgroup_id_y 1
		.amdhsa_system_sgpr_workgroup_id_z 1
		.amdhsa_system_sgpr_workgroup_info 0
		.amdhsa_system_vgpr_workitem_id 1
		.amdhsa_next_free_vgpr 13
		.amdhsa_next_free_sgpr 18
		.amdhsa_reserve_vcc 1
		.amdhsa_float_round_mode_32 0
		.amdhsa_float_round_mode_16_64 0
		.amdhsa_float_denorm_mode_32 3
		.amdhsa_float_denorm_mode_16_64 3
		.amdhsa_dx10_clamp 1
		.amdhsa_ieee_mode 1
		.amdhsa_fp16_overflow 0
		.amdhsa_workgroup_processor_mode 1
		.amdhsa_memory_ordered 1
		.amdhsa_forward_progress 0
		.amdhsa_shared_vgpr_count 0
		.amdhsa_exception_fp_ieee_invalid_op 0
		.amdhsa_exception_fp_denorm_src 0
		.amdhsa_exception_fp_ieee_div_zero 0
		.amdhsa_exception_fp_ieee_overflow 0
		.amdhsa_exception_fp_ieee_underflow 0
		.amdhsa_exception_fp_ieee_inexact 0
		.amdhsa_exception_int_div_zero 0
	.end_amdhsa_kernel
	.section	.text._ZN9rocsolver6v33100L15copyshift_rightI19rocblas_complex_numIdEPS3_EEvbiT0_iilPT_iil,"axG",@progbits,_ZN9rocsolver6v33100L15copyshift_rightI19rocblas_complex_numIdEPS3_EEvbiT0_iilPT_iil,comdat
.Lfunc_end128:
	.size	_ZN9rocsolver6v33100L15copyshift_rightI19rocblas_complex_numIdEPS3_EEvbiT0_iilPT_iil, .Lfunc_end128-_ZN9rocsolver6v33100L15copyshift_rightI19rocblas_complex_numIdEPS3_EEvbiT0_iilPT_iil
                                        ; -- End function
	.section	.AMDGPU.csdata,"",@progbits
; Kernel info:
; codeLenInByte = 700
; NumSgprs: 20
; NumVgprs: 13
; ScratchSize: 0
; MemoryBound: 0
; FloatMode: 240
; IeeeMode: 1
; LDSByteSize: 0 bytes/workgroup (compile time only)
; SGPRBlocks: 2
; VGPRBlocks: 1
; NumSGPRsForWavesPerEU: 20
; NumVGPRsForWavesPerEU: 13
; Occupancy: 16
; WaveLimiterHint : 0
; COMPUTE_PGM_RSRC2:SCRATCH_EN: 0
; COMPUTE_PGM_RSRC2:USER_SGPR: 13
; COMPUTE_PGM_RSRC2:TRAP_HANDLER: 0
; COMPUTE_PGM_RSRC2:TGID_X_EN: 1
; COMPUTE_PGM_RSRC2:TGID_Y_EN: 1
; COMPUTE_PGM_RSRC2:TGID_Z_EN: 1
; COMPUTE_PGM_RSRC2:TIDIG_COMP_CNT: 1
	.section	.text._ZN9rocsolver6v33100L16orgl2_init_identI19rocblas_complex_numIdEPS3_EEviiiT0_iil,"axG",@progbits,_ZN9rocsolver6v33100L16orgl2_init_identI19rocblas_complex_numIdEPS3_EEviiiT0_iil,comdat
	.globl	_ZN9rocsolver6v33100L16orgl2_init_identI19rocblas_complex_numIdEPS3_EEviiiT0_iil ; -- Begin function _ZN9rocsolver6v33100L16orgl2_init_identI19rocblas_complex_numIdEPS3_EEviiiT0_iil
	.p2align	8
	.type	_ZN9rocsolver6v33100L16orgl2_init_identI19rocblas_complex_numIdEPS3_EEviiiT0_iil,@function
_ZN9rocsolver6v33100L16orgl2_init_identI19rocblas_complex_numIdEPS3_EEviiiT0_iil: ; @_ZN9rocsolver6v33100L16orgl2_init_identI19rocblas_complex_numIdEPS3_EEviiiT0_iil
; %bb.0:
	s_clause 0x1
	s_load_b32 s2, s[0:1], 0x34
	s_load_b128 s[4:7], s[0:1], 0x0
	v_and_b32_e32 v1, 0x3ff, v0
	v_bfe_u32 v0, v0, 10, 10
	s_waitcnt lgkmcnt(0)
	s_lshr_b32 s3, s2, 16
	s_and_b32 s2, s2, 0xffff
	s_delay_alu instid0(SALU_CYCLE_1) | instskip(SKIP_1) | instid1(VALU_DEP_2)
	v_mad_u64_u32 v[4:5], null, s13, s2, v[1:2]
	v_mad_u64_u32 v[2:3], null, s14, s3, v[0:1]
	v_cmp_gt_u32_e32 vcc_lo, s4, v4
	s_delay_alu instid0(VALU_DEP_2) | instskip(NEXT) | instid1(VALU_DEP_1)
	v_cmp_gt_u32_e64 s2, s5, v2
	s_and_b32 s2, vcc_lo, s2
	s_delay_alu instid0(SALU_CYCLE_1)
	s_and_saveexec_b32 s3, s2
	s_cbranch_execz .LBB129_5
; %bb.1:
	s_clause 0x1
	s_load_b64 s[4:5], s[0:1], 0x20
	s_load_b128 s[0:3], s[0:1], 0x10
                                        ; implicit-def: $vgpr0_vgpr1
	s_waitcnt lgkmcnt(0)
	s_mul_i32 s5, s15, s5
	s_mul_hi_u32 s7, s15, s4
	s_mul_i32 s4, s15, s4
	s_add_i32 s5, s7, s5
	s_ashr_i32 s9, s2, 31
	s_lshl_b64 s[4:5], s[4:5], 4
	s_mov_b32 s8, s2
	s_add_u32 s2, s0, s4
	s_addc_u32 s4, s1, s5
	s_lshl_b64 s[0:1], s[8:9], 4
	s_delay_alu instid0(SALU_CYCLE_1)
	s_add_u32 s0, s2, s0
	s_addc_u32 s1, s4, s1
	s_mov_b32 s4, 0
	s_mov_b32 s2, exec_lo
	v_cmpx_ne_u32_e64 v4, v2
	s_xor_b32 s2, exec_lo, s2
	s_cbranch_execnz .LBB129_6
; %bb.2:
	s_and_not1_saveexec_b32 s2, s2
	s_cbranch_execnz .LBB129_13
.LBB129_3:
	s_or_b32 exec_lo, exec_lo, s2
	s_delay_alu instid0(SALU_CYCLE_1)
	s_and_b32 exec_lo, exec_lo, s4
	s_cbranch_execz .LBB129_5
.LBB129_4:
	v_mov_b32_e32 v2, 0
	s_delay_alu instid0(VALU_DEP_1)
	v_mov_b32_e32 v3, v2
	global_store_b64 v[0:1], v[2:3], off
.LBB129_5:
	s_nop 0
	s_sendmsg sendmsg(MSG_DEALLOC_VGPRS)
	s_endpgm
.LBB129_6:
	s_mov_b32 s5, exec_lo
                                        ; implicit-def: $vgpr0_vgpr1
	v_cmpx_ge_u32_e64 v2, v4
	s_xor_b32 s5, exec_lo, s5
	s_cbranch_execz .LBB129_10
; %bb.7:
	v_cmp_le_u32_e32 vcc_lo, s6, v4
                                        ; implicit-def: $vgpr0_vgpr1
	s_and_saveexec_b32 s6, vcc_lo
	s_delay_alu instid0(SALU_CYCLE_1)
	s_xor_b32 s6, exec_lo, s6
	s_cbranch_execz .LBB129_9
; %bb.8:
	v_mad_u64_u32 v[5:6], null, v2, s3, v[4:5]
	v_mov_b32_e32 v6, 0
	s_mov_b32 s4, exec_lo
	s_delay_alu instid0(VALU_DEP_1) | instskip(SKIP_1) | instid1(VALU_DEP_2)
	v_lshlrev_b64 v[0:1], 4, v[5:6]
	v_mov_b32_e32 v5, v6
	v_add_co_u32 v2, vcc_lo, s0, v0
	s_delay_alu instid0(VALU_DEP_3) | instskip(NEXT) | instid1(VALU_DEP_2)
	v_add_co_ci_u32_e32 v3, vcc_lo, s1, v1, vcc_lo
	v_add_co_u32 v0, vcc_lo, v2, 8
	s_delay_alu instid0(VALU_DEP_2)
	v_add_co_ci_u32_e32 v1, vcc_lo, 0, v3, vcc_lo
	global_store_b64 v[2:3], v[5:6], off
.LBB129_9:
	s_or_b32 exec_lo, exec_lo, s6
	s_delay_alu instid0(SALU_CYCLE_1)
	s_and_b32 s4, s4, exec_lo
                                        ; implicit-def: $vgpr4_vgpr5
                                        ; implicit-def: $vgpr2_vgpr3
.LBB129_10:
	s_and_not1_saveexec_b32 s5, s5
	s_cbranch_execz .LBB129_12
; %bb.11:
	v_mad_u64_u32 v[5:6], null, v2, s3, v[4:5]
	v_mov_b32_e32 v6, 0
	s_or_b32 s4, s4, exec_lo
	s_delay_alu instid0(VALU_DEP_1) | instskip(SKIP_1) | instid1(VALU_DEP_2)
	v_lshlrev_b64 v[0:1], 4, v[5:6]
	v_mov_b32_e32 v5, v6
	v_add_co_u32 v2, vcc_lo, s0, v0
	s_delay_alu instid0(VALU_DEP_3) | instskip(NEXT) | instid1(VALU_DEP_2)
	v_add_co_ci_u32_e32 v3, vcc_lo, s1, v1, vcc_lo
	v_add_co_u32 v0, vcc_lo, v2, 8
	s_delay_alu instid0(VALU_DEP_2)
	v_add_co_ci_u32_e32 v1, vcc_lo, 0, v3, vcc_lo
	global_store_b64 v[2:3], v[5:6], off
.LBB129_12:
	s_or_b32 exec_lo, exec_lo, s5
	s_delay_alu instid0(SALU_CYCLE_1)
	s_and_b32 s4, s4, exec_lo
                                        ; implicit-def: $vgpr2_vgpr3
	s_and_not1_saveexec_b32 s2, s2
	s_cbranch_execz .LBB129_3
.LBB129_13:
	v_mad_u64_u32 v[0:1], null, v2, s3, v[2:3]
	v_dual_mov_b32 v1, 0 :: v_dual_mov_b32 v4, 0x3ff00000
	s_or_b32 s4, s4, exec_lo
	s_delay_alu instid0(VALU_DEP_1) | instskip(NEXT) | instid1(VALU_DEP_1)
	v_lshlrev_b64 v[2:3], 4, v[0:1]
	v_add_co_u32 v5, vcc_lo, s0, v2
	s_delay_alu instid0(VALU_DEP_2) | instskip(SKIP_1) | instid1(VALU_DEP_3)
	v_add_co_ci_u32_e32 v6, vcc_lo, s1, v3, vcc_lo
	v_mov_b32_e32 v3, v1
	v_add_co_u32 v0, vcc_lo, v5, 8
	s_delay_alu instid0(VALU_DEP_3) | instskip(SKIP_2) | instid1(SALU_CYCLE_1)
	v_add_co_ci_u32_e32 v1, vcc_lo, 0, v6, vcc_lo
	global_store_b64 v[5:6], v[3:4], off
	s_or_b32 exec_lo, exec_lo, s2
	s_and_b32 exec_lo, exec_lo, s4
	s_cbranch_execnz .LBB129_4
	s_branch .LBB129_5
	.section	.rodata,"a",@progbits
	.p2align	6, 0x0
	.amdhsa_kernel _ZN9rocsolver6v33100L16orgl2_init_identI19rocblas_complex_numIdEPS3_EEviiiT0_iil
		.amdhsa_group_segment_fixed_size 0
		.amdhsa_private_segment_fixed_size 0
		.amdhsa_kernarg_size 296
		.amdhsa_user_sgpr_count 13
		.amdhsa_user_sgpr_dispatch_ptr 0
		.amdhsa_user_sgpr_queue_ptr 0
		.amdhsa_user_sgpr_kernarg_segment_ptr 1
		.amdhsa_user_sgpr_dispatch_id 0
		.amdhsa_user_sgpr_private_segment_size 0
		.amdhsa_wavefront_size32 1
		.amdhsa_uses_dynamic_stack 0
		.amdhsa_enable_private_segment 0
		.amdhsa_system_sgpr_workgroup_id_x 1
		.amdhsa_system_sgpr_workgroup_id_y 1
		.amdhsa_system_sgpr_workgroup_id_z 1
		.amdhsa_system_sgpr_workgroup_info 0
		.amdhsa_system_vgpr_workitem_id 1
		.amdhsa_next_free_vgpr 7
		.amdhsa_next_free_sgpr 16
		.amdhsa_reserve_vcc 1
		.amdhsa_float_round_mode_32 0
		.amdhsa_float_round_mode_16_64 0
		.amdhsa_float_denorm_mode_32 3
		.amdhsa_float_denorm_mode_16_64 3
		.amdhsa_dx10_clamp 1
		.amdhsa_ieee_mode 1
		.amdhsa_fp16_overflow 0
		.amdhsa_workgroup_processor_mode 1
		.amdhsa_memory_ordered 1
		.amdhsa_forward_progress 0
		.amdhsa_shared_vgpr_count 0
		.amdhsa_exception_fp_ieee_invalid_op 0
		.amdhsa_exception_fp_denorm_src 0
		.amdhsa_exception_fp_ieee_div_zero 0
		.amdhsa_exception_fp_ieee_overflow 0
		.amdhsa_exception_fp_ieee_underflow 0
		.amdhsa_exception_fp_ieee_inexact 0
		.amdhsa_exception_int_div_zero 0
	.end_amdhsa_kernel
	.section	.text._ZN9rocsolver6v33100L16orgl2_init_identI19rocblas_complex_numIdEPS3_EEviiiT0_iil,"axG",@progbits,_ZN9rocsolver6v33100L16orgl2_init_identI19rocblas_complex_numIdEPS3_EEviiiT0_iil,comdat
.Lfunc_end129:
	.size	_ZN9rocsolver6v33100L16orgl2_init_identI19rocblas_complex_numIdEPS3_EEviiiT0_iil, .Lfunc_end129-_ZN9rocsolver6v33100L16orgl2_init_identI19rocblas_complex_numIdEPS3_EEviiiT0_iil
                                        ; -- End function
	.section	.AMDGPU.csdata,"",@progbits
; Kernel info:
; codeLenInByte = 580
; NumSgprs: 18
; NumVgprs: 7
; ScratchSize: 0
; MemoryBound: 0
; FloatMode: 240
; IeeeMode: 1
; LDSByteSize: 0 bytes/workgroup (compile time only)
; SGPRBlocks: 2
; VGPRBlocks: 0
; NumSGPRsForWavesPerEU: 18
; NumVGPRsForWavesPerEU: 7
; Occupancy: 16
; WaveLimiterHint : 0
; COMPUTE_PGM_RSRC2:SCRATCH_EN: 0
; COMPUTE_PGM_RSRC2:USER_SGPR: 13
; COMPUTE_PGM_RSRC2:TRAP_HANDLER: 0
; COMPUTE_PGM_RSRC2:TGID_X_EN: 1
; COMPUTE_PGM_RSRC2:TGID_Y_EN: 1
; COMPUTE_PGM_RSRC2:TGID_Z_EN: 1
; COMPUTE_PGM_RSRC2:TIDIG_COMP_CNT: 1
	.section	.text._ZN9rocsolver6v33100L14copyshift_downI19rocblas_complex_numIdEPS3_EEvbiT0_iilPT_iil,"axG",@progbits,_ZN9rocsolver6v33100L14copyshift_downI19rocblas_complex_numIdEPS3_EEvbiT0_iilPT_iil,comdat
	.globl	_ZN9rocsolver6v33100L14copyshift_downI19rocblas_complex_numIdEPS3_EEvbiT0_iilPT_iil ; -- Begin function _ZN9rocsolver6v33100L14copyshift_downI19rocblas_complex_numIdEPS3_EEvbiT0_iilPT_iil
	.p2align	8
	.type	_ZN9rocsolver6v33100L14copyshift_downI19rocblas_complex_numIdEPS3_EEvbiT0_iilPT_iil,@function
_ZN9rocsolver6v33100L14copyshift_downI19rocblas_complex_numIdEPS3_EEvbiT0_iilPT_iil: ; @_ZN9rocsolver6v33100L14copyshift_downI19rocblas_complex_numIdEPS3_EEvbiT0_iilPT_iil
; %bb.0:
	s_clause 0x3
	s_load_b128 s[8:11], s[0:1], 0x0
	s_load_b32 s12, s[0:1], 0x44
	s_load_b128 s[4:7], s[0:1], 0x18
	s_load_b64 s[2:3], s[0:1], 0x10
	v_bfe_u32 v2, v0, 10, 10
	v_and_b32_e32 v3, 0x3ff, v0
	s_waitcnt lgkmcnt(0)
	s_bitcmp1_b32 s8, 0
	s_cselect_b32 s8, -1, 0
	s_lshr_b32 s16, s12, 16
	s_and_b32 s12, s12, 0xffff
	v_mad_u64_u32 v[0:1], null, s14, s16, v[2:3]
	v_mad_u64_u32 v[4:5], null, s13, s12, v[3:4]
	s_mul_i32 s12, s15, s5
	s_mul_hi_u32 s13, s15, s4
	s_xor_b32 s8, s8, -1
	s_add_i32 s13, s13, s12
	s_mul_i32 s12, s15, s4
	s_ashr_i32 s5, s2, 31
	s_delay_alu instid0(VALU_DEP_1)
	v_or_b32_e32 v1, v4, v0
	s_lshl_b64 s[12:13], s[12:13], 4
	s_mov_b32 s4, s2
	s_add_u32 s2, s10, s12
	s_addc_u32 s10, s11, s13
	v_cmp_eq_u32_e32 vcc_lo, 0, v1
	s_lshl_b64 s[4:5], s[4:5], 4
	s_delay_alu instid0(SALU_CYCLE_1) | instskip(SKIP_2) | instid1(SALU_CYCLE_1)
	s_add_u32 s4, s2, s4
	s_addc_u32 s5, s10, s5
	s_and_b32 s10, vcc_lo, s8
	s_and_saveexec_b32 s2, s10
	s_cbranch_execz .LBB130_2
; %bb.1:
	v_dual_mov_b32 v5, 0 :: v_dual_mov_b32 v6, 0x3ff00000
	s_delay_alu instid0(VALU_DEP_1)
	v_mov_b32_e32 v7, v5
	v_mov_b32_e32 v8, v5
	global_store_b128 v5, v[5:8], s[4:5]
.LBB130_2:
	s_or_b32 exec_lo, exec_lo, s2
	v_max_u32_e32 v1, v0, v4
	v_cmp_le_u32_e64 s2, v4, v0
	s_delay_alu instid0(VALU_DEP_2) | instskip(NEXT) | instid1(VALU_DEP_2)
	v_cmp_gt_u32_e32 vcc_lo, s9, v1
	s_and_b32 s2, s2, vcc_lo
	s_delay_alu instid0(SALU_CYCLE_1)
	s_and_saveexec_b32 s9, s2
	s_cbranch_execz .LBB130_11
; %bb.3:
	s_clause 0x1
	s_load_b64 s[10:11], s[0:1], 0x30
	s_load_b32 s0, s[0:1], 0x28
	v_add_nc_u32_e32 v7, 1, v0
	s_delay_alu instid0(VALU_DEP_1) | instskip(NEXT) | instid1(VALU_DEP_1)
	v_mul_lo_u32 v1, v7, v0
	v_lshrrev_b32_e32 v1, 1, v1
	s_delay_alu instid0(VALU_DEP_1)
	v_add_nc_u32_e32 v5, v4, v1
	s_waitcnt lgkmcnt(0)
	s_mul_i32 s1, s15, s11
	s_mul_hi_u32 s2, s15, s10
	s_mul_i32 s10, s15, s10
	s_add_i32 s11, s2, s1
	s_ashr_i32 s1, s0, 31
	s_lshl_b64 s[10:11], s[10:11], 4
	s_delay_alu instid0(SALU_CYCLE_1) | instskip(SKIP_2) | instid1(SALU_CYCLE_1)
	s_add_u32 s2, s6, s10
	s_addc_u32 s6, s7, s11
	s_lshl_b64 s[0:1], s[0:1], 4
	s_add_u32 s0, s2, s0
	s_addc_u32 s1, s6, s1
	s_and_b32 vcc_lo, exec_lo, s8
	s_mov_b32 s2, -1
	s_cbranch_vccz .LBB130_7
; %bb.4:
	v_mov_b32_e32 v6, 0
	s_mov_b32 s2, 0
	s_mov_b32 s6, exec_lo
	s_delay_alu instid0(VALU_DEP_1) | instskip(NEXT) | instid1(VALU_DEP_1)
	v_lshlrev_b64 v[1:2], 4, v[5:6]
	v_add_co_u32 v1, vcc_lo, s0, v1
	s_delay_alu instid0(VALU_DEP_2) | instskip(SKIP_3) | instid1(VALU_DEP_1)
	v_add_co_ci_u32_e32 v2, vcc_lo, s1, v2, vcc_lo
	global_load_b128 v[8:11], v[1:2], off
	v_mad_u64_u32 v[1:2], null, v7, s3, v[4:5]
	v_mov_b32_e32 v2, v6
	v_lshlrev_b64 v[1:2], 4, v[1:2]
	s_delay_alu instid0(VALU_DEP_1) | instskip(NEXT) | instid1(VALU_DEP_2)
	v_add_co_u32 v1, vcc_lo, s4, v1
	v_add_co_ci_u32_e32 v2, vcc_lo, s5, v2, vcc_lo
	s_waitcnt vmcnt(0)
	global_store_b128 v[1:2], v[8:11], off
	v_cmpx_eq_u32_e64 v4, v0
	s_cbranch_execz .LBB130_6
; %bb.5:
	v_mov_b32_e32 v1, v6
	v_mov_b32_e32 v2, v6
	;; [unrolled: 1-line block ×3, first 2 shown]
	s_delay_alu instid0(VALU_DEP_3) | instskip(SKIP_1) | instid1(VALU_DEP_2)
	v_lshlrev_b64 v[8:9], 4, v[0:1]
	v_mov_b32_e32 v0, v6
	v_add_co_u32 v8, vcc_lo, s4, v8
	s_delay_alu instid0(VALU_DEP_3)
	v_add_co_ci_u32_e32 v9, vcc_lo, s5, v9, vcc_lo
	global_store_b128 v[8:9], v[0:3], off offset:16
.LBB130_6:
	s_or_b32 exec_lo, exec_lo, s6
.LBB130_7:
	s_delay_alu instid0(SALU_CYCLE_1)
	s_and_not1_b32 vcc_lo, exec_lo, s2
	s_cbranch_vccnz .LBB130_11
; %bb.8:
	v_mov_b32_e32 v0, 0
	v_mov_b32_e32 v1, 0
	s_mov_b32 s2, exec_lo
	s_delay_alu instid0(VALU_DEP_1)
	v_dual_mov_b32 v3, v1 :: v_dual_mov_b32 v2, v0
	v_cmpx_ne_u32_e32 0, v4
	s_cbranch_execz .LBB130_10
; %bb.9:
	v_mul_lo_u32 v0, v7, s3
	v_mov_b32_e32 v1, 0
	s_delay_alu instid0(VALU_DEP_2) | instskip(NEXT) | instid1(VALU_DEP_1)
	v_add3_u32 v0, v4, v0, -1
	v_lshlrev_b64 v[0:1], 4, v[0:1]
	s_delay_alu instid0(VALU_DEP_1) | instskip(NEXT) | instid1(VALU_DEP_2)
	v_add_co_u32 v0, vcc_lo, s4, v0
	v_add_co_ci_u32_e32 v1, vcc_lo, s5, v1, vcc_lo
	global_load_b128 v[0:3], v[0:1], off
.LBB130_10:
	s_or_b32 exec_lo, exec_lo, s2
	v_mov_b32_e32 v6, 0
	s_delay_alu instid0(VALU_DEP_1) | instskip(NEXT) | instid1(VALU_DEP_1)
	v_lshlrev_b64 v[4:5], 4, v[5:6]
	v_add_co_u32 v4, vcc_lo, s0, v4
	s_delay_alu instid0(VALU_DEP_2)
	v_add_co_ci_u32_e32 v5, vcc_lo, s1, v5, vcc_lo
	s_waitcnt vmcnt(0)
	global_store_b128 v[4:5], v[0:3], off
.LBB130_11:
	s_nop 0
	s_sendmsg sendmsg(MSG_DEALLOC_VGPRS)
	s_endpgm
	.section	.rodata,"a",@progbits
	.p2align	6, 0x0
	.amdhsa_kernel _ZN9rocsolver6v33100L14copyshift_downI19rocblas_complex_numIdEPS3_EEvbiT0_iilPT_iil
		.amdhsa_group_segment_fixed_size 0
		.amdhsa_private_segment_fixed_size 0
		.amdhsa_kernarg_size 312
		.amdhsa_user_sgpr_count 13
		.amdhsa_user_sgpr_dispatch_ptr 0
		.amdhsa_user_sgpr_queue_ptr 0
		.amdhsa_user_sgpr_kernarg_segment_ptr 1
		.amdhsa_user_sgpr_dispatch_id 0
		.amdhsa_user_sgpr_private_segment_size 0
		.amdhsa_wavefront_size32 1
		.amdhsa_uses_dynamic_stack 0
		.amdhsa_enable_private_segment 0
		.amdhsa_system_sgpr_workgroup_id_x 1
		.amdhsa_system_sgpr_workgroup_id_y 1
		.amdhsa_system_sgpr_workgroup_id_z 1
		.amdhsa_system_sgpr_workgroup_info 0
		.amdhsa_system_vgpr_workitem_id 1
		.amdhsa_next_free_vgpr 12
		.amdhsa_next_free_sgpr 17
		.amdhsa_reserve_vcc 1
		.amdhsa_float_round_mode_32 0
		.amdhsa_float_round_mode_16_64 0
		.amdhsa_float_denorm_mode_32 3
		.amdhsa_float_denorm_mode_16_64 3
		.amdhsa_dx10_clamp 1
		.amdhsa_ieee_mode 1
		.amdhsa_fp16_overflow 0
		.amdhsa_workgroup_processor_mode 1
		.amdhsa_memory_ordered 1
		.amdhsa_forward_progress 0
		.amdhsa_shared_vgpr_count 0
		.amdhsa_exception_fp_ieee_invalid_op 0
		.amdhsa_exception_fp_denorm_src 0
		.amdhsa_exception_fp_ieee_div_zero 0
		.amdhsa_exception_fp_ieee_overflow 0
		.amdhsa_exception_fp_ieee_underflow 0
		.amdhsa_exception_fp_ieee_inexact 0
		.amdhsa_exception_int_div_zero 0
	.end_amdhsa_kernel
	.section	.text._ZN9rocsolver6v33100L14copyshift_downI19rocblas_complex_numIdEPS3_EEvbiT0_iilPT_iil,"axG",@progbits,_ZN9rocsolver6v33100L14copyshift_downI19rocblas_complex_numIdEPS3_EEvbiT0_iilPT_iil,comdat
.Lfunc_end130:
	.size	_ZN9rocsolver6v33100L14copyshift_downI19rocblas_complex_numIdEPS3_EEvbiT0_iilPT_iil, .Lfunc_end130-_ZN9rocsolver6v33100L14copyshift_downI19rocblas_complex_numIdEPS3_EEvbiT0_iilPT_iil
                                        ; -- End function
	.section	.AMDGPU.csdata,"",@progbits
; Kernel info:
; codeLenInByte = 680
; NumSgprs: 19
; NumVgprs: 12
; ScratchSize: 0
; MemoryBound: 0
; FloatMode: 240
; IeeeMode: 1
; LDSByteSize: 0 bytes/workgroup (compile time only)
; SGPRBlocks: 2
; VGPRBlocks: 1
; NumSGPRsForWavesPerEU: 19
; NumVGPRsForWavesPerEU: 12
; Occupancy: 16
; WaveLimiterHint : 0
; COMPUTE_PGM_RSRC2:SCRATCH_EN: 0
; COMPUTE_PGM_RSRC2:USER_SGPR: 13
; COMPUTE_PGM_RSRC2:TRAP_HANDLER: 0
; COMPUTE_PGM_RSRC2:TGID_X_EN: 1
; COMPUTE_PGM_RSRC2:TGID_Y_EN: 1
; COMPUTE_PGM_RSRC2:TGID_Z_EN: 1
; COMPUTE_PGM_RSRC2:TIDIG_COMP_CNT: 1
	.section	.text._ZN9rocsolver6v33100L10bdsqr_initI19rocblas_complex_numIdEdEEviPT0_lS5_lPiiS4_S4_S6_S5_lS6_,"axG",@progbits,_ZN9rocsolver6v33100L10bdsqr_initI19rocblas_complex_numIdEdEEviPT0_lS5_lPiiS4_S4_S6_S5_lS6_,comdat
	.globl	_ZN9rocsolver6v33100L10bdsqr_initI19rocblas_complex_numIdEdEEviPT0_lS5_lPiiS4_S4_S6_S5_lS6_ ; -- Begin function _ZN9rocsolver6v33100L10bdsqr_initI19rocblas_complex_numIdEdEEviPT0_lS5_lPiiS4_S4_S6_S5_lS6_
	.p2align	8
	.type	_ZN9rocsolver6v33100L10bdsqr_initI19rocblas_complex_numIdEdEEviPT0_lS5_lPiiS4_S4_S6_S5_lS6_,@function
_ZN9rocsolver6v33100L10bdsqr_initI19rocblas_complex_numIdEdEEviPT0_lS5_lPiiS4_S4_S6_S5_lS6_: ; @_ZN9rocsolver6v33100L10bdsqr_initI19rocblas_complex_numIdEdEEviPT0_lS5_lPiiS4_S4_S6_S5_lS6_
; %bb.0:
	s_mov_b32 s8, s15
	s_clause 0x1
	s_load_b32 s2, s[0:1], 0x0
	s_load_b256 s[12:19], s[0:1], 0x8
	s_ashr_i32 s9, s8, 31
	s_waitcnt lgkmcnt(0)
	s_ashr_i32 s3, s2, 31
	s_mul_i32 s5, s8, s15
	s_mul_hi_u32 s6, s8, s14
	s_mul_i32 s7, s9, s14
	s_add_i32 s5, s6, s5
	s_mul_i32 s4, s8, s14
	s_add_i32 s5, s5, s7
	s_mul_i32 s6, s8, s19
	s_lshl_b64 s[4:5], s[4:5], 3
	s_mul_hi_u32 s7, s8, s18
	s_add_u32 s12, s12, s4
	s_mul_i32 s10, s9, s18
	s_addc_u32 s13, s13, s5
	s_add_i32 s5, s7, s6
	s_mul_i32 s4, s8, s18
	s_add_i32 s5, s5, s10
	s_load_b64 s[14:15], s[0:1], 0x28
	s_lshl_b64 s[4:5], s[4:5], 3
	v_cmp_lt_i64_e64 s7, s[2:3], 2
	s_add_u32 s16, s16, s4
	s_addc_u32 s17, s17, s5
	s_lshl_b64 s[4:5], s[2:3], 3
	v_cmp_gt_i64_e64 s18, s[2:3], 1
	s_add_u32 s10, s12, s4
	s_addc_u32 s11, s13, s5
	s_add_u32 s4, s10, -8
	s_addc_u32 s5, s11, -1
	s_clause 0x1
	s_load_b64 s[20:21], s[12:13], 0x0
	s_load_b64 s[4:5], s[4:5], 0x0
	s_waitcnt lgkmcnt(0)
	v_cmp_ge_f64_e64 s6, s[20:21], s[4:5]
	s_delay_alu instid0(VALU_DEP_1) | instskip(SKIP_3) | instid1(SALU_CYCLE_1)
	s_and_b32 s3, s6, exec_lo
	s_cselect_b32 s3, s21, s5
	s_cselect_b32 s4, s20, s4
	s_and_b32 s5, s3, 0x7fffffff
	v_dual_mov_b32 v0, s4 :: v_dual_mov_b32 v1, s5
	s_and_b32 vcc_lo, exec_lo, s7
	s_cbranch_vccnz .LBB131_3
; %bb.1:
	v_dual_mov_b32 v0, s4 :: v_dual_mov_b32 v1, s5
	v_dual_mov_b32 v2, s4 :: v_dual_mov_b32 v3, s5
	s_add_i32 s3, s2, -2
	s_mov_b32 s4, 1
.LBB131_2:                              ; =>This Inner Loop Header: Depth=1
	s_and_b32 s5, s6, exec_lo
	s_cselect_b32 s20, s4, s3
	s_add_i32 s5, s4, -1
	s_and_b32 s7, s6, exec_lo
	s_cselect_b32 s22, s5, s3
	s_delay_alu instid0(SALU_CYCLE_1) | instskip(NEXT) | instid1(SALU_CYCLE_1)
	s_ashr_i32 s23, s22, 31
	s_lshl_b64 s[22:23], s[22:23], 3
	s_delay_alu instid0(SALU_CYCLE_1) | instskip(SKIP_4) | instid1(SALU_CYCLE_1)
	s_add_u32 s22, s16, s22
	s_addc_u32 s23, s17, s23
	s_ashr_i32 s21, s20, 31
	s_load_b64 s[22:23], s[22:23], 0x0
	s_lshl_b64 s[20:21], s[20:21], 3
	s_add_u32 s20, s12, s20
	s_addc_u32 s21, s13, s21
	s_add_i32 s4, s4, 1
	s_load_b64 s[20:21], s[20:21], 0x0
	s_add_i32 s3, s3, -1
	s_cmp_lg_u32 s4, s2
	s_waitcnt lgkmcnt(0)
	v_add_f64 v[4:5], v[2:3], |s[22:23]|
	s_delay_alu instid0(VALU_DEP_1) | instskip(SKIP_1) | instid1(VALU_DEP_2)
	v_div_scale_f64 v[6:7], null, v[4:5], v[4:5], v[2:3]
	v_div_scale_f64 v[12:13], vcc_lo, v[2:3], v[4:5], v[2:3]
	v_rcp_f64_e32 v[8:9], v[6:7]
	s_waitcnt_depctr 0xfff
	v_fma_f64 v[10:11], -v[6:7], v[8:9], 1.0
	s_delay_alu instid0(VALU_DEP_1) | instskip(NEXT) | instid1(VALU_DEP_1)
	v_fma_f64 v[8:9], v[8:9], v[10:11], v[8:9]
	v_fma_f64 v[10:11], -v[6:7], v[8:9], 1.0
	s_delay_alu instid0(VALU_DEP_1) | instskip(NEXT) | instid1(VALU_DEP_1)
	v_fma_f64 v[8:9], v[8:9], v[10:11], v[8:9]
	v_mul_f64 v[10:11], v[12:13], v[8:9]
	s_delay_alu instid0(VALU_DEP_1) | instskip(NEXT) | instid1(VALU_DEP_1)
	v_fma_f64 v[6:7], -v[6:7], v[10:11], v[12:13]
	v_div_fmas_f64 v[6:7], v[6:7], v[8:9], v[10:11]
	s_delay_alu instid0(VALU_DEP_1) | instskip(NEXT) | instid1(VALU_DEP_1)
	v_div_fixup_f64 v[2:3], v[6:7], v[4:5], v[2:3]
	v_mul_f64 v[2:3], |s[20:21]|, v[2:3]
	s_delay_alu instid0(VALU_DEP_1)
	v_cmp_lt_f64_e32 vcc_lo, v[2:3], v[0:1]
	v_dual_cndmask_b32 v1, v1, v3 :: v_dual_cndmask_b32 v0, v0, v2
	s_cbranch_scc1 .LBB131_2
.LBB131_3:
	v_cvt_f64_i32_e32 v[2:3], s2
	s_clause 0x1
	s_load_b256 s[24:31], s[0:1], 0x38
	s_load_b128 s[4:7], s[0:1], 0x58
	s_lshl_b32 s23, s2, 1
	s_load_b32 s0, s[0:1], 0x30
	s_mul_i32 s20, s23, s8
	s_delay_alu instid0(SALU_CYCLE_1) | instskip(NEXT) | instid1(SALU_CYCLE_1)
	s_ashr_i32 s21, s20, 31
	s_lshl_b64 s[34:35], s[20:21], 2
	s_mov_b32 s20, 0
	s_waitcnt lgkmcnt(0)
	s_add_u32 s21, s28, s34
	s_mul_i32 s3, s8, s5
	s_mul_hi_u32 s5, s8, s4
	s_mul_i32 s19, s9, s4
	s_addc_u32 s22, s29, s35
	s_add_i32 s3, s5, s3
	s_mul_i32 s4, s8, s4
	s_add_i32 s5, s3, s19
	s_delay_alu instid0(SALU_CYCLE_1) | instskip(NEXT) | instid1(SALU_CYCLE_1)
	s_lshl_b64 s[4:5], s[4:5], 3
	s_add_u32 s4, s30, s4
	s_addc_u32 s5, s31, s5
	s_add_i32 s3, s2, -1
	s_delay_alu instid0(VALU_DEP_1) | instskip(SKIP_3) | instid1(VALU_DEP_1)
	v_cmp_gt_f64_e32 vcc_lo, 0x10000000, v[2:3]
	v_cndmask_b32_e64 v4, 0, 1, vcc_lo
	s_and_b32 s19, vcc_lo, exec_lo
	s_cselect_b32 s19, 0xffffff80, 0
	v_lshlrev_b32_e32 v4, 8, v4
	s_delay_alu instid0(VALU_DEP_1) | instskip(NEXT) | instid1(VALU_DEP_1)
	v_ldexp_f64 v[2:3], v[2:3], v4
	v_rsq_f64_e32 v[4:5], v[2:3]
	v_cmp_class_f64_e64 vcc_lo, v[2:3], 0x260
	s_waitcnt_depctr 0xfff
	v_mul_f64 v[6:7], v[2:3], v[4:5]
	v_mul_f64 v[4:5], v[4:5], 0.5
	s_delay_alu instid0(VALU_DEP_1) | instskip(NEXT) | instid1(VALU_DEP_1)
	v_fma_f64 v[8:9], -v[4:5], v[6:7], 0.5
	v_fma_f64 v[6:7], v[6:7], v[8:9], v[6:7]
	v_fma_f64 v[4:5], v[4:5], v[8:9], v[4:5]
	s_delay_alu instid0(VALU_DEP_2) | instskip(NEXT) | instid1(VALU_DEP_1)
	v_fma_f64 v[8:9], -v[6:7], v[6:7], v[2:3]
	v_fma_f64 v[6:7], v[8:9], v[4:5], v[6:7]
	s_delay_alu instid0(VALU_DEP_1) | instskip(NEXT) | instid1(VALU_DEP_1)
	v_fma_f64 v[8:9], -v[6:7], v[6:7], v[2:3]
	v_fma_f64 v[4:5], v[8:9], v[4:5], v[6:7]
	v_mul_f64 v[6:7], v[0:1], s[26:27]
	s_delay_alu instid0(VALU_DEP_2) | instskip(NEXT) | instid1(VALU_DEP_1)
	v_ldexp_f64 v[4:5], v[4:5], s19
	v_dual_cndmask_b32 v3, v5, v3 :: v_dual_cndmask_b32 v2, v4, v2
	s_delay_alu instid0(VALU_DEP_1) | instskip(SKIP_1) | instid1(VALU_DEP_2)
	v_div_scale_f64 v[4:5], null, v[2:3], v[2:3], v[6:7]
	v_div_scale_f64 v[12:13], vcc_lo, v[6:7], v[2:3], v[6:7]
	v_rcp_f64_e32 v[8:9], v[4:5]
	s_waitcnt_depctr 0xfff
	v_fma_f64 v[10:11], -v[4:5], v[8:9], 1.0
	s_delay_alu instid0(VALU_DEP_1) | instskip(NEXT) | instid1(VALU_DEP_1)
	v_fma_f64 v[8:9], v[8:9], v[10:11], v[8:9]
	v_fma_f64 v[10:11], -v[4:5], v[8:9], 1.0
	s_delay_alu instid0(VALU_DEP_1) | instskip(NEXT) | instid1(VALU_DEP_1)
	v_fma_f64 v[8:9], v[8:9], v[10:11], v[8:9]
	v_mul_f64 v[10:11], v[12:13], v[8:9]
	s_delay_alu instid0(VALU_DEP_1) | instskip(NEXT) | instid1(VALU_DEP_1)
	v_fma_f64 v[4:5], -v[4:5], v[10:11], v[12:13]
	v_div_fmas_f64 v[4:5], v[4:5], v[8:9], v[10:11]
	v_cvt_f64_i32_e32 v[8:9], s0
	s_delay_alu instid0(VALU_DEP_2) | instskip(NEXT) | instid1(VALU_DEP_2)
	v_div_fixup_f64 v[2:3], v[4:5], v[2:3], v[6:7]
	v_mul_f64 v[5:6], v[8:9], s[24:25]
	v_cndmask_b32_e64 v8, 0, 1, s18
	s_mov_b32 s24, 0
	s_mov_b32 s25, 0
	s_delay_alu instid0(VALU_DEP_2)
	v_cmp_lt_f64_e32 vcc_lo, v[2:3], v[5:6]
	v_dual_mov_b32 v4, 0 :: v_dual_cndmask_b32 v3, v3, v6
	v_cndmask_b32_e32 v2, v2, v5, vcc_lo
	s_and_not1_b32 vcc_lo, exec_lo, s18
	global_store_b128 v4, v[0:3], s[4:5]
	s_cbranch_vccnz .LBB131_20
; %bb.4:
	s_mov_b32 s1, 0
	s_delay_alu instid0(SALU_CYCLE_1) | instskip(SKIP_3) | instid1(SALU_CYCLE_1)
	s_mov_b32 s0, s1
	s_mov_b32 s20, s1
	;; [unrolled: 1-line block ×3, first 2 shown]
	s_lshl_b32 s18, s0, 2
	s_or_b32 s19, s18, 3
	s_delay_alu instid0(SALU_CYCLE_1)
	s_cmp_ge_i32 s19, s23
	s_cbranch_scc1 .LBB131_6
.LBB131_5:
	s_mov_b32 s19, s1
	v_mov_b32_e32 v5, v4
	s_lshl_b64 s[18:19], s[18:19], 2
	v_mov_b32_e32 v6, v4
	v_mov_b32_e32 v7, v4
	s_add_u32 s18, s21, s18
	s_addc_u32 s19, s22, s19
	global_store_b128 v4, v[4:7], s[18:19]
	s_waitcnt_vscnt null, 0x0
	s_waitcnt vmcnt(0)
	buffer_gl1_inv
	buffer_gl0_inv
.LBB131_6:                              ; =>This Inner Loop Header: Depth=1
	s_lshl_b64 s[18:19], s[0:1], 3
	s_delay_alu instid0(SALU_CYCLE_1)
	s_add_u32 s26, s12, s18
	s_addc_u32 s27, s13, s19
	s_add_u32 s18, s16, s18
	global_load_b64 v[5:6], v4, s[26:27]
	s_addc_u32 s19, s17, s19
	global_load_b64 v[0:1], v4, s[18:19]
	s_waitcnt vmcnt(1)
	v_cmp_class_f64_e64 s26, v[5:6], 0x1f8
	s_delay_alu instid0(VALU_DEP_1)
	s_and_b32 vcc_lo, exec_lo, s26
	s_cbranch_vccz .LBB131_19
; %bb.7:                                ;   in Loop: Header=BB131_6 Depth=1
	s_waitcnt vmcnt(0)
	v_cmp_class_f64_e64 s26, v[0:1], 0x1f8
	s_delay_alu instid0(VALU_DEP_1)
	s_and_b32 vcc_lo, exec_lo, s26
	s_cbranch_vccnz .LBB131_9
; %bb.8:                                ;   in Loop: Header=BB131_6 Depth=1
	s_mov_b32 s24, -1
.LBB131_9:                              ;   in Loop: Header=BB131_6 Depth=1
	v_dual_mov_b32 v5, v0 :: v_dual_and_b32 v6, 0x7fffffff, v1
	s_cbranch_execnz .LBB131_11
.LBB131_10:                             ;   in Loop: Header=BB131_6 Depth=1
	s_waitcnt vmcnt(0)
	v_and_b32_e32 v1, 0x7fffffff, v1
	s_mov_b32 s24, -1
	s_delay_alu instid0(VALU_DEP_1)
	v_dual_mov_b32 v6, v1 :: v_dual_mov_b32 v5, v0
.LBB131_11:                             ;   in Loop: Header=BB131_6 Depth=1
	s_delay_alu instid0(VALU_DEP_1)
	v_cmp_lt_f64_e32 vcc_lo, v[5:6], v[2:3]
	s_mov_b32 s27, -1
                                        ; implicit-def: $sgpr26
	s_cbranch_vccz .LBB131_14
; %bb.12:                               ;   in Loop: Header=BB131_6 Depth=1
	s_and_not1_b32 vcc_lo, exec_lo, s27
	s_cbranch_vccz .LBB131_15
.LBB131_13:                             ;   in Loop: Header=BB131_6 Depth=1
	s_cmp_eq_u32 s26, s3
	s_cbranch_scc0 .LBB131_18
	s_branch .LBB131_20
.LBB131_14:                             ;   in Loop: Header=BB131_6 Depth=1
	s_add_i32 s26, s0, 1
	s_cbranch_execnz .LBB131_13
.LBB131_15:                             ;   in Loop: Header=BB131_6 Depth=1
	v_mov_b32_e32 v5, v4
	s_cmp_ge_i32 s25, s0
	global_store_b64 v4, v[4:5], s[18:19]
	s_cbranch_scc1 .LBB131_17
; %bb.16:                               ;   in Loop: Header=BB131_6 Depth=1
	s_lshl_b32 s18, s20, 2
	s_waitcnt vmcnt(0)
	v_dual_mov_b32 v0, s25 :: v_dual_mov_b32 v1, s0
	s_ashr_i32 s19, s18, 31
	s_delay_alu instid0(SALU_CYCLE_1) | instskip(NEXT) | instid1(SALU_CYCLE_1)
	s_lshl_b64 s[18:19], s[18:19], 2
	s_add_u32 s18, s21, s18
	s_addc_u32 s19, s22, s19
	s_add_i32 s20, s20, 1
	global_store_b64 v4, v[0:1], s[18:19] offset:4
.LBB131_17:                             ;   in Loop: Header=BB131_6 Depth=1
	s_add_i32 s25, s0, 1
	s_delay_alu instid0(SALU_CYCLE_1) | instskip(NEXT) | instid1(SALU_CYCLE_1)
	s_mov_b32 s26, s25
	s_cmp_eq_u32 s26, s3
	s_cbranch_scc1 .LBB131_20
.LBB131_18:                             ;   in Loop: Header=BB131_6 Depth=1
	s_mov_b32 s0, s26
	s_delay_alu instid0(SALU_CYCLE_1) | instskip(NEXT) | instid1(SALU_CYCLE_1)
	s_lshl_b32 s18, s0, 2
	s_or_b32 s19, s18, 3
	s_delay_alu instid0(SALU_CYCLE_1)
	s_cmp_ge_i32 s19, s23
	s_cbranch_scc0 .LBB131_5
	s_branch .LBB131_6
.LBB131_19:                             ;   in Loop: Header=BB131_6 Depth=1
                                        ; implicit-def: $sgpr24
                                        ; implicit-def: $vgpr5_vgpr6
	s_branch .LBB131_10
.LBB131_20:
	v_mov_b32_e32 v2, 0
	s_cmp_lt_i32 s25, s3
	global_load_b64 v[0:1], v2, s[10:11] offset:-8
	s_cbranch_scc0 .LBB131_22
; %bb.21:
	s_lshl_b32 s0, s20, 2
	v_dual_mov_b32 v3, s25 :: v_dual_mov_b32 v4, s3
	s_ashr_i32 s1, s0, 31
	s_delay_alu instid0(SALU_CYCLE_1) | instskip(NEXT) | instid1(SALU_CYCLE_1)
	s_lshl_b64 s[0:1], s[0:1], 2
	s_add_u32 s0, s21, s0
	s_addc_u32 s1, s22, s1
	global_store_b64 v2, v[3:4], s[0:1] offset:4
.LBB131_22:
	s_waitcnt vmcnt(0)
	v_cmp_nlg_f64_e64 s0, 0x7ff00000, |v[0:1]|
	s_delay_alu instid0(VALU_DEP_1) | instskip(NEXT) | instid1(SALU_CYCLE_1)
	s_or_b32 s0, s0, s24
	s_and_not1_b32 vcc_lo, exec_lo, s0
	s_mov_b32 s0, -1
	s_cbranch_vccz .LBB131_27
; %bb.23:
	s_add_i32 s1, s20, 1
	v_mov_b32_e32 v2, 0
	v_cvt_f64_i32_e32 v[0:1], s1
	s_lshl_b64 s[18:19], s[8:9], 2
	s_mov_b32 s0, 0
	s_add_u32 s18, s14, s18
	v_mov_b32_e32 v3, v2
	s_addc_u32 s19, s15, s19
	s_cmp_lt_i32 s20, 0
	s_clause 0x1
	global_store_b128 v2, v[0:3], s[4:5] offset:16
	global_store_b32 v2, v2, s[18:19]
	s_cbranch_scc1 .LBB131_27
; %bb.24:
	v_mov_b32_e32 v1, 0
	s_mov_b32 s4, 0
.LBB131_25:                             ; =>This Inner Loop Header: Depth=1
	v_mov_b32_e32 v0, s1
	global_atomic_cmpswap_b32 v1, v2, v[0:1], s[6:7] offset:4 glc
	s_waitcnt vmcnt(0)
	v_cmp_lt_i32_e32 vcc_lo, s20, v1
	s_or_b32 s4, vcc_lo, s4
	s_delay_alu instid0(SALU_CYCLE_1)
	s_and_not1_b32 exec_lo, exec_lo, s4
	s_cbranch_execnz .LBB131_25
; %bb.26:
	s_or_b32 exec_lo, exec_lo, s4
.LBB131_27:
	s_delay_alu instid0(SALU_CYCLE_1)
	s_and_not1_b32 vcc_lo, exec_lo, s0
	s_cbranch_vccnz .LBB131_33
; %bb.28:
	v_cmp_ne_u32_e32 vcc_lo, 1, v8
	s_cbranch_vccnz .LBB131_31
; %bb.29:
	s_mov_b32 s0, 0
	s_mov_b32 s1, 0x7ff80000
	v_mov_b32_e32 v0, s0
	v_dual_mov_b32 v2, 0 :: v_dual_mov_b32 v1, s1
.LBB131_30:                             ; =>This Inner Loop Header: Depth=1
	s_add_i32 s3, s3, -1
	s_clause 0x1
	global_store_b64 v2, v[0:1], s[12:13]
	global_store_b64 v2, v[0:1], s[16:17]
	s_add_u32 s12, s12, 8
	s_addc_u32 s13, s13, 0
	s_add_u32 s16, s16, 8
	s_addc_u32 s17, s17, 0
	s_cmp_eq_u32 s3, 0
	s_cbranch_scc0 .LBB131_30
.LBB131_31:
	s_mov_b32 s0, exec_lo
	v_dual_mov_b32 v0, 0 :: v_dual_mov_b32 v1, 0x7ff80000
	s_lshl_b64 s[4:5], s[8:9], 2
	v_mbcnt_lo_u32_b32 v2, s0, 0
	v_dual_mov_b32 v3, s2 :: v_dual_mov_b32 v4, 2
	s_add_u32 s8, s14, s4
	s_addc_u32 s9, s15, s5
	s_add_u32 s2, s6, s4
	s_addc_u32 s3, s7, s5
	s_clause 0x2
	global_store_b64 v0, v[0:1], s[10:11] offset:-8
	global_store_b32 v0, v3, s[8:9]
	global_store_b32 v0, v4, s[2:3] offset:8
	s_mov_b32 s1, exec_lo
	v_cmpx_eq_u32_e32 0, v2
	s_cbranch_execz .LBB131_33
; %bb.32:
	s_bcnt1_i32_b32 s0, s0
	s_delay_alu instid0(SALU_CYCLE_1)
	v_mov_b32_e32 v1, s0
	global_atomic_add_u32 v0, v1, s[6:7]
.LBB131_33:
	s_nop 0
	s_sendmsg sendmsg(MSG_DEALLOC_VGPRS)
	s_endpgm
	.section	.rodata,"a",@progbits
	.p2align	6, 0x0
	.amdhsa_kernel _ZN9rocsolver6v33100L10bdsqr_initI19rocblas_complex_numIdEdEEviPT0_lS5_lPiiS4_S4_S6_S5_lS6_
		.amdhsa_group_segment_fixed_size 0
		.amdhsa_private_segment_fixed_size 0
		.amdhsa_kernarg_size 104
		.amdhsa_user_sgpr_count 14
		.amdhsa_user_sgpr_dispatch_ptr 0
		.amdhsa_user_sgpr_queue_ptr 0
		.amdhsa_user_sgpr_kernarg_segment_ptr 1
		.amdhsa_user_sgpr_dispatch_id 0
		.amdhsa_user_sgpr_private_segment_size 0
		.amdhsa_wavefront_size32 1
		.amdhsa_uses_dynamic_stack 0
		.amdhsa_enable_private_segment 0
		.amdhsa_system_sgpr_workgroup_id_x 1
		.amdhsa_system_sgpr_workgroup_id_y 1
		.amdhsa_system_sgpr_workgroup_id_z 0
		.amdhsa_system_sgpr_workgroup_info 0
		.amdhsa_system_vgpr_workitem_id 0
		.amdhsa_next_free_vgpr 14
		.amdhsa_next_free_sgpr 36
		.amdhsa_reserve_vcc 1
		.amdhsa_float_round_mode_32 0
		.amdhsa_float_round_mode_16_64 0
		.amdhsa_float_denorm_mode_32 3
		.amdhsa_float_denorm_mode_16_64 3
		.amdhsa_dx10_clamp 1
		.amdhsa_ieee_mode 1
		.amdhsa_fp16_overflow 0
		.amdhsa_workgroup_processor_mode 1
		.amdhsa_memory_ordered 1
		.amdhsa_forward_progress 0
		.amdhsa_shared_vgpr_count 0
		.amdhsa_exception_fp_ieee_invalid_op 0
		.amdhsa_exception_fp_denorm_src 0
		.amdhsa_exception_fp_ieee_div_zero 0
		.amdhsa_exception_fp_ieee_overflow 0
		.amdhsa_exception_fp_ieee_underflow 0
		.amdhsa_exception_fp_ieee_inexact 0
		.amdhsa_exception_int_div_zero 0
	.end_amdhsa_kernel
	.section	.text._ZN9rocsolver6v33100L10bdsqr_initI19rocblas_complex_numIdEdEEviPT0_lS5_lPiiS4_S4_S6_S5_lS6_,"axG",@progbits,_ZN9rocsolver6v33100L10bdsqr_initI19rocblas_complex_numIdEdEEviPT0_lS5_lPiiS4_S4_S6_S5_lS6_,comdat
.Lfunc_end131:
	.size	_ZN9rocsolver6v33100L10bdsqr_initI19rocblas_complex_numIdEdEEviPT0_lS5_lPiiS4_S4_S6_S5_lS6_, .Lfunc_end131-_ZN9rocsolver6v33100L10bdsqr_initI19rocblas_complex_numIdEdEEviPT0_lS5_lPiiS4_S4_S6_S5_lS6_
                                        ; -- End function
	.section	.AMDGPU.csdata,"",@progbits
; Kernel info:
; codeLenInByte = 1780
; NumSgprs: 38
; NumVgprs: 14
; ScratchSize: 0
; MemoryBound: 0
; FloatMode: 240
; IeeeMode: 1
; LDSByteSize: 0 bytes/workgroup (compile time only)
; SGPRBlocks: 4
; VGPRBlocks: 1
; NumSGPRsForWavesPerEU: 38
; NumVGPRsForWavesPerEU: 14
; Occupancy: 16
; WaveLimiterHint : 0
; COMPUTE_PGM_RSRC2:SCRATCH_EN: 0
; COMPUTE_PGM_RSRC2:USER_SGPR: 14
; COMPUTE_PGM_RSRC2:TRAP_HANDLER: 0
; COMPUTE_PGM_RSRC2:TGID_X_EN: 1
; COMPUTE_PGM_RSRC2:TGID_Y_EN: 1
; COMPUTE_PGM_RSRC2:TGID_Z_EN: 0
; COMPUTE_PGM_RSRC2:TIDIG_COMP_CNT: 0
	.section	.text._ZN9rocsolver6v33100L11swap_kernelI19rocblas_complex_numIdEiEEvT0_PT_S4_S6_S4_,"axG",@progbits,_ZN9rocsolver6v33100L11swap_kernelI19rocblas_complex_numIdEiEEvT0_PT_S4_S6_S4_,comdat
	.globl	_ZN9rocsolver6v33100L11swap_kernelI19rocblas_complex_numIdEiEEvT0_PT_S4_S6_S4_ ; -- Begin function _ZN9rocsolver6v33100L11swap_kernelI19rocblas_complex_numIdEiEEvT0_PT_S4_S6_S4_
	.p2align	8
	.type	_ZN9rocsolver6v33100L11swap_kernelI19rocblas_complex_numIdEiEEvT0_PT_S4_S6_S4_,@function
_ZN9rocsolver6v33100L11swap_kernelI19rocblas_complex_numIdEiEEvT0_PT_S4_S6_S4_: ; @_ZN9rocsolver6v33100L11swap_kernelI19rocblas_complex_numIdEiEEvT0_PT_S4_S6_S4_
; %bb.0:
	s_load_b32 s12, s[2:3], 0x0
	s_waitcnt lgkmcnt(0)
	s_cmp_lt_i32 s12, 1
	s_cbranch_scc1 .LBB132_10
; %bb.1:
	s_load_b64 s[6:7], s[0:1], 0x4
	s_clause 0x5
	s_load_b32 s0, s[2:3], 0x34
	s_load_b32 s1, s[2:3], 0x10
	;; [unrolled: 1-line block ×4, first 2 shown]
	s_load_b64 s[4:5], s[2:3], 0x8
	s_load_b64 s[2:3], s[2:3], 0x18
	v_and_b32_e32 v2, 0x3ff, v0
	v_bfe_u32 v3, v0, 10, 10
	v_bfe_u32 v4, v0, 20, 10
	s_waitcnt lgkmcnt(0)
	s_lshr_b32 s6, s6, 16
	s_and_b32 s0, s0, 0xffff
	s_mul_i32 s6, s6, s7
	v_mad_u64_u32 v[0:1], null, s15, s0, v[2:3]
	v_mul_lo_u32 v1, s6, v2
	s_cmp_eq_u32 s1, 1
	v_mul_u32_u24_e32 v2, s7, v3
	s_cselect_b32 s10, -1, 0
	s_cmp_eq_u32 s8, 1
	s_mul_i32 s6, s9, s0
	s_cselect_b32 s7, -1, 0
	v_cmp_gt_i32_e64 s0, s12, v0
	v_add3_u32 v5, v1, v2, v4
	s_and_b32 s7, s10, s7
	s_delay_alu instid0(SALU_CYCLE_1)
	s_and_b32 vcc_lo, exec_lo, s7
	s_mov_b32 s7, -1
	s_cbranch_vccnz .LBB132_6
; %bb.2:
	s_and_saveexec_b32 s7, s0
	s_cbranch_execz .LBB132_5
; %bb.3:
	v_mad_i64_i32 v[1:2], null, s8, v0, 0
	v_mad_i64_i32 v[3:4], null, s1, v0, 0
	v_dual_mov_b32 v7, v0 :: v_dual_lshlrev_b32 v6, 4, v5
	s_mul_hi_i32 s9, s8, s6
	s_mul_i32 s8, s8, s6
	s_delay_alu instid0(VALU_DEP_3) | instskip(SKIP_1) | instid1(VALU_DEP_3)
	v_lshlrev_b64 v[1:2], 4, v[1:2]
	s_mul_hi_i32 s11, s1, s6
	v_lshlrev_b64 v[3:4], 4, v[3:4]
	s_mul_i32 s10, s1, s6
	s_lshl_b64 s[8:9], s[8:9], 4
	s_lshl_b64 s[10:11], s[10:11], 4
	v_add_co_u32 v1, vcc_lo, s2, v1
	v_add_co_ci_u32_e32 v2, vcc_lo, s3, v2, vcc_lo
	v_add_co_u32 v3, vcc_lo, s4, v3
	v_add_co_ci_u32_e32 v4, vcc_lo, s5, v4, vcc_lo
	s_mov_b32 s13, 0
	.p2align	6
.LBB132_4:                              ; =>This Inner Loop Header: Depth=1
	global_load_b128 v[8:11], v[3:4], off
	global_load_b128 v[12:15], v[1:2], off
	v_add_nc_u32_e32 v7, s6, v7
	s_waitcnt vmcnt(1)
	global_store_b128 v[1:2], v[8:11], off
	s_waitcnt vmcnt(0)
	global_store_b128 v[3:4], v[12:15], off
	v_add_co_u32 v1, s1, v1, s8
	s_delay_alu instid0(VALU_DEP_1) | instskip(SKIP_2) | instid1(VALU_DEP_1)
	v_add_co_ci_u32_e64 v2, s1, s9, v2, s1
	v_cmp_le_i32_e32 vcc_lo, s12, v7
	v_add_co_u32 v3, s1, v3, s10
	v_add_co_ci_u32_e64 v4, s1, s11, v4, s1
	s_or_b32 s13, vcc_lo, s13
	ds_store_2addr_b64 v6, v[12:13], v[14:15] offset1:1
	s_and_not1_b32 exec_lo, exec_lo, s13
	s_cbranch_execnz .LBB132_4
.LBB132_5:
	s_or_b32 exec_lo, exec_lo, s7
	s_mov_b32 s7, 0
.LBB132_6:
	s_delay_alu instid0(SALU_CYCLE_1)
	s_and_not1_b32 vcc_lo, exec_lo, s7
	s_cbranch_vccnz .LBB132_10
; %bb.7:
	s_and_saveexec_b32 s1, s0
	s_cbranch_execz .LBB132_10
; %bb.8:
	v_ashrrev_i32_e32 v1, 31, v0
	v_lshl_add_u32 v3, v5, 4, 0x4000
	s_ashr_i32 s7, s6, 31
	s_mov_b32 s1, 0
	s_lshl_b64 s[8:9], s[6:7], 4
	v_lshlrev_b64 v[1:2], 4, v[0:1]
	.p2align	6
.LBB132_9:                              ; =>This Inner Loop Header: Depth=1
	s_delay_alu instid0(VALU_DEP_1) | instskip(NEXT) | instid1(VALU_DEP_2)
	v_add_co_u32 v12, vcc_lo, s2, v1
	v_add_co_ci_u32_e32 v13, vcc_lo, s3, v2, vcc_lo
	v_add_co_u32 v14, vcc_lo, s4, v1
	v_add_co_ci_u32_e32 v15, vcc_lo, s5, v2, vcc_lo
	v_add_nc_u32_e32 v0, s6, v0
	global_load_b128 v[4:7], v[12:13], off
	global_load_b128 v[8:11], v[14:15], off
	v_add_co_u32 v1, s0, v1, s8
	v_cmp_le_i32_e32 vcc_lo, s12, v0
	v_add_co_ci_u32_e64 v2, s0, s9, v2, s0
	s_or_b32 s1, vcc_lo, s1
	s_waitcnt vmcnt(1)
	ds_store_2addr_b64 v3, v[4:5], v[6:7] offset1:1
	s_waitcnt vmcnt(0)
	global_store_b128 v[12:13], v[8:11], off
	global_store_b128 v[14:15], v[4:7], off
	s_and_not1_b32 exec_lo, exec_lo, s1
	s_cbranch_execnz .LBB132_9
.LBB132_10:
	s_nop 0
	s_sendmsg sendmsg(MSG_DEALLOC_VGPRS)
	s_endpgm
	.section	.rodata,"a",@progbits
	.p2align	6, 0x0
	.amdhsa_kernel _ZN9rocsolver6v33100L11swap_kernelI19rocblas_complex_numIdEiEEvT0_PT_S4_S6_S4_
		.amdhsa_group_segment_fixed_size 32768
		.amdhsa_private_segment_fixed_size 0
		.amdhsa_kernarg_size 296
		.amdhsa_user_sgpr_count 15
		.amdhsa_user_sgpr_dispatch_ptr 1
		.amdhsa_user_sgpr_queue_ptr 0
		.amdhsa_user_sgpr_kernarg_segment_ptr 1
		.amdhsa_user_sgpr_dispatch_id 0
		.amdhsa_user_sgpr_private_segment_size 0
		.amdhsa_wavefront_size32 1
		.amdhsa_uses_dynamic_stack 0
		.amdhsa_enable_private_segment 0
		.amdhsa_system_sgpr_workgroup_id_x 1
		.amdhsa_system_sgpr_workgroup_id_y 0
		.amdhsa_system_sgpr_workgroup_id_z 0
		.amdhsa_system_sgpr_workgroup_info 0
		.amdhsa_system_vgpr_workitem_id 2
		.amdhsa_next_free_vgpr 16
		.amdhsa_next_free_sgpr 16
		.amdhsa_reserve_vcc 1
		.amdhsa_float_round_mode_32 0
		.amdhsa_float_round_mode_16_64 0
		.amdhsa_float_denorm_mode_32 3
		.amdhsa_float_denorm_mode_16_64 3
		.amdhsa_dx10_clamp 1
		.amdhsa_ieee_mode 1
		.amdhsa_fp16_overflow 0
		.amdhsa_workgroup_processor_mode 1
		.amdhsa_memory_ordered 1
		.amdhsa_forward_progress 0
		.amdhsa_shared_vgpr_count 0
		.amdhsa_exception_fp_ieee_invalid_op 0
		.amdhsa_exception_fp_denorm_src 0
		.amdhsa_exception_fp_ieee_div_zero 0
		.amdhsa_exception_fp_ieee_overflow 0
		.amdhsa_exception_fp_ieee_underflow 0
		.amdhsa_exception_fp_ieee_inexact 0
		.amdhsa_exception_int_div_zero 0
	.end_amdhsa_kernel
	.section	.text._ZN9rocsolver6v33100L11swap_kernelI19rocblas_complex_numIdEiEEvT0_PT_S4_S6_S4_,"axG",@progbits,_ZN9rocsolver6v33100L11swap_kernelI19rocblas_complex_numIdEiEEvT0_PT_S4_S6_S4_,comdat
.Lfunc_end132:
	.size	_ZN9rocsolver6v33100L11swap_kernelI19rocblas_complex_numIdEiEEvT0_PT_S4_S6_S4_, .Lfunc_end132-_ZN9rocsolver6v33100L11swap_kernelI19rocblas_complex_numIdEiEEvT0_PT_S4_S6_S4_
                                        ; -- End function
	.section	.AMDGPU.csdata,"",@progbits
; Kernel info:
; codeLenInByte = 596
; NumSgprs: 18
; NumVgprs: 16
; ScratchSize: 0
; MemoryBound: 0
; FloatMode: 240
; IeeeMode: 1
; LDSByteSize: 32768 bytes/workgroup (compile time only)
; SGPRBlocks: 2
; VGPRBlocks: 1
; NumSGPRsForWavesPerEU: 18
; NumVGPRsForWavesPerEU: 16
; Occupancy: 16
; WaveLimiterHint : 0
; COMPUTE_PGM_RSRC2:SCRATCH_EN: 0
; COMPUTE_PGM_RSRC2:USER_SGPR: 15
; COMPUTE_PGM_RSRC2:TRAP_HANDLER: 0
; COMPUTE_PGM_RSRC2:TGID_X_EN: 1
; COMPUTE_PGM_RSRC2:TGID_Y_EN: 0
; COMPUTE_PGM_RSRC2:TGID_Z_EN: 0
; COMPUTE_PGM_RSRC2:TIDIG_COMP_CNT: 2
	.section	.text._ZN9rocsolver6v33100L10rot_kernelId19rocblas_complex_numIdEiEEvT1_PT0_S4_S6_S4_T_S7_,"axG",@progbits,_ZN9rocsolver6v33100L10rot_kernelId19rocblas_complex_numIdEiEEvT1_PT0_S4_S6_S4_T_S7_,comdat
	.globl	_ZN9rocsolver6v33100L10rot_kernelId19rocblas_complex_numIdEiEEvT1_PT0_S4_S6_S4_T_S7_ ; -- Begin function _ZN9rocsolver6v33100L10rot_kernelId19rocblas_complex_numIdEiEEvT1_PT0_S4_S6_S4_T_S7_
	.p2align	8
	.type	_ZN9rocsolver6v33100L10rot_kernelId19rocblas_complex_numIdEiEEvT1_PT0_S4_S6_S4_T_S7_,@function
_ZN9rocsolver6v33100L10rot_kernelId19rocblas_complex_numIdEiEEvT1_PT0_S4_S6_S4_T_S7_: ; @_ZN9rocsolver6v33100L10rot_kernelId19rocblas_complex_numIdEiEEvT1_PT0_S4_S6_S4_T_S7_
; %bb.0:
	s_load_b32 s16, s[0:1], 0x0
	s_waitcnt lgkmcnt(0)
	s_cmp_lt_i32 s16, 1
	s_cbranch_scc1 .LBB133_10
; %bb.1:
	s_clause 0x6
	s_load_b32 s10, s[0:1], 0x44
	s_load_b32 s12, s[0:1], 0x10
	s_load_b32 s13, s[0:1], 0x20
	s_load_b32 s11, s[0:1], 0x38
	s_load_b128 s[4:7], s[0:1], 0x28
	s_load_b64 s[2:3], s[0:1], 0x8
	s_load_b64 s[8:9], s[0:1], 0x18
	s_waitcnt lgkmcnt(0)
	s_and_b32 s0, s10, 0xffff
	s_cmp_eq_u32 s12, 1
	v_mad_u64_u32 v[1:2], null, s15, s0, v[0:1]
	s_cselect_b32 s1, -1, 0
	s_cmp_eq_u32 s13, 1
	s_mul_i32 s10, s11, s0
	s_cselect_b32 s14, -1, 0
	s_delay_alu instid0(SALU_CYCLE_1) | instskip(NEXT) | instid1(VALU_DEP_1)
	s_and_b32 s1, s1, s14
	v_cmp_gt_i32_e64 s0, s16, v1
	s_and_b32 vcc_lo, exec_lo, s1
	s_mov_b32 s1, -1
	s_cbranch_vccnz .LBB133_6
; %bb.2:
	s_delay_alu instid0(VALU_DEP_1)
	s_and_saveexec_b32 s11, s0
	s_cbranch_execz .LBB133_5
; %bb.3:
	v_mad_i64_i32 v[2:3], null, s13, v1, 0
	v_mad_i64_i32 v[4:5], null, s12, v1, 0
	s_mul_hi_i32 s15, s13, s10
	s_mul_i32 s14, s13, s10
	s_mul_hi_i32 s19, s12, s10
	s_mul_i32 s18, s12, s10
	s_delay_alu instid0(VALU_DEP_2) | instskip(SKIP_1) | instid1(VALU_DEP_2)
	v_lshlrev_b64 v[2:3], 4, v[2:3]
	s_lshl_b64 s[12:13], s[14:15], 4
	v_lshlrev_b64 v[4:5], 4, v[4:5]
	s_lshl_b64 s[14:15], s[18:19], 4
	s_mov_b32 s17, 0
	s_delay_alu instid0(VALU_DEP_2) | instskip(SKIP_1) | instid1(VALU_DEP_3)
	v_add_co_u32 v0, vcc_lo, v2, s8
	v_add_co_ci_u32_e32 v3, vcc_lo, s9, v3, vcc_lo
	v_add_co_u32 v4, vcc_lo, v4, s2
	v_add_co_ci_u32_e32 v5, vcc_lo, s3, v5, vcc_lo
	s_delay_alu instid0(VALU_DEP_4) | instskip(NEXT) | instid1(VALU_DEP_4)
	v_add_co_u32 v2, vcc_lo, v0, 8
	v_add_co_ci_u32_e32 v3, vcc_lo, 0, v3, vcc_lo
	s_delay_alu instid0(VALU_DEP_4) | instskip(NEXT) | instid1(VALU_DEP_4)
	v_add_co_u32 v4, vcc_lo, v4, 8
	v_add_co_ci_u32_e32 v5, vcc_lo, 0, v5, vcc_lo
	v_mov_b32_e32 v0, v1
	s_set_inst_prefetch_distance 0x1
	.p2align	6
.LBB133_4:                              ; =>This Inner Loop Header: Depth=1
	global_load_b128 v[6:9], v[2:3], off offset:-8
	global_load_b128 v[10:13], v[4:5], off offset:-8
	v_add_nc_u32_e32 v0, s10, v0
	s_delay_alu instid0(VALU_DEP_1)
	v_cmp_le_i32_e32 vcc_lo, s16, v0
	s_or_b32 s17, vcc_lo, s17
	s_waitcnt vmcnt(1)
	v_mul_f64 v[14:15], v[6:7], s[6:7]
	s_waitcnt vmcnt(0)
	v_mul_f64 v[16:17], v[10:11], s[6:7]
	v_mul_f64 v[18:19], v[12:13], s[6:7]
	;; [unrolled: 1-line block ×3, first 2 shown]
	s_delay_alu instid0(VALU_DEP_4) | instskip(NEXT) | instid1(VALU_DEP_4)
	v_fma_f64 v[10:11], v[10:11], s[4:5], v[14:15]
	v_fma_f64 v[6:7], v[6:7], s[4:5], -v[16:17]
	s_delay_alu instid0(VALU_DEP_4) | instskip(NEXT) | instid1(VALU_DEP_4)
	v_fma_f64 v[8:9], v[8:9], s[4:5], -v[18:19]
	v_fma_f64 v[12:13], v[12:13], s[4:5], v[20:21]
	global_store_b128 v[2:3], v[6:9], off offset:-8
	global_store_b128 v[4:5], v[10:13], off offset:-8
	v_add_co_u32 v2, s1, v2, s12
	s_delay_alu instid0(VALU_DEP_1) | instskip(SKIP_1) | instid1(VALU_DEP_1)
	v_add_co_ci_u32_e64 v3, s1, s13, v3, s1
	v_add_co_u32 v4, s1, v4, s14
	v_add_co_ci_u32_e64 v5, s1, s15, v5, s1
	s_and_not1_b32 exec_lo, exec_lo, s17
	s_cbranch_execnz .LBB133_4
.LBB133_5:
	s_set_inst_prefetch_distance 0x2
	s_or_b32 exec_lo, exec_lo, s11
	s_mov_b32 s1, 0
.LBB133_6:
	s_delay_alu instid0(SALU_CYCLE_1)
	s_and_not1_b32 vcc_lo, exec_lo, s1
	s_cbranch_vccnz .LBB133_10
; %bb.7:
	s_and_saveexec_b32 s1, s0
	s_cbranch_execz .LBB133_10
; %bb.8:
	v_ashrrev_i32_e32 v2, 31, v1
	s_ashr_i32 s11, s10, 31
	s_mov_b32 s1, 0
	s_lshl_b64 s[12:13], s[10:11], 4
	s_delay_alu instid0(VALU_DEP_1)
	v_lshlrev_b64 v[2:3], 4, v[1:2]
	s_set_inst_prefetch_distance 0x1
	.p2align	6
.LBB133_9:                              ; =>This Inner Loop Header: Depth=1
	s_delay_alu instid0(VALU_DEP_1) | instskip(NEXT) | instid1(VALU_DEP_2)
	v_add_co_u32 v12, vcc_lo, s8, v2
	v_add_co_ci_u32_e32 v13, vcc_lo, s9, v3, vcc_lo
	v_add_co_u32 v14, vcc_lo, s2, v2
	v_add_co_ci_u32_e32 v15, vcc_lo, s3, v3, vcc_lo
	v_add_nc_u32_e32 v1, s10, v1
	global_load_b128 v[4:7], v[12:13], off
	global_load_b128 v[8:11], v[14:15], off
	v_add_co_u32 v2, s0, v2, s12
	v_cmp_le_i32_e32 vcc_lo, s16, v1
	v_add_co_ci_u32_e64 v3, s0, s13, v3, s0
	s_or_b32 s1, vcc_lo, s1
	s_waitcnt vmcnt(1)
	v_mul_f64 v[16:17], v[4:5], s[6:7]
	s_waitcnt vmcnt(0)
	v_mul_f64 v[18:19], v[8:9], s[6:7]
	v_mul_f64 v[20:21], v[10:11], s[6:7]
	;; [unrolled: 1-line block ×3, first 2 shown]
	s_delay_alu instid0(VALU_DEP_4) | instskip(NEXT) | instid1(VALU_DEP_4)
	v_fma_f64 v[8:9], v[8:9], s[4:5], v[16:17]
	v_fma_f64 v[4:5], v[4:5], s[4:5], -v[18:19]
	s_delay_alu instid0(VALU_DEP_4) | instskip(NEXT) | instid1(VALU_DEP_4)
	v_fma_f64 v[6:7], v[6:7], s[4:5], -v[20:21]
	v_fma_f64 v[10:11], v[10:11], s[4:5], v[22:23]
	global_store_b128 v[12:13], v[4:7], off
	global_store_b128 v[14:15], v[8:11], off
	s_and_not1_b32 exec_lo, exec_lo, s1
	s_cbranch_execnz .LBB133_9
.LBB133_10:
	s_set_inst_prefetch_distance 0x2
	s_nop 0
	s_sendmsg sendmsg(MSG_DEALLOC_VGPRS)
	s_endpgm
	.section	.rodata,"a",@progbits
	.p2align	6, 0x0
	.amdhsa_kernel _ZN9rocsolver6v33100L10rot_kernelId19rocblas_complex_numIdEiEEvT1_PT0_S4_S6_S4_T_S7_
		.amdhsa_group_segment_fixed_size 0
		.amdhsa_private_segment_fixed_size 0
		.amdhsa_kernarg_size 312
		.amdhsa_user_sgpr_count 15
		.amdhsa_user_sgpr_dispatch_ptr 0
		.amdhsa_user_sgpr_queue_ptr 0
		.amdhsa_user_sgpr_kernarg_segment_ptr 1
		.amdhsa_user_sgpr_dispatch_id 0
		.amdhsa_user_sgpr_private_segment_size 0
		.amdhsa_wavefront_size32 1
		.amdhsa_uses_dynamic_stack 0
		.amdhsa_enable_private_segment 0
		.amdhsa_system_sgpr_workgroup_id_x 1
		.amdhsa_system_sgpr_workgroup_id_y 0
		.amdhsa_system_sgpr_workgroup_id_z 0
		.amdhsa_system_sgpr_workgroup_info 0
		.amdhsa_system_vgpr_workitem_id 0
		.amdhsa_next_free_vgpr 24
		.amdhsa_next_free_sgpr 20
		.amdhsa_reserve_vcc 1
		.amdhsa_float_round_mode_32 0
		.amdhsa_float_round_mode_16_64 0
		.amdhsa_float_denorm_mode_32 3
		.amdhsa_float_denorm_mode_16_64 3
		.amdhsa_dx10_clamp 1
		.amdhsa_ieee_mode 1
		.amdhsa_fp16_overflow 0
		.amdhsa_workgroup_processor_mode 1
		.amdhsa_memory_ordered 1
		.amdhsa_forward_progress 0
		.amdhsa_shared_vgpr_count 0
		.amdhsa_exception_fp_ieee_invalid_op 0
		.amdhsa_exception_fp_denorm_src 0
		.amdhsa_exception_fp_ieee_div_zero 0
		.amdhsa_exception_fp_ieee_overflow 0
		.amdhsa_exception_fp_ieee_underflow 0
		.amdhsa_exception_fp_ieee_inexact 0
		.amdhsa_exception_int_div_zero 0
	.end_amdhsa_kernel
	.section	.text._ZN9rocsolver6v33100L10rot_kernelId19rocblas_complex_numIdEiEEvT1_PT0_S4_S6_S4_T_S7_,"axG",@progbits,_ZN9rocsolver6v33100L10rot_kernelId19rocblas_complex_numIdEiEEvT1_PT0_S4_S6_S4_T_S7_,comdat
.Lfunc_end133:
	.size	_ZN9rocsolver6v33100L10rot_kernelId19rocblas_complex_numIdEiEEvT1_PT0_S4_S6_S4_T_S7_, .Lfunc_end133-_ZN9rocsolver6v33100L10rot_kernelId19rocblas_complex_numIdEiEEvT1_PT0_S4_S6_S4_T_S7_
                                        ; -- End function
	.section	.AMDGPU.csdata,"",@progbits
; Kernel info:
; codeLenInByte = 720
; NumSgprs: 22
; NumVgprs: 24
; ScratchSize: 0
; MemoryBound: 0
; FloatMode: 240
; IeeeMode: 1
; LDSByteSize: 0 bytes/workgroup (compile time only)
; SGPRBlocks: 2
; VGPRBlocks: 2
; NumSGPRsForWavesPerEU: 22
; NumVGPRsForWavesPerEU: 24
; Occupancy: 16
; WaveLimiterHint : 0
; COMPUTE_PGM_RSRC2:SCRATCH_EN: 0
; COMPUTE_PGM_RSRC2:USER_SGPR: 15
; COMPUTE_PGM_RSRC2:TRAP_HANDLER: 0
; COMPUTE_PGM_RSRC2:TGID_X_EN: 1
; COMPUTE_PGM_RSRC2:TGID_Y_EN: 0
; COMPUTE_PGM_RSRC2:TGID_Z_EN: 0
; COMPUTE_PGM_RSRC2:TIDIG_COMP_CNT: 0
	.section	.text._ZN9rocsolver6v33100L11lasr_kernelI19rocblas_complex_numIdEdPS3_iEEv13rocblas_side_14rocblas_pivot_15rocblas_direct_T2_S8_PT0_lSA_lT1_lS8_lS8_,"axG",@progbits,_ZN9rocsolver6v33100L11lasr_kernelI19rocblas_complex_numIdEdPS3_iEEv13rocblas_side_14rocblas_pivot_15rocblas_direct_T2_S8_PT0_lSA_lT1_lS8_lS8_,comdat
	.globl	_ZN9rocsolver6v33100L11lasr_kernelI19rocblas_complex_numIdEdPS3_iEEv13rocblas_side_14rocblas_pivot_15rocblas_direct_T2_S8_PT0_lSA_lT1_lS8_lS8_ ; -- Begin function _ZN9rocsolver6v33100L11lasr_kernelI19rocblas_complex_numIdEdPS3_iEEv13rocblas_side_14rocblas_pivot_15rocblas_direct_T2_S8_PT0_lSA_lT1_lS8_lS8_
	.p2align	8
	.type	_ZN9rocsolver6v33100L11lasr_kernelI19rocblas_complex_numIdEdPS3_iEEv13rocblas_side_14rocblas_pivot_15rocblas_direct_T2_S8_PT0_lSA_lT1_lS8_lS8_,@function
_ZN9rocsolver6v33100L11lasr_kernelI19rocblas_complex_numIdEdPS3_iEEv13rocblas_side_14rocblas_pivot_15rocblas_direct_T2_S8_PT0_lSA_lT1_lS8_lS8_: ; @_ZN9rocsolver6v33100L11lasr_kernelI19rocblas_complex_numIdEdPS3_iEEv13rocblas_side_14rocblas_pivot_15rocblas_direct_T2_S8_PT0_lSA_lT1_lS8_lS8_
; %bb.0:
	s_load_b32 s33, s[0:1], 0x58
	s_waitcnt lgkmcnt(0)
	s_cmp_ge_u32 s15, s33
	s_cbranch_scc1 .LBB134_98
; %bb.1:
	s_clause 0x5
	s_load_b32 s12, s[0:1], 0x48
	s_load_b128 s[20:23], s[0:1], 0x38
	s_load_b64 s[24:25], s[0:1], 0x68
	s_load_b128 s[16:19], s[0:1], 0x0
	s_load_b32 s52, s[0:1], 0x10
	s_load_b32 s28, s[0:1], 0x60
	s_mov_b32 s43, 0
	v_mov_b32_e32 v38, 0
	s_mov_b32 s45, s43
	s_waitcnt lgkmcnt(0)
	s_ashr_i32 s13, s12, 31
	s_lshl_b64 s[2:3], s[22:23], 4
	s_and_b32 s26, s25, 0xffff
	s_add_u32 s25, s20, s2
	s_addc_u32 s53, s21, s3
	s_cmpk_lg_i32 s16, 0x8d
	v_mad_u64_u32 v[4:5], null, s14, s26, v[0:1]
	s_cselect_b32 s27, -1, 0
	s_cmpk_lg_i32 s16, 0x8e
	s_mov_b32 s22, s19
	s_cselect_b32 s30, -1, 0
	s_cmpk_lg_i32 s17, 0x119
	s_cselect_b32 s29, -1, 0
	s_cmpk_lg_i32 s17, 0x11b
	v_mad_i64_i32 v[0:1], null, s12, v4, 0
	s_cselect_b32 s31, -1, 0
	s_cmpk_lg_i32 s17, 0x11a
	s_load_b64 s[16:17], s[0:1], 0x50
	s_cselect_b32 s34, -1, 0
	s_cmpk_lg_i32 s18, 0xab
	s_mul_i32 s26, s28, s26
	s_cselect_b32 s35, -1, 0
	s_or_b32 s36, s27, s29
	s_ashr_i32 s23, s19, 31
	s_or_b32 s4, s36, s35
	s_add_i32 s42, s19, -2
	s_xor_b32 s14, s4, -1
	s_cmpk_lg_i32 s18, 0xac
	s_load_b256 s[4:11], s[0:1], 0x18
	s_cselect_b32 s37, -1, 0
	v_cmp_le_i32_e32 vcc_lo, s19, v4
	s_or_b32 s0, s36, s37
	v_lshlrev_b64 v[0:1], 4, v[0:1]
	s_xor_b32 s18, s0, -1
	s_cmp_gt_i32 s19, 1
	v_ashrrev_i32_e32 v5, 31, v4
	s_cselect_b32 s54, -1, 0
	s_or_b32 s1, s27, s34
	s_or_b32 s27, s27, s31
	;; [unrolled: 1-line block ×9, first 2 shown]
	s_xor_b32 s55, s29, -1
	s_xor_b32 s56, s1, -1
	;; [unrolled: 1-line block ×5, first 2 shown]
	s_add_i32 s60, s52, -1
	s_xor_b32 s61, s28, -1
	s_add_i32 s44, s52, -2
	s_cmp_gt_i32 s52, 1
	s_mul_i32 s36, s12, s26
	s_cselect_b32 s62, -1, 0
	s_or_b32 s27, s30, s34
	s_or_b32 s30, s30, s31
	;; [unrolled: 1-line block ×4, first 2 shown]
	s_or_b32 s31, s37, vcc_lo
	s_xor_b32 s64, s27, -1
	s_or_b32 s27, s30, s35
	v_add_co_u32 v0, vcc_lo, s25, v0
	s_xor_b32 s65, s27, -1
	s_or_b32 s27, s30, s31
	s_mul_hi_i32 s37, s12, s26
	s_lshl_b64 s[38:39], s[42:43], 3
	s_xor_b32 s63, s34, -1
	s_xor_b32 s66, s27, -1
	s_add_i32 s30, s19, -1
	s_waitcnt lgkmcnt(0)
	s_lshl_b64 s[10:11], s[10:11], 3
	s_lshl_b64 s[6:7], s[6:7], 3
	v_add_co_ci_u32_e32 v1, vcc_lo, s53, v1, vcc_lo
	s_lshl_b64 s[34:35], s[16:17], 4
	s_ashr_i32 s27, s26, 31
	s_lshl_b64 s[36:37], s[36:37], 4
	s_add_u32 s67, s4, s38
	s_addc_u32 s68, s5, s39
	v_add_co_u32 v16, vcc_lo, v0, 24
	s_add_u32 s69, s8, s38
	s_addc_u32 s70, s9, s39
	s_lshl_b64 s[38:39], s[42:43], 4
	v_add_co_ci_u32_e32 v17, vcc_lo, 0, v1, vcc_lo
	v_add_co_u32 v18, vcc_lo, v0, s38
	v_add_co_ci_u32_e32 v19, vcc_lo, s39, v1, vcc_lo
	v_add_co_u32 v20, vcc_lo, v0, 16
	v_add_co_ci_u32_e32 v21, vcc_lo, 0, v1, vcc_lo
	v_add_co_u32 v22, vcc_lo, v0, 8
	s_mov_b32 s31, s43
	v_add_co_ci_u32_e32 v23, vcc_lo, 0, v1, vcc_lo
	s_lshl_b64 s[38:39], s[30:31], 4
	v_lshlrev_b64 v[0:1], 4, v[4:5]
	v_add_co_u32 v24, vcc_lo, v22, s38
	s_mul_i32 s31, s13, s44
	s_mul_hi_u32 s38, s12, s44
	v_add_co_ci_u32_e32 v25, vcc_lo, s39, v23, vcc_lo
	s_add_i32 s41, s38, s31
	s_mul_i32 s40, s12, s44
	v_add_co_u32 v26, vcc_lo, v18, 8
	s_lshl_b64 s[46:47], s[40:41], 4
	s_add_i32 s71, s19, 1
	v_add_co_ci_u32_e32 v27, vcc_lo, 0, v19, vcc_lo
	s_lshl_b64 s[38:39], s[26:27], 4
	s_lshl_b64 s[40:41], s[12:13], 4
	v_add_co_u32 v2, vcc_lo, s25, v0
	s_add_u32 s27, s46, s2
	s_mul_i32 s28, s12, s60
	s_addc_u32 s31, s47, s3
	s_mul_i32 s13, s13, s60
	s_mul_hi_u32 s42, s12, s60
	v_add_co_ci_u32_e32 v3, vcc_lo, s53, v1, vcc_lo
	s_add_u32 s27, s20, s27
	s_addc_u32 s31, s21, s31
	s_add_i32 s47, s42, s13
	s_mov_b32 s46, s28
	v_add_co_u32 v28, vcc_lo, v2, 8
	s_lshl_b64 s[42:43], s[46:47], 4
	v_add_co_ci_u32_e32 v29, vcc_lo, 0, v3, vcc_lo
	s_add_u32 s13, s42, s2
	v_add_co_u32 v30, vcc_lo, s27, v0
	s_addc_u32 s27, s43, s3
	s_add_u32 s13, s20, s13
	v_add_co_ci_u32_e32 v31, vcc_lo, s31, v1, vcc_lo
	s_addc_u32 s27, s21, s27
	s_lshl_b64 s[42:43], s[44:45], 3
	v_add_co_u32 v2, vcc_lo, s13, v0
	s_add_u32 s13, s4, s42
	v_add_co_ci_u32_e32 v3, vcc_lo, s27, v1, vcc_lo
	s_addc_u32 s27, s5, s43
	s_add_u32 s31, s8, s42
	s_addc_u32 s72, s9, s43
	s_add_u32 s2, s2, s40
	s_addc_u32 s3, s3, s41
	s_add_u32 s2, s20, s2
	s_addc_u32 s3, s21, s3
	v_add_co_u32 v0, vcc_lo, s2, v0
	v_add_co_ci_u32_e32 v1, vcc_lo, s3, v1, vcc_lo
	v_add_co_u32 v32, vcc_lo, v2, 8
	v_add_co_ci_u32_e32 v33, vcc_lo, 0, v3, vcc_lo
	s_delay_alu instid0(VALU_DEP_4) | instskip(NEXT) | instid1(VALU_DEP_4)
	v_add_co_u32 v34, vcc_lo, v0, 8
	v_add_co_ci_u32_e32 v35, vcc_lo, 0, v1, vcc_lo
	v_add_co_u32 v36, vcc_lo, v30, 8
	v_cmp_gt_i32_e64 s0, s52, v4
	v_cmp_gt_i32_e64 s1, s19, v4
	v_add_co_ci_u32_e32 v37, vcc_lo, 0, v31, vcc_lo
	s_add_i32 s73, s52, 1
	s_sub_u32 s74, 0, s40
	s_mul_hi_i32 s29, s12, s60
	s_subb_u32 s75, 0, s41
	s_branch .LBB134_4
.LBB134_2:                              ;   in Loop: Header=BB134_4 Depth=1
	s_or_b32 exec_lo, exec_lo, s42
.LBB134_3:                              ;   in Loop: Header=BB134_4 Depth=1
	s_add_i32 s15, s15, s24
	s_delay_alu instid0(SALU_CYCLE_1)
	s_cmp_ge_u32 s15, s33
	s_cbranch_scc1 .LBB134_98
.LBB134_4:                              ; =>This Loop Header: Depth=1
                                        ;     Child Loop BB134_8 Depth 2
                                        ;       Child Loop BB134_9 Depth 3
                                        ;     Child Loop BB134_16 Depth 2
                                        ;       Child Loop BB134_17 Depth 3
	;; [unrolled: 2-line block ×12, first 2 shown]
	s_mul_i32 s2, s7, s15
	s_mul_hi_u32 s3, s6, s15
	s_mul_hi_u32 s76, s34, s15
	s_add_i32 s50, s3, s2
	s_mul_i32 s2, s11, s15
	s_mul_hi_u32 s3, s10, s15
	s_mul_i32 s80, s6, s15
	s_add_i32 s51, s3, s2
	s_mul_i32 s2, s35, s15
	s_mul_i32 s81, s10, s15
	s_add_i32 s76, s76, s2
	s_add_u32 s20, s4, s80
	s_addc_u32 s21, s5, s50
	s_mul_i32 s2, s15, s17
	s_mul_hi_u32 s3, s15, s16
	s_add_u32 s42, s8, s81
	s_addc_u32 s43, s9, s51
	s_add_i32 s3, s3, s2
	s_mul_i32 s2, s15, s16
	s_mul_i32 s79, s34, s15
	s_lshl_b64 s[2:3], s[2:3], 4
	s_delay_alu instid0(SALU_CYCLE_1)
	s_add_u32 s77, s25, s2
	s_addc_u32 s78, s53, s3
	s_and_not1_b32 vcc_lo, exec_lo, s14
	s_mov_b32 s2, -1
	s_cbranch_vccnz .LBB134_11
; %bb.5:                                ;   in Loop: Header=BB134_4 Depth=1
	s_and_saveexec_b32 s46, s0
	s_cbranch_execz .LBB134_10
; %bb.6:                                ;   in Loop: Header=BB134_4 Depth=1
	v_add_co_u32 v5, vcc_lo, v16, s79
	v_add_co_ci_u32_e32 v6, vcc_lo, s76, v17, vcc_lo
	s_lshl_b64 s[2:3], s[22:23], 4
	v_mov_b32_e32 v11, v4
	s_add_u32 s47, s77, s2
	s_addc_u32 s48, s78, s3
	s_mov_b32 s49, 0
	s_branch .LBB134_8
.LBB134_7:                              ;   in Loop: Header=BB134_8 Depth=2
	v_add_nc_u32_e32 v11, s26, v11
	v_add_co_u32 v7, vcc_lo, s47, v7
	v_add_co_ci_u32_e32 v8, vcc_lo, s48, v8, vcc_lo
	s_delay_alu instid0(VALU_DEP_3) | instskip(SKIP_1) | instid1(VALU_DEP_1)
	v_cmp_le_i32_e32 vcc_lo, s52, v11
	v_add_co_u32 v5, s2, v5, s36
	v_add_co_ci_u32_e64 v6, s2, s37, v6, s2
	s_or_b32 s49, vcc_lo, s49
	s_waitcnt vmcnt(0)
	global_store_b128 v[7:8], v[0:3], off offset:-16
	s_and_not1_b32 exec_lo, exec_lo, s49
	s_cbranch_execz .LBB134_10
.LBB134_8:                              ;   Parent Loop BB134_4 Depth=1
                                        ; =>  This Loop Header: Depth=2
                                        ;       Child Loop BB134_9 Depth 3
	v_mad_i64_i32 v[0:1], null, v11, s12, 0
	v_dual_mov_b32 v10, v6 :: v_dual_mov_b32 v9, v5
	s_mov_b64 s[2:3], s[20:21]
	s_mov_b64 s[44:45], s[42:43]
	s_mov_b32 s82, s30
	s_delay_alu instid0(VALU_DEP_2) | instskip(NEXT) | instid1(VALU_DEP_1)
	v_lshlrev_b64 v[7:8], 4, v[0:1]
	v_add_co_u32 v0, vcc_lo, s77, v7
	s_delay_alu instid0(VALU_DEP_2)
	v_add_co_ci_u32_e32 v1, vcc_lo, s78, v8, vcc_lo
	s_and_not1_b32 vcc_lo, exec_lo, s54
	global_load_b128 v[0:3], v[0:1], off
	s_cbranch_vccnz .LBB134_7
	.p2align	6
.LBB134_9:                              ;   Parent Loop BB134_4 Depth=1
                                        ;     Parent Loop BB134_8 Depth=2
                                        ; =>    This Inner Loop Header: Depth=3
	global_load_b64 v[39:40], v38, s[44:45]
	global_load_b128 v[12:15], v[9:10], off offset:-8
	global_load_b64 v[43:44], v38, s[2:3]
	s_add_i32 s82, s82, -1
	s_add_u32 s44, s44, 8
	s_addc_u32 s45, s45, 0
	s_add_u32 s2, s2, 8
	s_addc_u32 s3, s3, 0
	s_cmp_eq_u32 s82, 0
	s_waitcnt vmcnt(2)
	v_mul_f64 v[47:48], v[0:1], v[39:40]
	s_waitcnt vmcnt(1)
	v_mul_f64 v[41:42], v[39:40], v[12:13]
	v_mul_f64 v[45:46], v[39:40], v[14:15]
	;; [unrolled: 1-line block ×3, first 2 shown]
	s_waitcnt vmcnt(0)
	s_delay_alu instid0(VALU_DEP_3) | instskip(NEXT) | instid1(VALU_DEP_3)
	v_fma_f64 v[39:40], v[0:1], v[43:44], v[41:42]
	v_fma_f64 v[41:42], v[2:3], v[43:44], v[45:46]
	v_fma_f64 v[0:1], v[43:44], v[12:13], -v[47:48]
	s_delay_alu instid0(VALU_DEP_4)
	v_fma_f64 v[2:3], v[43:44], v[14:15], -v[49:50]
	global_store_b128 v[9:10], v[39:42], off offset:-24
	v_add_co_u32 v9, vcc_lo, v9, 16
	v_add_co_ci_u32_e32 v10, vcc_lo, 0, v10, vcc_lo
	s_cbranch_scc0 .LBB134_9
	s_branch .LBB134_7
.LBB134_10:                             ;   in Loop: Header=BB134_4 Depth=1
	s_or_b32 exec_lo, exec_lo, s46
	s_mov_b32 s2, 0
.LBB134_11:                             ;   in Loop: Header=BB134_4 Depth=1
	s_delay_alu instid0(SALU_CYCLE_1)
	s_and_not1_b32 vcc_lo, exec_lo, s2
	s_cbranch_vccnz .LBB134_3
; %bb.12:                               ;   in Loop: Header=BB134_4 Depth=1
	s_add_u32 s44, s67, s80
	s_addc_u32 s45, s68, s50
	s_add_u32 s46, s69, s81
	s_addc_u32 s47, s70, s51
	s_and_not1_b32 vcc_lo, exec_lo, s18
	s_mov_b32 s2, -1
	s_cbranch_vccnz .LBB134_19
; %bb.13:                               ;   in Loop: Header=BB134_4 Depth=1
	s_and_saveexec_b32 s82, s0
	s_cbranch_execz .LBB134_18
; %bb.14:                               ;   in Loop: Header=BB134_4 Depth=1
	v_add_co_u32 v5, vcc_lo, v18, s79
	v_add_co_ci_u32_e32 v6, vcc_lo, s76, v19, vcc_lo
	s_lshl_b64 s[2:3], s[22:23], 4
	v_mov_b32_e32 v11, v4
	s_add_u32 s83, s77, s2
	s_addc_u32 s84, s78, s3
	s_mov_b32 s85, 0
	s_branch .LBB134_16
.LBB134_15:                             ;   in Loop: Header=BB134_16 Depth=2
	v_add_nc_u32_e32 v11, s26, v11
	v_add_co_u32 v7, vcc_lo, s77, v7
	v_add_co_ci_u32_e32 v8, vcc_lo, s78, v8, vcc_lo
	s_delay_alu instid0(VALU_DEP_3) | instskip(SKIP_1) | instid1(VALU_DEP_1)
	v_cmp_le_i32_e32 vcc_lo, s52, v11
	v_add_co_u32 v5, s2, v5, s36
	v_add_co_ci_u32_e64 v6, s2, s37, v6, s2
	s_or_b32 s85, vcc_lo, s85
	s_waitcnt vmcnt(0)
	global_store_b128 v[7:8], v[0:3], off
	s_and_not1_b32 exec_lo, exec_lo, s85
	s_cbranch_execz .LBB134_18
.LBB134_16:                             ;   Parent Loop BB134_4 Depth=1
                                        ; =>  This Loop Header: Depth=2
                                        ;       Child Loop BB134_17 Depth 3
	v_mad_i64_i32 v[0:1], null, v11, s12, 0
	v_dual_mov_b32 v10, v6 :: v_dual_mov_b32 v9, v5
	s_mov_b64 s[2:3], s[46:47]
	s_mov_b64 s[48:49], s[44:45]
	s_mov_b32 s86, s30
	s_delay_alu instid0(VALU_DEP_2) | instskip(NEXT) | instid1(VALU_DEP_1)
	v_lshlrev_b64 v[7:8], 4, v[0:1]
	v_add_co_u32 v0, vcc_lo, s83, v7
	s_delay_alu instid0(VALU_DEP_2)
	v_add_co_ci_u32_e32 v1, vcc_lo, s84, v8, vcc_lo
	s_and_not1_b32 vcc_lo, exec_lo, s54
	global_load_b128 v[0:3], v[0:1], off offset:-16
	s_cbranch_vccnz .LBB134_15
	.p2align	6
.LBB134_17:                             ;   Parent Loop BB134_4 Depth=1
                                        ;     Parent Loop BB134_16 Depth=2
                                        ; =>    This Inner Loop Header: Depth=3
	global_load_b64 v[39:40], v38, s[2:3]
	global_load_b128 v[12:15], v[9:10], off
	global_load_b64 v[41:42], v38, s[48:49]
	s_add_i32 s86, s86, -1
	s_add_u32 s48, s48, -8
	s_addc_u32 s49, s49, -1
	s_add_u32 s2, s2, -8
	s_addc_u32 s3, s3, -1
	s_cmp_eq_u32 s86, 0
	s_waitcnt vmcnt(1)
	v_mul_f64 v[43:44], v[39:40], v[12:13]
	v_mul_f64 v[45:46], v[39:40], v[14:15]
	s_waitcnt vmcnt(0)
	v_mul_f64 v[47:48], v[41:42], v[12:13]
	v_mul_f64 v[49:50], v[41:42], v[14:15]
	s_delay_alu instid0(VALU_DEP_4) | instskip(NEXT) | instid1(VALU_DEP_4)
	v_fma_f64 v[12:13], v[0:1], v[41:42], -v[43:44]
	v_fma_f64 v[14:15], v[2:3], v[41:42], -v[45:46]
	s_delay_alu instid0(VALU_DEP_4) | instskip(NEXT) | instid1(VALU_DEP_4)
	v_fma_f64 v[0:1], v[0:1], v[39:40], v[47:48]
	v_fma_f64 v[2:3], v[2:3], v[39:40], v[49:50]
	global_store_b128 v[9:10], v[12:15], off offset:16
	v_add_co_u32 v9, vcc_lo, v9, -16
	v_add_co_ci_u32_e32 v10, vcc_lo, -1, v10, vcc_lo
	s_cbranch_scc0 .LBB134_17
	s_branch .LBB134_15
.LBB134_18:                             ;   in Loop: Header=BB134_4 Depth=1
	s_or_b32 exec_lo, exec_lo, s82
	s_mov_b32 s2, 0
.LBB134_19:                             ;   in Loop: Header=BB134_4 Depth=1
	s_delay_alu instid0(SALU_CYCLE_1)
	s_and_not1_b32 vcc_lo, exec_lo, s2
	s_cbranch_vccnz .LBB134_3
; %bb.20:                               ;   in Loop: Header=BB134_4 Depth=1
	s_and_not1_b32 vcc_lo, exec_lo, s55
	s_mov_b32 s2, -1
	s_cbranch_vccnz .LBB134_27
; %bb.21:                               ;   in Loop: Header=BB134_4 Depth=1
	s_and_saveexec_b32 s82, s0
	s_cbranch_execz .LBB134_26
; %bb.22:                               ;   in Loop: Header=BB134_4 Depth=1
	v_add_co_u32 v5, vcc_lo, v20, s79
	v_add_co_ci_u32_e32 v6, vcc_lo, s76, v21, vcc_lo
	v_mov_b32_e32 v11, v4
	s_mov_b32 s83, 0
	s_branch .LBB134_24
.LBB134_23:                             ;   in Loop: Header=BB134_24 Depth=2
	v_add_nc_u32_e32 v11, s26, v11
	v_add_co_u32 v5, s2, v5, s36
	s_delay_alu instid0(VALU_DEP_1) | instskip(NEXT) | instid1(VALU_DEP_3)
	v_add_co_ci_u32_e64 v6, s2, s37, v6, s2
	v_cmp_le_i32_e32 vcc_lo, s52, v11
	s_waitcnt vmcnt(0)
	global_store_b128 v[7:8], v[0:3], off
	s_or_b32 s83, vcc_lo, s83
	s_delay_alu instid0(SALU_CYCLE_1)
	s_and_not1_b32 exec_lo, exec_lo, s83
	s_cbranch_execz .LBB134_26
.LBB134_24:                             ;   Parent Loop BB134_4 Depth=1
                                        ; =>  This Loop Header: Depth=2
                                        ;       Child Loop BB134_25 Depth 3
	s_delay_alu instid0(VALU_DEP_1) | instskip(SKIP_4) | instid1(VALU_DEP_2)
	v_mad_i64_i32 v[0:1], null, v11, s12, 0
	v_dual_mov_b32 v10, v6 :: v_dual_mov_b32 v9, v5
	s_mov_b32 s84, s30
	s_mov_b64 s[2:3], s[20:21]
	s_mov_b64 s[48:49], s[42:43]
	v_lshlrev_b64 v[0:1], 4, v[0:1]
	s_delay_alu instid0(VALU_DEP_1) | instskip(NEXT) | instid1(VALU_DEP_2)
	v_add_co_u32 v7, vcc_lo, s77, v0
	v_add_co_ci_u32_e32 v8, vcc_lo, s78, v1, vcc_lo
	s_and_not1_b32 vcc_lo, exec_lo, s54
	global_load_b128 v[0:3], v[7:8], off
	s_cbranch_vccnz .LBB134_23
	.p2align	6
.LBB134_25:                             ;   Parent Loop BB134_4 Depth=1
                                        ;     Parent Loop BB134_24 Depth=2
                                        ; =>    This Inner Loop Header: Depth=3
	s_clause 0x1
	global_load_b64 v[39:40], v38, s[48:49]
	global_load_b64 v[41:42], v38, s[2:3]
	global_load_b128 v[12:15], v[9:10], off
	s_add_u32 s48, s48, 8
	s_addc_u32 s49, s49, 0
	s_add_u32 s2, s2, 8
	s_addc_u32 s3, s3, 0
	s_add_i32 s84, s84, -1
	s_delay_alu instid0(SALU_CYCLE_1)
	s_cmp_eq_u32 s84, 0
	s_waitcnt vmcnt(2)
	v_mul_f64 v[43:44], v[0:1], v[39:40]
	v_mul_f64 v[45:46], v[2:3], v[39:40]
	s_waitcnt vmcnt(0)
	v_mul_f64 v[47:48], v[39:40], v[12:13]
	v_mul_f64 v[39:40], v[39:40], v[14:15]
	s_delay_alu instid0(VALU_DEP_4) | instskip(NEXT) | instid1(VALU_DEP_4)
	v_fma_f64 v[12:13], v[41:42], v[12:13], -v[43:44]
	v_fma_f64 v[14:15], v[41:42], v[14:15], -v[45:46]
	s_delay_alu instid0(VALU_DEP_4) | instskip(NEXT) | instid1(VALU_DEP_4)
	v_fma_f64 v[0:1], v[0:1], v[41:42], v[47:48]
	v_fma_f64 v[2:3], v[2:3], v[41:42], v[39:40]
	global_store_b128 v[9:10], v[12:15], off
	v_add_co_u32 v9, vcc_lo, v9, 16
	v_add_co_ci_u32_e32 v10, vcc_lo, 0, v10, vcc_lo
	s_cbranch_scc0 .LBB134_25
	s_branch .LBB134_23
.LBB134_26:                             ;   in Loop: Header=BB134_4 Depth=1
	s_or_b32 exec_lo, exec_lo, s82
	s_mov_b32 s2, 0
.LBB134_27:                             ;   in Loop: Header=BB134_4 Depth=1
	s_delay_alu instid0(SALU_CYCLE_1)
	s_and_not1_b32 vcc_lo, exec_lo, s2
	s_cbranch_vccnz .LBB134_3
; %bb.28:                               ;   in Loop: Header=BB134_4 Depth=1
	s_and_not1_b32 vcc_lo, exec_lo, s56
	s_mov_b32 s2, -1
	s_cbranch_vccnz .LBB134_35
; %bb.29:                               ;   in Loop: Header=BB134_4 Depth=1
	s_and_saveexec_b32 s82, s0
	s_cbranch_execz .LBB134_34
; %bb.30:                               ;   in Loop: Header=BB134_4 Depth=1
	v_add_co_u32 v5, vcc_lo, v24, s79
	v_add_co_ci_u32_e32 v6, vcc_lo, s76, v25, vcc_lo
	v_mov_b32_e32 v11, v4
	s_mov_b32 s83, 0
	s_branch .LBB134_32
.LBB134_31:                             ;   in Loop: Header=BB134_32 Depth=2
	v_add_nc_u32_e32 v11, s26, v11
	v_add_co_u32 v5, s2, v5, s36
	s_delay_alu instid0(VALU_DEP_1) | instskip(NEXT) | instid1(VALU_DEP_3)
	v_add_co_ci_u32_e64 v6, s2, s37, v6, s2
	v_cmp_le_i32_e32 vcc_lo, s52, v11
	s_waitcnt vmcnt(0)
	global_store_b128 v[7:8], v[0:3], off
	s_or_b32 s83, vcc_lo, s83
	s_delay_alu instid0(SALU_CYCLE_1)
	s_and_not1_b32 exec_lo, exec_lo, s83
	s_cbranch_execz .LBB134_34
.LBB134_32:                             ;   Parent Loop BB134_4 Depth=1
                                        ; =>  This Loop Header: Depth=2
                                        ;       Child Loop BB134_33 Depth 3
	s_delay_alu instid0(VALU_DEP_1) | instskip(SKIP_4) | instid1(VALU_DEP_2)
	v_mad_i64_i32 v[0:1], null, v11, s12, 0
	v_dual_mov_b32 v10, v6 :: v_dual_mov_b32 v9, v5
	s_mov_b64 s[2:3], s[46:47]
	s_mov_b64 s[48:49], s[44:45]
	s_mov_b32 s84, s71
	v_lshlrev_b64 v[0:1], 4, v[0:1]
	s_delay_alu instid0(VALU_DEP_1) | instskip(NEXT) | instid1(VALU_DEP_2)
	v_add_co_u32 v7, vcc_lo, s77, v0
	v_add_co_ci_u32_e32 v8, vcc_lo, s78, v1, vcc_lo
	s_and_not1_b32 vcc_lo, exec_lo, s54
	global_load_b128 v[0:3], v[7:8], off
	s_cbranch_vccnz .LBB134_31
	.p2align	6
.LBB134_33:                             ;   Parent Loop BB134_4 Depth=1
                                        ;     Parent Loop BB134_32 Depth=2
                                        ; =>    This Inner Loop Header: Depth=3
	s_clause 0x1
	global_load_b64 v[39:40], v38, s[2:3]
	global_load_b64 v[41:42], v38, s[48:49]
	global_load_b128 v[12:15], v[9:10], off offset:-8
	s_add_i32 s84, s84, -1
	s_add_u32 s48, s48, -8
	s_addc_u32 s49, s49, -1
	s_add_u32 s2, s2, -8
	s_addc_u32 s3, s3, -1
	s_cmp_lt_u32 s84, 3
	s_waitcnt vmcnt(2)
	v_mul_f64 v[43:44], v[0:1], v[39:40]
	v_mul_f64 v[45:46], v[2:3], v[39:40]
	s_waitcnt vmcnt(0)
	v_mul_f64 v[47:48], v[39:40], v[12:13]
	v_mul_f64 v[39:40], v[39:40], v[14:15]
	s_delay_alu instid0(VALU_DEP_4) | instskip(NEXT) | instid1(VALU_DEP_4)
	v_fma_f64 v[12:13], v[41:42], v[12:13], -v[43:44]
	v_fma_f64 v[14:15], v[41:42], v[14:15], -v[45:46]
	s_delay_alu instid0(VALU_DEP_4) | instskip(NEXT) | instid1(VALU_DEP_4)
	v_fma_f64 v[0:1], v[0:1], v[41:42], v[47:48]
	v_fma_f64 v[2:3], v[2:3], v[41:42], v[39:40]
	global_store_b128 v[9:10], v[12:15], off offset:-8
	v_add_co_u32 v9, vcc_lo, v9, -16
	v_add_co_ci_u32_e32 v10, vcc_lo, -1, v10, vcc_lo
	s_cbranch_scc0 .LBB134_33
	s_branch .LBB134_31
.LBB134_34:                             ;   in Loop: Header=BB134_4 Depth=1
	s_or_b32 exec_lo, exec_lo, s82
	s_mov_b32 s2, 0
.LBB134_35:                             ;   in Loop: Header=BB134_4 Depth=1
	s_delay_alu instid0(SALU_CYCLE_1)
	s_and_not1_b32 vcc_lo, exec_lo, s2
	s_cbranch_vccnz .LBB134_3
; %bb.36:                               ;   in Loop: Header=BB134_4 Depth=1
	s_and_not1_b32 vcc_lo, exec_lo, s57
	s_mov_b32 s2, -1
	s_cbranch_vccnz .LBB134_43
; %bb.37:                               ;   in Loop: Header=BB134_4 Depth=1
	s_and_saveexec_b32 s82, s0
	s_cbranch_execz .LBB134_42
; %bb.38:                               ;   in Loop: Header=BB134_4 Depth=1
	v_add_co_u32 v5, vcc_lo, v22, s79
	v_add_co_ci_u32_e32 v6, vcc_lo, s76, v23, vcc_lo
	s_lshl_b64 s[2:3], s[22:23], 4
	v_mov_b32_e32 v11, v4
	s_add_u32 s83, s77, s2
	s_addc_u32 s84, s78, s3
	s_mov_b32 s85, 0
	s_branch .LBB134_40
.LBB134_39:                             ;   in Loop: Header=BB134_40 Depth=2
	v_add_nc_u32_e32 v11, s26, v11
	v_add_co_u32 v5, s2, v5, s36
	s_delay_alu instid0(VALU_DEP_1) | instskip(NEXT) | instid1(VALU_DEP_3)
	v_add_co_ci_u32_e64 v6, s2, s37, v6, s2
	v_cmp_le_i32_e32 vcc_lo, s52, v11
	s_waitcnt vmcnt(0)
	global_store_b128 v[7:8], v[0:3], off offset:-16
	s_or_b32 s85, vcc_lo, s85
	s_delay_alu instid0(SALU_CYCLE_1)
	s_and_not1_b32 exec_lo, exec_lo, s85
	s_cbranch_execz .LBB134_42
.LBB134_40:                             ;   Parent Loop BB134_4 Depth=1
                                        ; =>  This Loop Header: Depth=2
                                        ;       Child Loop BB134_41 Depth 3
	v_mad_i64_i32 v[0:1], null, v11, s12, 0
	v_dual_mov_b32 v10, v6 :: v_dual_mov_b32 v9, v5
	s_mov_b64 s[2:3], s[42:43]
	s_mov_b64 s[48:49], s[20:21]
	s_mov_b32 s86, s30
	s_delay_alu instid0(VALU_DEP_2) | instskip(NEXT) | instid1(VALU_DEP_1)
	v_lshlrev_b64 v[0:1], 4, v[0:1]
	v_add_co_u32 v7, vcc_lo, s83, v0
	s_delay_alu instid0(VALU_DEP_2)
	v_add_co_ci_u32_e32 v8, vcc_lo, s84, v1, vcc_lo
	s_and_not1_b32 vcc_lo, exec_lo, s54
	global_load_b128 v[0:3], v[7:8], off offset:-16
	s_cbranch_vccnz .LBB134_39
	.p2align	6
.LBB134_41:                             ;   Parent Loop BB134_4 Depth=1
                                        ;     Parent Loop BB134_40 Depth=2
                                        ; =>    This Inner Loop Header: Depth=3
	global_load_b128 v[12:15], v[9:10], off offset:-8
	s_clause 0x1
	global_load_b64 v[39:40], v38, s[48:49]
	global_load_b64 v[41:42], v38, s[2:3]
	s_add_i32 s86, s86, -1
	s_add_u32 s48, s48, 8
	s_addc_u32 s49, s49, 0
	s_add_u32 s2, s2, 8
	s_addc_u32 s3, s3, 0
	s_cmp_eq_u32 s86, 0
	s_waitcnt vmcnt(1)
	v_mul_f64 v[43:44], v[39:40], v[12:13]
	v_mul_f64 v[45:46], v[39:40], v[14:15]
	s_waitcnt vmcnt(0)
	v_mul_f64 v[47:48], v[41:42], v[12:13]
	v_mul_f64 v[49:50], v[41:42], v[14:15]
	s_delay_alu instid0(VALU_DEP_4) | instskip(NEXT) | instid1(VALU_DEP_4)
	v_fma_f64 v[12:13], v[0:1], v[41:42], v[43:44]
	v_fma_f64 v[14:15], v[2:3], v[41:42], v[45:46]
	s_delay_alu instid0(VALU_DEP_4) | instskip(NEXT) | instid1(VALU_DEP_4)
	v_fma_f64 v[0:1], v[0:1], v[39:40], -v[47:48]
	v_fma_f64 v[2:3], v[2:3], v[39:40], -v[49:50]
	global_store_b128 v[9:10], v[12:15], off offset:-8
	v_add_co_u32 v9, vcc_lo, v9, 16
	v_add_co_ci_u32_e32 v10, vcc_lo, 0, v10, vcc_lo
	s_cbranch_scc0 .LBB134_41
	s_branch .LBB134_39
.LBB134_42:                             ;   in Loop: Header=BB134_4 Depth=1
	s_or_b32 exec_lo, exec_lo, s82
	s_mov_b32 s2, 0
.LBB134_43:                             ;   in Loop: Header=BB134_4 Depth=1
	s_delay_alu instid0(SALU_CYCLE_1)
	s_and_not1_b32 vcc_lo, exec_lo, s2
	s_cbranch_vccnz .LBB134_3
; %bb.44:                               ;   in Loop: Header=BB134_4 Depth=1
	s_and_not1_b32 vcc_lo, exec_lo, s58
	s_mov_b32 s2, -1
	s_cbranch_vccnz .LBB134_51
; %bb.45:                               ;   in Loop: Header=BB134_4 Depth=1
	s_and_saveexec_b32 s82, s0
	s_cbranch_execz .LBB134_50
; %bb.46:                               ;   in Loop: Header=BB134_4 Depth=1
	v_add_co_u32 v5, vcc_lo, v26, s79
	v_add_co_ci_u32_e32 v6, vcc_lo, s76, v27, vcc_lo
	s_lshl_b64 s[2:3], s[22:23], 4
	v_mov_b32_e32 v11, v4
	s_add_u32 s83, s77, s2
	s_addc_u32 s84, s78, s3
	s_mov_b32 s85, 0
	s_branch .LBB134_48
.LBB134_47:                             ;   in Loop: Header=BB134_48 Depth=2
	v_add_nc_u32_e32 v11, s26, v11
	v_add_co_u32 v5, s2, v5, s36
	s_delay_alu instid0(VALU_DEP_1) | instskip(NEXT) | instid1(VALU_DEP_3)
	v_add_co_ci_u32_e64 v6, s2, s37, v6, s2
	v_cmp_le_i32_e32 vcc_lo, s52, v11
	s_waitcnt vmcnt(0)
	global_store_b128 v[7:8], v[0:3], off offset:-16
	s_or_b32 s85, vcc_lo, s85
	s_delay_alu instid0(SALU_CYCLE_1)
	s_and_not1_b32 exec_lo, exec_lo, s85
	s_cbranch_execz .LBB134_50
.LBB134_48:                             ;   Parent Loop BB134_4 Depth=1
                                        ; =>  This Loop Header: Depth=2
                                        ;       Child Loop BB134_49 Depth 3
	v_mad_i64_i32 v[0:1], null, v11, s12, 0
	v_dual_mov_b32 v10, v6 :: v_dual_mov_b32 v9, v5
	s_mov_b64 s[2:3], s[46:47]
	s_mov_b64 s[48:49], s[44:45]
	s_mov_b32 s86, s30
	s_delay_alu instid0(VALU_DEP_2) | instskip(NEXT) | instid1(VALU_DEP_1)
	v_lshlrev_b64 v[0:1], 4, v[0:1]
	v_add_co_u32 v7, vcc_lo, s83, v0
	s_delay_alu instid0(VALU_DEP_2)
	v_add_co_ci_u32_e32 v8, vcc_lo, s84, v1, vcc_lo
	s_and_not1_b32 vcc_lo, exec_lo, s54
	global_load_b128 v[0:3], v[7:8], off offset:-16
	s_cbranch_vccnz .LBB134_47
	.p2align	6
.LBB134_49:                             ;   Parent Loop BB134_4 Depth=1
                                        ;     Parent Loop BB134_48 Depth=2
                                        ; =>    This Inner Loop Header: Depth=3
	global_load_b128 v[12:15], v[9:10], off offset:-8
	s_clause 0x1
	global_load_b64 v[39:40], v38, s[48:49]
	global_load_b64 v[41:42], v38, s[2:3]
	s_add_i32 s86, s86, -1
	s_add_u32 s48, s48, -8
	s_addc_u32 s49, s49, -1
	s_add_u32 s2, s2, -8
	s_addc_u32 s3, s3, -1
	s_cmp_eq_u32 s86, 0
	s_waitcnt vmcnt(1)
	v_mul_f64 v[43:44], v[39:40], v[12:13]
	v_mul_f64 v[45:46], v[39:40], v[14:15]
	s_waitcnt vmcnt(0)
	v_mul_f64 v[47:48], v[41:42], v[12:13]
	v_mul_f64 v[49:50], v[41:42], v[14:15]
	s_delay_alu instid0(VALU_DEP_4) | instskip(NEXT) | instid1(VALU_DEP_4)
	v_fma_f64 v[12:13], v[0:1], v[41:42], v[43:44]
	v_fma_f64 v[14:15], v[2:3], v[41:42], v[45:46]
	s_delay_alu instid0(VALU_DEP_4) | instskip(NEXT) | instid1(VALU_DEP_4)
	v_fma_f64 v[0:1], v[0:1], v[39:40], -v[47:48]
	v_fma_f64 v[2:3], v[2:3], v[39:40], -v[49:50]
	global_store_b128 v[9:10], v[12:15], off offset:-8
	v_add_co_u32 v9, vcc_lo, v9, -16
	v_add_co_ci_u32_e32 v10, vcc_lo, -1, v10, vcc_lo
	s_cbranch_scc0 .LBB134_49
	s_branch .LBB134_47
.LBB134_50:                             ;   in Loop: Header=BB134_4 Depth=1
	s_or_b32 exec_lo, exec_lo, s82
	s_mov_b32 s2, 0
.LBB134_51:                             ;   in Loop: Header=BB134_4 Depth=1
	s_delay_alu instid0(SALU_CYCLE_1)
	s_and_not1_b32 vcc_lo, exec_lo, s2
	s_cbranch_vccnz .LBB134_3
; %bb.52:                               ;   in Loop: Header=BB134_4 Depth=1
	v_add_co_u32 v5, vcc_lo, v28, s79
	v_add_co_ci_u32_e32 v6, vcc_lo, s76, v29, vcc_lo
	s_and_not1_b32 vcc_lo, exec_lo, s59
	s_mov_b32 s2, -1
	s_cbranch_vccnz .LBB134_59
; %bb.53:                               ;   in Loop: Header=BB134_4 Depth=1
	s_and_saveexec_b32 s46, s1
	s_cbranch_execz .LBB134_58
; %bb.54:                               ;   in Loop: Header=BB134_4 Depth=1
	s_lshl_b64 s[2:3], s[28:29], 4
	v_dual_mov_b32 v8, v6 :: v_dual_mov_b32 v7, v5
	v_mov_b32_e32 v9, v4
	s_add_u32 s47, s77, s2
	s_addc_u32 s48, s78, s3
	s_mov_b32 s49, 0
	s_branch .LBB134_56
.LBB134_55:                             ;   in Loop: Header=BB134_56 Depth=2
	v_add_nc_u32_e32 v9, s26, v9
	v_add_co_u32 v10, vcc_lo, s47, v10
	v_add_co_ci_u32_e32 v11, vcc_lo, s48, v11, vcc_lo
	s_delay_alu instid0(VALU_DEP_3) | instskip(SKIP_1) | instid1(VALU_DEP_1)
	v_cmp_le_i32_e32 vcc_lo, s19, v9
	v_add_co_u32 v7, s2, v7, s38
	v_add_co_ci_u32_e64 v8, s2, s39, v8, s2
	s_or_b32 s49, vcc_lo, s49
	s_waitcnt vmcnt(0)
	global_store_b128 v[10:11], v[0:3], off
	s_and_not1_b32 exec_lo, exec_lo, s49
	s_cbranch_execz .LBB134_58
.LBB134_56:                             ;   Parent Loop BB134_4 Depth=1
                                        ; =>  This Loop Header: Depth=2
                                        ;       Child Loop BB134_57 Depth 3
	v_ashrrev_i32_e32 v10, 31, v9
	v_dual_mov_b32 v13, v8 :: v_dual_mov_b32 v12, v7
	s_mov_b64 s[2:3], s[42:43]
	s_mov_b64 s[44:45], s[20:21]
	s_delay_alu instid0(VALU_DEP_2) | instskip(SKIP_1) | instid1(VALU_DEP_1)
	v_lshlrev_b64 v[10:11], 4, v[9:10]
	s_mov_b32 s82, s60
	v_add_co_u32 v0, vcc_lo, s77, v10
	s_delay_alu instid0(VALU_DEP_2)
	v_add_co_ci_u32_e32 v1, vcc_lo, s78, v11, vcc_lo
	s_and_not1_b32 vcc_lo, exec_lo, s62
	global_load_b128 v[0:3], v[0:1], off
	s_cbranch_vccnz .LBB134_55
	.p2align	6
.LBB134_57:                             ;   Parent Loop BB134_4 Depth=1
                                        ;     Parent Loop BB134_56 Depth=2
                                        ; =>    This Inner Loop Header: Depth=3
	s_delay_alu instid0(VALU_DEP_1) | instskip(NEXT) | instid1(VALU_DEP_2)
	v_add_co_u32 v14, vcc_lo, v12, s40
	v_add_co_ci_u32_e32 v15, vcc_lo, s41, v13, vcc_lo
	s_add_i32 s82, s82, -1
	global_load_b64 v[43:44], v38, s[2:3]
	global_load_b128 v[39:42], v[14:15], off offset:-8
	global_load_b64 v[47:48], v38, s[44:45]
	s_add_u32 s44, s44, 8
	s_addc_u32 s45, s45, 0
	s_add_u32 s2, s2, 8
	s_addc_u32 s3, s3, 0
	s_cmp_eq_u32 s82, 0
	s_waitcnt vmcnt(2)
	v_mul_f64 v[51:52], v[0:1], v[43:44]
	s_waitcnt vmcnt(1)
	v_mul_f64 v[45:46], v[43:44], v[39:40]
	v_mul_f64 v[49:50], v[43:44], v[41:42]
	;; [unrolled: 1-line block ×3, first 2 shown]
	s_waitcnt vmcnt(0)
	s_delay_alu instid0(VALU_DEP_3) | instskip(NEXT) | instid1(VALU_DEP_3)
	v_fma_f64 v[43:44], v[0:1], v[47:48], v[45:46]
	v_fma_f64 v[45:46], v[2:3], v[47:48], v[49:50]
	v_fma_f64 v[0:1], v[47:48], v[39:40], -v[51:52]
	s_delay_alu instid0(VALU_DEP_4)
	v_fma_f64 v[2:3], v[47:48], v[41:42], -v[53:54]
	global_store_b128 v[12:13], v[43:46], off offset:-8
	v_dual_mov_b32 v12, v14 :: v_dual_mov_b32 v13, v15
	s_cbranch_scc0 .LBB134_57
	s_branch .LBB134_55
.LBB134_58:                             ;   in Loop: Header=BB134_4 Depth=1
	s_or_b32 exec_lo, exec_lo, s46
	s_mov_b32 s2, 0
.LBB134_59:                             ;   in Loop: Header=BB134_4 Depth=1
	s_delay_alu instid0(SALU_CYCLE_1)
	s_and_not1_b32 vcc_lo, exec_lo, s2
	s_cbranch_vccnz .LBB134_3
; %bb.60:                               ;   in Loop: Header=BB134_4 Depth=1
	v_add_co_u32 v7, vcc_lo, v32, s79
	s_add_u32 s44, s13, s80
	v_add_co_ci_u32_e32 v8, vcc_lo, s76, v33, vcc_lo
	s_addc_u32 s45, s27, s50
	s_add_u32 s46, s31, s81
	s_addc_u32 s47, s72, s51
	s_and_not1_b32 vcc_lo, exec_lo, s61
	s_mov_b32 s2, -1
	s_cbranch_vccnz .LBB134_68
; %bb.61:                               ;   in Loop: Header=BB134_4 Depth=1
	s_and_saveexec_b32 s80, s1
	s_cbranch_execz .LBB134_67
; %bb.62:                               ;   in Loop: Header=BB134_4 Depth=1
	v_add_co_u32 v14, vcc_lo, v30, s79
	v_add_co_ci_u32_e32 v15, vcc_lo, s76, v31, vcc_lo
	s_lshl_b64 s[2:3], s[28:29], 4
	v_dual_mov_b32 v10, v8 :: v_dual_mov_b32 v9, v7
	v_mov_b32_e32 v11, v4
	s_add_u32 s81, s77, s2
	s_addc_u32 s82, s78, s3
	s_mov_b32 s83, 0
	s_branch .LBB134_64
.LBB134_63:                             ;   in Loop: Header=BB134_64 Depth=2
	s_set_inst_prefetch_distance 0x2
	v_add_co_u32 v12, vcc_lo, s77, v12
	v_add_nc_u32_e32 v11, s26, v11
	v_add_co_ci_u32_e32 v13, vcc_lo, s78, v13, vcc_lo
	v_add_co_u32 v14, vcc_lo, v14, s38
	v_add_co_ci_u32_e32 v15, vcc_lo, s39, v15, vcc_lo
	s_delay_alu instid0(VALU_DEP_4) | instskip(SKIP_1) | instid1(VALU_DEP_1)
	v_cmp_le_i32_e32 vcc_lo, s19, v11
	v_add_co_u32 v9, s2, v9, s38
	v_add_co_ci_u32_e64 v10, s2, s39, v10, s2
	s_or_b32 s83, vcc_lo, s83
	s_waitcnt vmcnt(0)
	global_store_b128 v[12:13], v[0:3], off
	s_and_not1_b32 exec_lo, exec_lo, s83
	s_cbranch_execz .LBB134_67
.LBB134_64:                             ;   Parent Loop BB134_4 Depth=1
                                        ; =>  This Loop Header: Depth=2
                                        ;       Child Loop BB134_66 Depth 3
	v_ashrrev_i32_e32 v12, 31, v11
	s_delay_alu instid0(VALU_DEP_1) | instskip(NEXT) | instid1(VALU_DEP_1)
	v_lshlrev_b64 v[12:13], 4, v[11:12]
	v_add_co_u32 v0, vcc_lo, s81, v12
	s_delay_alu instid0(VALU_DEP_2)
	v_add_co_ci_u32_e32 v1, vcc_lo, s82, v13, vcc_lo
	s_and_not1_b32 vcc_lo, exec_lo, s62
	global_load_b128 v[0:3], v[0:1], off
	s_cbranch_vccnz .LBB134_63
; %bb.65:                               ;   in Loop: Header=BB134_64 Depth=2
	s_mov_b64 s[2:3], 0
	s_mov_b64 s[48:49], s[46:47]
	s_mov_b64 s[50:51], s[44:45]
	s_mov_b32 s84, s60
	s_set_inst_prefetch_distance 0x1
	.p2align	6
.LBB134_66:                             ;   Parent Loop BB134_4 Depth=1
                                        ;     Parent Loop BB134_64 Depth=2
                                        ; =>    This Inner Loop Header: Depth=3
	v_add_co_u32 v39, vcc_lo, v14, s2
	v_add_co_ci_u32_e32 v40, vcc_lo, s3, v15, vcc_lo
	s_add_i32 s84, s84, -1
	s_clause 0x1
	global_load_b64 v[43:44], v38, s[50:51]
	global_load_b64 v[45:46], v38, s[48:49]
	global_load_b128 v[39:42], v[39:40], off
	s_waitcnt vmcnt(0)
	v_mul_f64 v[47:48], v[45:46], v[39:40]
	v_mul_f64 v[49:50], v[45:46], v[41:42]
	;; [unrolled: 1-line block ×4, first 2 shown]
	s_delay_alu instid0(VALU_DEP_4) | instskip(NEXT) | instid1(VALU_DEP_4)
	v_fma_f64 v[39:40], v[0:1], v[43:44], -v[47:48]
	v_fma_f64 v[41:42], v[2:3], v[43:44], -v[49:50]
	s_delay_alu instid0(VALU_DEP_4) | instskip(NEXT) | instid1(VALU_DEP_4)
	v_fma_f64 v[0:1], v[0:1], v[45:46], v[51:52]
	v_fma_f64 v[2:3], v[2:3], v[45:46], v[53:54]
	v_add_co_u32 v43, vcc_lo, v9, s2
	s_sub_u32 s2, s2, s40
	v_add_co_ci_u32_e32 v44, vcc_lo, s3, v10, vcc_lo
	s_subb_u32 s3, s3, s41
	s_add_u32 s50, s50, -8
	s_addc_u32 s51, s51, -1
	s_add_u32 s48, s48, -8
	s_addc_u32 s49, s49, -1
	s_cmp_eq_u32 s84, 0
	global_store_b128 v[43:44], v[39:42], off offset:-8
	s_cbranch_scc0 .LBB134_66
	s_branch .LBB134_63
.LBB134_67:                             ;   in Loop: Header=BB134_4 Depth=1
	s_or_b32 exec_lo, exec_lo, s80
	s_mov_b32 s2, 0
.LBB134_68:                             ;   in Loop: Header=BB134_4 Depth=1
	s_delay_alu instid0(SALU_CYCLE_1)
	s_and_not1_b32 vcc_lo, exec_lo, s2
	s_cbranch_vccnz .LBB134_3
; %bb.69:                               ;   in Loop: Header=BB134_4 Depth=1
	s_and_not1_b32 vcc_lo, exec_lo, s63
	s_mov_b32 s2, -1
	s_cbranch_vccnz .LBB134_76
; %bb.70:                               ;   in Loop: Header=BB134_4 Depth=1
	s_and_saveexec_b32 s50, s1
	s_cbranch_execz .LBB134_75
; %bb.71:                               ;   in Loop: Header=BB134_4 Depth=1
	v_add_co_u32 v9, vcc_lo, v34, s79
	v_add_co_ci_u32_e32 v10, vcc_lo, s76, v35, vcc_lo
	v_mov_b32_e32 v11, v4
	s_mov_b32 s51, 0
	s_branch .LBB134_73
.LBB134_72:                             ;   in Loop: Header=BB134_73 Depth=2
	v_add_nc_u32_e32 v11, s26, v11
	v_add_co_u32 v9, s2, v9, s38
	s_delay_alu instid0(VALU_DEP_1) | instskip(NEXT) | instid1(VALU_DEP_3)
	v_add_co_ci_u32_e64 v10, s2, s39, v10, s2
	v_cmp_le_i32_e32 vcc_lo, s19, v11
	s_waitcnt vmcnt(0)
	global_store_b128 v[12:13], v[0:3], off
	s_or_b32 s51, vcc_lo, s51
	s_delay_alu instid0(SALU_CYCLE_1)
	s_and_not1_b32 exec_lo, exec_lo, s51
	s_cbranch_execz .LBB134_75
.LBB134_73:                             ;   Parent Loop BB134_4 Depth=1
                                        ; =>  This Loop Header: Depth=2
                                        ;       Child Loop BB134_74 Depth 3
	s_delay_alu instid0(VALU_DEP_1) | instskip(SKIP_3) | instid1(VALU_DEP_2)
	v_ashrrev_i32_e32 v12, 31, v11
	v_dual_mov_b32 v15, v10 :: v_dual_mov_b32 v14, v9
	s_mov_b32 s80, s60
	s_mov_b64 s[2:3], s[20:21]
	v_lshlrev_b64 v[0:1], 4, v[11:12]
	s_mov_b64 s[48:49], s[42:43]
	s_delay_alu instid0(VALU_DEP_1) | instskip(NEXT) | instid1(VALU_DEP_2)
	v_add_co_u32 v12, vcc_lo, s77, v0
	v_add_co_ci_u32_e32 v13, vcc_lo, s78, v1, vcc_lo
	s_and_not1_b32 vcc_lo, exec_lo, s62
	global_load_b128 v[0:3], v[12:13], off
	s_cbranch_vccnz .LBB134_72
	.p2align	6
.LBB134_74:                             ;   Parent Loop BB134_4 Depth=1
                                        ;     Parent Loop BB134_73 Depth=2
                                        ; =>    This Inner Loop Header: Depth=3
	s_clause 0x1
	global_load_b64 v[43:44], v38, s[48:49]
	global_load_b64 v[45:46], v38, s[2:3]
	global_load_b128 v[39:42], v[14:15], off offset:-8
	s_add_u32 s48, s48, 8
	s_addc_u32 s49, s49, 0
	s_add_u32 s2, s2, 8
	s_addc_u32 s3, s3, 0
	s_add_i32 s80, s80, -1
	s_delay_alu instid0(SALU_CYCLE_1)
	s_cmp_eq_u32 s80, 0
	s_waitcnt vmcnt(2)
	v_mul_f64 v[47:48], v[0:1], v[43:44]
	v_mul_f64 v[49:50], v[2:3], v[43:44]
	s_waitcnt vmcnt(0)
	v_mul_f64 v[51:52], v[43:44], v[39:40]
	v_mul_f64 v[43:44], v[43:44], v[41:42]
	s_delay_alu instid0(VALU_DEP_4) | instskip(NEXT) | instid1(VALU_DEP_4)
	v_fma_f64 v[39:40], v[45:46], v[39:40], -v[47:48]
	v_fma_f64 v[41:42], v[45:46], v[41:42], -v[49:50]
	s_delay_alu instid0(VALU_DEP_4) | instskip(NEXT) | instid1(VALU_DEP_4)
	v_fma_f64 v[0:1], v[0:1], v[45:46], v[51:52]
	v_fma_f64 v[2:3], v[2:3], v[45:46], v[43:44]
	global_store_b128 v[14:15], v[39:42], off offset:-8
	v_add_co_u32 v14, vcc_lo, v14, s40
	v_add_co_ci_u32_e32 v15, vcc_lo, s41, v15, vcc_lo
	s_cbranch_scc0 .LBB134_74
	s_branch .LBB134_72
.LBB134_75:                             ;   in Loop: Header=BB134_4 Depth=1
	s_or_b32 exec_lo, exec_lo, s50
	s_mov_b32 s2, 0
.LBB134_76:                             ;   in Loop: Header=BB134_4 Depth=1
	s_delay_alu instid0(SALU_CYCLE_1)
	s_and_not1_b32 vcc_lo, exec_lo, s2
	s_cbranch_vccnz .LBB134_3
; %bb.77:                               ;   in Loop: Header=BB134_4 Depth=1
	s_and_not1_b32 vcc_lo, exec_lo, s64
	s_mov_b32 s2, -1
	s_cbranch_vccnz .LBB134_84
; %bb.78:                               ;   in Loop: Header=BB134_4 Depth=1
	s_and_saveexec_b32 s50, s1
	s_cbranch_execz .LBB134_83
; %bb.79:                               ;   in Loop: Header=BB134_4 Depth=1
	v_mov_b32_e32 v9, v4
	s_mov_b32 s51, 0
	s_branch .LBB134_81
.LBB134_80:                             ;   in Loop: Header=BB134_81 Depth=2
	v_add_nc_u32_e32 v9, s26, v9
	v_add_co_u32 v7, s2, v7, s38
	s_delay_alu instid0(VALU_DEP_1) | instskip(NEXT) | instid1(VALU_DEP_3)
	v_add_co_ci_u32_e64 v8, s2, s39, v8, s2
	v_cmp_le_i32_e32 vcc_lo, s19, v9
	s_waitcnt vmcnt(0)
	global_store_b128 v[10:11], v[0:3], off
	s_or_b32 s51, vcc_lo, s51
	s_delay_alu instid0(SALU_CYCLE_1)
	s_and_not1_b32 exec_lo, exec_lo, s51
	s_cbranch_execz .LBB134_83
.LBB134_81:                             ;   Parent Loop BB134_4 Depth=1
                                        ; =>  This Loop Header: Depth=2
                                        ;       Child Loop BB134_82 Depth 3
	s_delay_alu instid0(VALU_DEP_1) | instskip(SKIP_3) | instid1(VALU_DEP_2)
	v_ashrrev_i32_e32 v10, 31, v9
	v_dual_mov_b32 v13, v8 :: v_dual_mov_b32 v12, v7
	s_mov_b64 s[2:3], s[46:47]
	s_mov_b64 s[48:49], s[44:45]
	v_lshlrev_b64 v[0:1], 4, v[9:10]
	s_mov_b32 s80, s73
	s_delay_alu instid0(VALU_DEP_1) | instskip(NEXT) | instid1(VALU_DEP_2)
	v_add_co_u32 v10, vcc_lo, s77, v0
	v_add_co_ci_u32_e32 v11, vcc_lo, s78, v1, vcc_lo
	s_and_not1_b32 vcc_lo, exec_lo, s62
	global_load_b128 v[0:3], v[10:11], off
	s_cbranch_vccnz .LBB134_80
	.p2align	6
.LBB134_82:                             ;   Parent Loop BB134_4 Depth=1
                                        ;     Parent Loop BB134_81 Depth=2
                                        ; =>    This Inner Loop Header: Depth=3
	s_clause 0x1
	global_load_b64 v[14:15], v38, s[2:3]
	global_load_b64 v[43:44], v38, s[48:49]
	global_load_b128 v[39:42], v[12:13], off offset:-8
	s_add_i32 s80, s80, -1
	s_add_u32 s48, s48, -8
	s_addc_u32 s49, s49, -1
	s_add_u32 s2, s2, -8
	s_addc_u32 s3, s3, -1
	s_cmp_lt_u32 s80, 3
	s_waitcnt vmcnt(2)
	v_mul_f64 v[45:46], v[0:1], v[14:15]
	v_mul_f64 v[47:48], v[2:3], v[14:15]
	s_waitcnt vmcnt(0)
	v_mul_f64 v[49:50], v[14:15], v[39:40]
	v_mul_f64 v[14:15], v[14:15], v[41:42]
	s_delay_alu instid0(VALU_DEP_4) | instskip(NEXT) | instid1(VALU_DEP_4)
	v_fma_f64 v[39:40], v[43:44], v[39:40], -v[45:46]
	v_fma_f64 v[41:42], v[43:44], v[41:42], -v[47:48]
	s_delay_alu instid0(VALU_DEP_4) | instskip(NEXT) | instid1(VALU_DEP_4)
	v_fma_f64 v[0:1], v[0:1], v[43:44], v[49:50]
	v_fma_f64 v[2:3], v[2:3], v[43:44], v[14:15]
	global_store_b128 v[12:13], v[39:42], off offset:-8
	v_add_co_u32 v12, vcc_lo, v12, s74
	v_add_co_ci_u32_e32 v13, vcc_lo, s75, v13, vcc_lo
	s_cbranch_scc0 .LBB134_82
	s_branch .LBB134_80
.LBB134_83:                             ;   in Loop: Header=BB134_4 Depth=1
	s_or_b32 exec_lo, exec_lo, s50
	s_mov_b32 s2, 0
.LBB134_84:                             ;   in Loop: Header=BB134_4 Depth=1
	s_delay_alu instid0(SALU_CYCLE_1)
	s_and_not1_b32 vcc_lo, exec_lo, s2
	s_cbranch_vccnz .LBB134_3
; %bb.85:                               ;   in Loop: Header=BB134_4 Depth=1
	s_and_not1_b32 vcc_lo, exec_lo, s65
	s_mov_b32 s2, -1
	s_cbranch_vccnz .LBB134_92
; %bb.86:                               ;   in Loop: Header=BB134_4 Depth=1
	s_and_saveexec_b32 s50, s1
	s_cbranch_execz .LBB134_91
; %bb.87:                               ;   in Loop: Header=BB134_4 Depth=1
	s_lshl_b64 s[2:3], s[28:29], 4
	v_mov_b32_e32 v7, v4
	s_add_u32 s51, s77, s2
	s_addc_u32 s80, s78, s3
	s_mov_b32 s81, 0
	s_branch .LBB134_89
.LBB134_88:                             ;   in Loop: Header=BB134_89 Depth=2
	v_add_nc_u32_e32 v7, s26, v7
	v_add_co_u32 v5, s2, v5, s38
	s_delay_alu instid0(VALU_DEP_1) | instskip(NEXT) | instid1(VALU_DEP_3)
	v_add_co_ci_u32_e64 v6, s2, s39, v6, s2
	v_cmp_le_i32_e32 vcc_lo, s19, v7
	s_waitcnt vmcnt(0)
	global_store_b128 v[8:9], v[0:3], off
	s_or_b32 s81, vcc_lo, s81
	s_delay_alu instid0(SALU_CYCLE_1)
	s_and_not1_b32 exec_lo, exec_lo, s81
	s_cbranch_execz .LBB134_91
.LBB134_89:                             ;   Parent Loop BB134_4 Depth=1
                                        ; =>  This Loop Header: Depth=2
                                        ;       Child Loop BB134_90 Depth 3
	v_ashrrev_i32_e32 v8, 31, v7
	v_dual_mov_b32 v11, v6 :: v_dual_mov_b32 v10, v5
	s_mov_b64 s[2:3], s[42:43]
	s_mov_b64 s[48:49], s[20:21]
	s_delay_alu instid0(VALU_DEP_2) | instskip(SKIP_1) | instid1(VALU_DEP_1)
	v_lshlrev_b64 v[0:1], 4, v[7:8]
	s_mov_b32 s82, s60
	v_add_co_u32 v8, vcc_lo, s51, v0
	s_delay_alu instid0(VALU_DEP_2)
	v_add_co_ci_u32_e32 v9, vcc_lo, s80, v1, vcc_lo
	s_and_not1_b32 vcc_lo, exec_lo, s62
	global_load_b128 v[0:3], v[8:9], off
	s_cbranch_vccnz .LBB134_88
	.p2align	6
.LBB134_90:                             ;   Parent Loop BB134_4 Depth=1
                                        ;     Parent Loop BB134_89 Depth=2
                                        ; =>    This Inner Loop Header: Depth=3
	global_load_b128 v[12:15], v[10:11], off offset:-8
	s_clause 0x1
	global_load_b64 v[39:40], v38, s[48:49]
	global_load_b64 v[41:42], v38, s[2:3]
	s_add_i32 s82, s82, -1
	s_add_u32 s48, s48, 8
	s_addc_u32 s49, s49, 0
	s_add_u32 s2, s2, 8
	s_addc_u32 s3, s3, 0
	s_cmp_eq_u32 s82, 0
	s_waitcnt vmcnt(1)
	v_mul_f64 v[43:44], v[39:40], v[12:13]
	v_mul_f64 v[45:46], v[39:40], v[14:15]
	s_waitcnt vmcnt(0)
	v_mul_f64 v[47:48], v[41:42], v[12:13]
	v_mul_f64 v[49:50], v[41:42], v[14:15]
	s_delay_alu instid0(VALU_DEP_4) | instskip(NEXT) | instid1(VALU_DEP_4)
	v_fma_f64 v[12:13], v[0:1], v[41:42], v[43:44]
	v_fma_f64 v[14:15], v[2:3], v[41:42], v[45:46]
	s_delay_alu instid0(VALU_DEP_4) | instskip(NEXT) | instid1(VALU_DEP_4)
	v_fma_f64 v[0:1], v[0:1], v[39:40], -v[47:48]
	v_fma_f64 v[2:3], v[2:3], v[39:40], -v[49:50]
	global_store_b128 v[10:11], v[12:15], off offset:-8
	v_add_co_u32 v10, vcc_lo, v10, s40
	v_add_co_ci_u32_e32 v11, vcc_lo, s41, v11, vcc_lo
	s_cbranch_scc0 .LBB134_90
	s_branch .LBB134_88
.LBB134_91:                             ;   in Loop: Header=BB134_4 Depth=1
	s_or_b32 exec_lo, exec_lo, s50
	s_mov_b32 s2, 0
.LBB134_92:                             ;   in Loop: Header=BB134_4 Depth=1
	s_delay_alu instid0(SALU_CYCLE_1)
	s_and_not1_b32 vcc_lo, exec_lo, s2
	s_cbranch_vccnz .LBB134_3
; %bb.93:                               ;   in Loop: Header=BB134_4 Depth=1
	s_and_saveexec_b32 s42, s66
	s_cbranch_execz .LBB134_2
; %bb.94:                               ;   in Loop: Header=BB134_4 Depth=1
	v_add_co_u32 v5, vcc_lo, v36, s79
	v_add_co_ci_u32_e32 v6, vcc_lo, s76, v37, vcc_lo
	s_lshl_b64 s[2:3], s[28:29], 4
	v_mov_b32_e32 v7, v4
	s_add_u32 s43, s77, s2
	s_addc_u32 s48, s78, s3
	s_mov_b32 s49, 0
	s_branch .LBB134_96
.LBB134_95:                             ;   in Loop: Header=BB134_96 Depth=2
	v_add_nc_u32_e32 v7, s26, v7
	v_add_co_u32 v5, s2, v5, s38
	s_delay_alu instid0(VALU_DEP_1) | instskip(NEXT) | instid1(VALU_DEP_3)
	v_add_co_ci_u32_e64 v6, s2, s39, v6, s2
	v_cmp_le_i32_e32 vcc_lo, s19, v7
	s_waitcnt vmcnt(0)
	global_store_b128 v[8:9], v[0:3], off
	s_or_b32 s49, vcc_lo, s49
	s_delay_alu instid0(SALU_CYCLE_1)
	s_and_not1_b32 exec_lo, exec_lo, s49
	s_cbranch_execz .LBB134_2
.LBB134_96:                             ;   Parent Loop BB134_4 Depth=1
                                        ; =>  This Loop Header: Depth=2
                                        ;       Child Loop BB134_97 Depth 3
	v_ashrrev_i32_e32 v8, 31, v7
	v_dual_mov_b32 v11, v6 :: v_dual_mov_b32 v10, v5
	s_mov_b64 s[2:3], s[46:47]
	s_mov_b64 s[20:21], s[44:45]
	s_delay_alu instid0(VALU_DEP_2) | instskip(SKIP_1) | instid1(VALU_DEP_1)
	v_lshlrev_b64 v[0:1], 4, v[7:8]
	s_mov_b32 s50, s60
	v_add_co_u32 v8, vcc_lo, s43, v0
	s_delay_alu instid0(VALU_DEP_2)
	v_add_co_ci_u32_e32 v9, vcc_lo, s48, v1, vcc_lo
	s_and_not1_b32 vcc_lo, exec_lo, s62
	global_load_b128 v[0:3], v[8:9], off
	s_cbranch_vccnz .LBB134_95
	.p2align	6
.LBB134_97:                             ;   Parent Loop BB134_4 Depth=1
                                        ;     Parent Loop BB134_96 Depth=2
                                        ; =>    This Inner Loop Header: Depth=3
	global_load_b128 v[12:15], v[10:11], off offset:-8
	s_clause 0x1
	global_load_b64 v[39:40], v38, s[20:21]
	global_load_b64 v[41:42], v38, s[2:3]
	s_add_i32 s50, s50, -1
	s_add_u32 s20, s20, -8
	s_addc_u32 s21, s21, -1
	s_add_u32 s2, s2, -8
	s_addc_u32 s3, s3, -1
	s_cmp_eq_u32 s50, 0
	s_waitcnt vmcnt(1)
	v_mul_f64 v[43:44], v[39:40], v[12:13]
	v_mul_f64 v[45:46], v[39:40], v[14:15]
	s_waitcnt vmcnt(0)
	v_mul_f64 v[47:48], v[41:42], v[12:13]
	v_mul_f64 v[49:50], v[41:42], v[14:15]
	s_delay_alu instid0(VALU_DEP_4) | instskip(NEXT) | instid1(VALU_DEP_4)
	v_fma_f64 v[12:13], v[0:1], v[41:42], v[43:44]
	v_fma_f64 v[14:15], v[2:3], v[41:42], v[45:46]
	s_delay_alu instid0(VALU_DEP_4) | instskip(NEXT) | instid1(VALU_DEP_4)
	v_fma_f64 v[0:1], v[0:1], v[39:40], -v[47:48]
	v_fma_f64 v[2:3], v[2:3], v[39:40], -v[49:50]
	global_store_b128 v[10:11], v[12:15], off offset:-8
	v_add_co_u32 v10, vcc_lo, v10, s74
	v_add_co_ci_u32_e32 v11, vcc_lo, s75, v11, vcc_lo
	s_cbranch_scc0 .LBB134_97
	s_branch .LBB134_95
.LBB134_98:
	s_nop 0
	s_sendmsg sendmsg(MSG_DEALLOC_VGPRS)
	s_endpgm
	.section	.rodata,"a",@progbits
	.p2align	6, 0x0
	.amdhsa_kernel _ZN9rocsolver6v33100L11lasr_kernelI19rocblas_complex_numIdEdPS3_iEEv13rocblas_side_14rocblas_pivot_15rocblas_direct_T2_S8_PT0_lSA_lT1_lS8_lS8_
		.amdhsa_group_segment_fixed_size 0
		.amdhsa_private_segment_fixed_size 0
		.amdhsa_kernarg_size 352
		.amdhsa_user_sgpr_count 14
		.amdhsa_user_sgpr_dispatch_ptr 0
		.amdhsa_user_sgpr_queue_ptr 0
		.amdhsa_user_sgpr_kernarg_segment_ptr 1
		.amdhsa_user_sgpr_dispatch_id 0
		.amdhsa_user_sgpr_private_segment_size 0
		.amdhsa_wavefront_size32 1
		.amdhsa_uses_dynamic_stack 0
		.amdhsa_enable_private_segment 0
		.amdhsa_system_sgpr_workgroup_id_x 1
		.amdhsa_system_sgpr_workgroup_id_y 0
		.amdhsa_system_sgpr_workgroup_id_z 1
		.amdhsa_system_sgpr_workgroup_info 0
		.amdhsa_system_vgpr_workitem_id 0
		.amdhsa_next_free_vgpr 55
		.amdhsa_next_free_sgpr 87
		.amdhsa_reserve_vcc 1
		.amdhsa_float_round_mode_32 0
		.amdhsa_float_round_mode_16_64 0
		.amdhsa_float_denorm_mode_32 3
		.amdhsa_float_denorm_mode_16_64 3
		.amdhsa_dx10_clamp 1
		.amdhsa_ieee_mode 1
		.amdhsa_fp16_overflow 0
		.amdhsa_workgroup_processor_mode 1
		.amdhsa_memory_ordered 1
		.amdhsa_forward_progress 0
		.amdhsa_shared_vgpr_count 0
		.amdhsa_exception_fp_ieee_invalid_op 0
		.amdhsa_exception_fp_denorm_src 0
		.amdhsa_exception_fp_ieee_div_zero 0
		.amdhsa_exception_fp_ieee_overflow 0
		.amdhsa_exception_fp_ieee_underflow 0
		.amdhsa_exception_fp_ieee_inexact 0
		.amdhsa_exception_int_div_zero 0
	.end_amdhsa_kernel
	.section	.text._ZN9rocsolver6v33100L11lasr_kernelI19rocblas_complex_numIdEdPS3_iEEv13rocblas_side_14rocblas_pivot_15rocblas_direct_T2_S8_PT0_lSA_lT1_lS8_lS8_,"axG",@progbits,_ZN9rocsolver6v33100L11lasr_kernelI19rocblas_complex_numIdEdPS3_iEEv13rocblas_side_14rocblas_pivot_15rocblas_direct_T2_S8_PT0_lSA_lT1_lS8_lS8_,comdat
.Lfunc_end134:
	.size	_ZN9rocsolver6v33100L11lasr_kernelI19rocblas_complex_numIdEdPS3_iEEv13rocblas_side_14rocblas_pivot_15rocblas_direct_T2_S8_PT0_lSA_lT1_lS8_lS8_, .Lfunc_end134-_ZN9rocsolver6v33100L11lasr_kernelI19rocblas_complex_numIdEdPS3_iEEv13rocblas_side_14rocblas_pivot_15rocblas_direct_T2_S8_PT0_lSA_lT1_lS8_lS8_
                                        ; -- End function
	.section	.AMDGPU.csdata,"",@progbits
; Kernel info:
; codeLenInByte = 5308
; NumSgprs: 89
; NumVgprs: 55
; ScratchSize: 0
; MemoryBound: 0
; FloatMode: 240
; IeeeMode: 1
; LDSByteSize: 0 bytes/workgroup (compile time only)
; SGPRBlocks: 11
; VGPRBlocks: 6
; NumSGPRsForWavesPerEU: 89
; NumVGPRsForWavesPerEU: 55
; Occupancy: 16
; WaveLimiterHint : 0
; COMPUTE_PGM_RSRC2:SCRATCH_EN: 0
; COMPUTE_PGM_RSRC2:USER_SGPR: 14
; COMPUTE_PGM_RSRC2:TRAP_HANDLER: 0
; COMPUTE_PGM_RSRC2:TGID_X_EN: 1
; COMPUTE_PGM_RSRC2:TGID_Y_EN: 0
; COMPUTE_PGM_RSRC2:TGID_Z_EN: 1
; COMPUTE_PGM_RSRC2:TIDIG_COMP_CNT: 0
	.section	.text._ZN9rocsolver6v33100L11scal_kernelId19rocblas_complex_numIdEiEEvT1_T_PT0_S4_,"axG",@progbits,_ZN9rocsolver6v33100L11scal_kernelId19rocblas_complex_numIdEiEEvT1_T_PT0_S4_,comdat
	.globl	_ZN9rocsolver6v33100L11scal_kernelId19rocblas_complex_numIdEiEEvT1_T_PT0_S4_ ; -- Begin function _ZN9rocsolver6v33100L11scal_kernelId19rocblas_complex_numIdEiEEvT1_T_PT0_S4_
	.p2align	8
	.type	_ZN9rocsolver6v33100L11scal_kernelId19rocblas_complex_numIdEiEEvT1_T_PT0_S4_,@function
_ZN9rocsolver6v33100L11scal_kernelId19rocblas_complex_numIdEiEEvT1_T_PT0_S4_: ; @_ZN9rocsolver6v33100L11scal_kernelId19rocblas_complex_numIdEiEEvT1_T_PT0_S4_
; %bb.0:
	s_load_b32 s10, s[0:1], 0x0
	s_waitcnt lgkmcnt(0)
	s_cmp_lt_i32 s10, 1
	s_cbranch_scc1 .LBB135_10
; %bb.1:
	s_clause 0x3
	s_load_b32 s2, s[0:1], 0x2c
	s_load_b32 s3, s[0:1], 0x20
	;; [unrolled: 1-line block ×3, first 2 shown]
	s_load_b128 s[4:7], s[0:1], 0x8
	s_waitcnt lgkmcnt(0)
	s_and_b32 s1, s2, 0xffff
	s_delay_alu instid0(SALU_CYCLE_1) | instskip(SKIP_3) | instid1(VALU_DEP_1)
	v_mad_u64_u32 v[1:2], null, s15, s1, v[0:1]
	s_mul_i32 s2, s3, s1
	s_cmp_eq_u32 s8, 1
	s_mov_b32 s1, -1
	v_cmp_gt_i32_e64 s0, s10, v1
	s_cbranch_scc1 .LBB135_6
; %bb.2:
	s_delay_alu instid0(VALU_DEP_1)
	s_and_saveexec_b32 s3, s0
	s_cbranch_execz .LBB135_5
; %bb.3:
	v_mad_i64_i32 v[2:3], null, s8, v1, 0
	s_mul_hi_i32 s9, s8, s2
	s_mul_i32 s8, s8, s2
	s_mov_b32 s11, 0
	s_lshl_b64 s[8:9], s[8:9], 4
	s_delay_alu instid0(VALU_DEP_1) | instskip(NEXT) | instid1(VALU_DEP_1)
	v_lshlrev_b64 v[2:3], 4, v[2:3]
	v_add_co_u32 v0, vcc_lo, v2, s6
	s_delay_alu instid0(VALU_DEP_2) | instskip(NEXT) | instid1(VALU_DEP_2)
	v_add_co_ci_u32_e32 v3, vcc_lo, s7, v3, vcc_lo
	v_add_co_u32 v2, vcc_lo, v0, 8
	s_delay_alu instid0(VALU_DEP_2)
	v_add_co_ci_u32_e32 v3, vcc_lo, 0, v3, vcc_lo
	v_mov_b32_e32 v0, v1
	.p2align	6
.LBB135_4:                              ; =>This Inner Loop Header: Depth=1
	global_load_b128 v[4:7], v[2:3], off offset:-8
	v_add_nc_u32_e32 v0, s2, v0
	s_delay_alu instid0(VALU_DEP_1)
	v_cmp_le_i32_e32 vcc_lo, s10, v0
	s_or_b32 s11, vcc_lo, s11
	s_waitcnt vmcnt(0)
	v_mul_f64 v[4:5], v[4:5], s[4:5]
	v_mul_f64 v[6:7], v[6:7], s[4:5]
	global_store_b128 v[2:3], v[4:7], off offset:-8
	v_add_co_u32 v2, s1, v2, s8
	s_delay_alu instid0(VALU_DEP_1)
	v_add_co_ci_u32_e64 v3, s1, s9, v3, s1
	s_and_not1_b32 exec_lo, exec_lo, s11
	s_cbranch_execnz .LBB135_4
.LBB135_5:
	s_or_b32 exec_lo, exec_lo, s3
	s_mov_b32 s1, 0
.LBB135_6:
	s_delay_alu instid0(SALU_CYCLE_1)
	s_and_not1_b32 vcc_lo, exec_lo, s1
	s_cbranch_vccnz .LBB135_10
; %bb.7:
	s_delay_alu instid0(VALU_DEP_1)
	s_and_saveexec_b32 s1, s0
	s_cbranch_execz .LBB135_10
; %bb.8:
	v_ashrrev_i32_e32 v2, 31, v1
	s_ashr_i32 s3, s2, 31
	s_mov_b32 s1, 0
	s_delay_alu instid0(VALU_DEP_1) | instskip(NEXT) | instid1(VALU_DEP_1)
	v_lshlrev_b64 v[2:3], 4, v[1:2]
	v_add_co_u32 v0, vcc_lo, v2, s6
	s_delay_alu instid0(VALU_DEP_2) | instskip(SKIP_1) | instid1(VALU_DEP_2)
	v_add_co_ci_u32_e32 v3, vcc_lo, s7, v3, vcc_lo
	s_lshl_b64 s[6:7], s[2:3], 4
	v_add_co_u32 v2, vcc_lo, v0, 8
	s_delay_alu instid0(VALU_DEP_2)
	v_add_co_ci_u32_e32 v3, vcc_lo, 0, v3, vcc_lo
	.p2align	6
.LBB135_9:                              ; =>This Inner Loop Header: Depth=1
	global_load_b128 v[4:7], v[2:3], off offset:-8
	v_add_nc_u32_e32 v1, s2, v1
	s_delay_alu instid0(VALU_DEP_1)
	v_cmp_le_i32_e32 vcc_lo, s10, v1
	s_or_b32 s1, vcc_lo, s1
	s_waitcnt vmcnt(0)
	v_mul_f64 v[4:5], v[4:5], s[4:5]
	v_mul_f64 v[6:7], v[6:7], s[4:5]
	global_store_b128 v[2:3], v[4:7], off offset:-8
	v_add_co_u32 v2, s0, v2, s6
	s_delay_alu instid0(VALU_DEP_1)
	v_add_co_ci_u32_e64 v3, s0, s7, v3, s0
	s_and_not1_b32 exec_lo, exec_lo, s1
	s_cbranch_execnz .LBB135_9
.LBB135_10:
	s_nop 0
	s_sendmsg sendmsg(MSG_DEALLOC_VGPRS)
	s_endpgm
	.section	.rodata,"a",@progbits
	.p2align	6, 0x0
	.amdhsa_kernel _ZN9rocsolver6v33100L11scal_kernelId19rocblas_complex_numIdEiEEvT1_T_PT0_S4_
		.amdhsa_group_segment_fixed_size 0
		.amdhsa_private_segment_fixed_size 0
		.amdhsa_kernarg_size 288
		.amdhsa_user_sgpr_count 15
		.amdhsa_user_sgpr_dispatch_ptr 0
		.amdhsa_user_sgpr_queue_ptr 0
		.amdhsa_user_sgpr_kernarg_segment_ptr 1
		.amdhsa_user_sgpr_dispatch_id 0
		.amdhsa_user_sgpr_private_segment_size 0
		.amdhsa_wavefront_size32 1
		.amdhsa_uses_dynamic_stack 0
		.amdhsa_enable_private_segment 0
		.amdhsa_system_sgpr_workgroup_id_x 1
		.amdhsa_system_sgpr_workgroup_id_y 0
		.amdhsa_system_sgpr_workgroup_id_z 0
		.amdhsa_system_sgpr_workgroup_info 0
		.amdhsa_system_vgpr_workitem_id 0
		.amdhsa_next_free_vgpr 8
		.amdhsa_next_free_sgpr 16
		.amdhsa_reserve_vcc 1
		.amdhsa_float_round_mode_32 0
		.amdhsa_float_round_mode_16_64 0
		.amdhsa_float_denorm_mode_32 3
		.amdhsa_float_denorm_mode_16_64 3
		.amdhsa_dx10_clamp 1
		.amdhsa_ieee_mode 1
		.amdhsa_fp16_overflow 0
		.amdhsa_workgroup_processor_mode 1
		.amdhsa_memory_ordered 1
		.amdhsa_forward_progress 0
		.amdhsa_shared_vgpr_count 0
		.amdhsa_exception_fp_ieee_invalid_op 0
		.amdhsa_exception_fp_denorm_src 0
		.amdhsa_exception_fp_ieee_div_zero 0
		.amdhsa_exception_fp_ieee_overflow 0
		.amdhsa_exception_fp_ieee_underflow 0
		.amdhsa_exception_fp_ieee_inexact 0
		.amdhsa_exception_int_div_zero 0
	.end_amdhsa_kernel
	.section	.text._ZN9rocsolver6v33100L11scal_kernelId19rocblas_complex_numIdEiEEvT1_T_PT0_S4_,"axG",@progbits,_ZN9rocsolver6v33100L11scal_kernelId19rocblas_complex_numIdEiEEvT1_T_PT0_S4_,comdat
.Lfunc_end135:
	.size	_ZN9rocsolver6v33100L11scal_kernelId19rocblas_complex_numIdEiEEvT1_T_PT0_S4_, .Lfunc_end135-_ZN9rocsolver6v33100L11scal_kernelId19rocblas_complex_numIdEiEEvT1_T_PT0_S4_
                                        ; -- End function
	.section	.AMDGPU.csdata,"",@progbits
; Kernel info:
; codeLenInByte = 452
; NumSgprs: 18
; NumVgprs: 8
; ScratchSize: 0
; MemoryBound: 0
; FloatMode: 240
; IeeeMode: 1
; LDSByteSize: 0 bytes/workgroup (compile time only)
; SGPRBlocks: 2
; VGPRBlocks: 0
; NumSGPRsForWavesPerEU: 18
; NumVGPRsForWavesPerEU: 8
; Occupancy: 16
; WaveLimiterHint : 0
; COMPUTE_PGM_RSRC2:SCRATCH_EN: 0
; COMPUTE_PGM_RSRC2:USER_SGPR: 15
; COMPUTE_PGM_RSRC2:TRAP_HANDLER: 0
; COMPUTE_PGM_RSRC2:TGID_X_EN: 1
; COMPUTE_PGM_RSRC2:TGID_Y_EN: 0
; COMPUTE_PGM_RSRC2:TGID_Z_EN: 0
; COMPUTE_PGM_RSRC2:TIDIG_COMP_CNT: 0
	.section	.text._ZN9rocsolver6v33100L17bdsqr_lower2upperI19rocblas_complex_numIdEdPS3_S4_EEviiiPT0_lS6_lT1_iilT2_iilPiS6_lS9_,"axG",@progbits,_ZN9rocsolver6v33100L17bdsqr_lower2upperI19rocblas_complex_numIdEdPS3_S4_EEviiiPT0_lS6_lT1_iilT2_iilPiS6_lS9_,comdat
	.globl	_ZN9rocsolver6v33100L17bdsqr_lower2upperI19rocblas_complex_numIdEdPS3_S4_EEviiiPT0_lS6_lT1_iilT2_iilPiS6_lS9_ ; -- Begin function _ZN9rocsolver6v33100L17bdsqr_lower2upperI19rocblas_complex_numIdEdPS3_S4_EEviiiPT0_lS6_lT1_iilT2_iilPiS6_lS9_
	.p2align	8
	.type	_ZN9rocsolver6v33100L17bdsqr_lower2upperI19rocblas_complex_numIdEdPS3_S4_EEviiiPT0_lS6_lT1_iilT2_iilPiS6_lS9_,@function
_ZN9rocsolver6v33100L17bdsqr_lower2upperI19rocblas_complex_numIdEdPS3_S4_EEviiiPT0_lS6_lT1_iilT2_iilPiS6_lS9_: ; @_ZN9rocsolver6v33100L17bdsqr_lower2upperI19rocblas_complex_numIdEdPS3_S4_EEviiiPT0_lS6_lT1_iilT2_iilPiS6_lS9_
; %bb.0:
	s_load_b64 s[2:3], s[0:1], 0x78
	s_mov_b32 s24, s15
	s_ashr_i32 s25, s15, 31
	s_delay_alu instid0(SALU_CYCLE_1)
	s_lshl_b64 s[4:5], s[24:25], 2
	s_waitcnt lgkmcnt(0)
	s_add_u32 s2, s2, s4
	s_addc_u32 s3, s3, s5
	s_load_b32 s2, s[2:3], 0x8
	s_waitcnt lgkmcnt(0)
	s_cmp_lg_u32 s2, 0
	s_cbranch_scc1 .LBB136_34
; %bb.1:
	s_clause 0x1
	s_load_b256 s[4:11], s[0:1], 0x30
	s_load_b128 s[12:15], s[0:1], 0x68
	s_mov_b64 s[20:21], 0
	s_mov_b64 s[22:23], 0
	s_waitcnt lgkmcnt(0)
	s_cmp_eq_u64 s[4:5], 0
	s_cbranch_scc1 .LBB136_3
; %bb.2:
	s_mul_i32 s2, s24, s9
	s_mul_hi_u32 s3, s24, s8
	s_mul_i32 s9, s25, s8
	s_add_i32 s2, s3, s2
	s_delay_alu instid0(SALU_CYCLE_1)
	s_add_i32 s3, s2, s9
	s_mul_i32 s2, s24, s8
	s_ashr_i32 s9, s6, 31
	s_lshl_b64 s[2:3], s[2:3], 4
	s_mov_b32 s8, s6
	s_add_u32 s4, s4, s2
	s_addc_u32 s5, s5, s3
	s_lshl_b64 s[2:3], s[8:9], 4
	s_delay_alu instid0(SALU_CYCLE_1)
	s_add_u32 s22, s4, s2
	s_addc_u32 s23, s5, s3
.LBB136_3:
	s_load_b64 s[2:3], s[0:1], 0x50
	s_cmp_eq_u64 s[10:11], 0
	s_cbranch_scc1 .LBB136_5
; %bb.4:
	s_load_b64 s[4:5], s[0:1], 0x58
	s_waitcnt lgkmcnt(0)
	s_ashr_i32 s9, s2, 31
	s_mul_i32 s5, s24, s5
	s_mul_hi_u32 s6, s24, s4
	s_mul_i32 s8, s25, s4
	s_add_i32 s5, s6, s5
	s_mul_i32 s4, s24, s4
	s_add_i32 s5, s5, s8
	s_mov_b32 s8, s2
	s_lshl_b64 s[4:5], s[4:5], 4
	s_delay_alu instid0(SALU_CYCLE_1) | instskip(SKIP_2) | instid1(SALU_CYCLE_1)
	s_add_u32 s2, s10, s4
	s_addc_u32 s6, s11, s5
	s_lshl_b64 s[4:5], s[8:9], 4
	s_add_u32 s20, s2, s4
	s_addc_u32 s21, s6, s5
.LBB136_5:
	s_load_b128 s[16:19], s[0:1], 0x0
	s_waitcnt lgkmcnt(0)
	s_mul_i32 s2, s24, s15
	s_mul_hi_u32 s4, s24, s14
	s_delay_alu instid0(SALU_CYCLE_1) | instskip(SKIP_1) | instid1(SALU_CYCLE_1)
	s_add_i32 s2, s4, s2
	s_mul_i32 s4, s25, s14
	s_add_i32 s5, s2, s4
	s_mul_i32 s4, s24, s14
	s_mov_b32 s2, exec_lo
	s_lshl_b64 s[4:5], s[4:5], 3
	s_delay_alu instid0(SALU_CYCLE_1)
	s_add_u32 s19, s12, s4
	s_addc_u32 s30, s13, s5
	v_cmpx_eq_u32_e32 0, v0
	s_cbranch_execz .LBB136_22
; %bb.6:
	s_load_b256 s[8:15], s[0:1], 0x10
	s_waitcnt lgkmcnt(0)
	s_mul_i32 s4, s24, s11
	s_mul_hi_u32 s5, s24, s10
	s_mul_i32 s6, s25, s10
	s_add_i32 s4, s5, s4
	s_delay_alu instid0(SALU_CYCLE_1) | instskip(SKIP_1) | instid1(SALU_CYCLE_1)
	s_add_i32 s5, s4, s6
	s_mul_i32 s4, s24, s10
	s_lshl_b64 s[26:27], s[4:5], 3
	s_delay_alu instid0(SALU_CYCLE_1)
	s_add_u32 s4, s8, s26
	s_addc_u32 s5, s9, s27
	s_add_i32 s10, s16, -1
	s_load_b64 s[28:29], s[4:5], 0x0
	s_cmp_lt_i32 s16, 2
	s_waitcnt lgkmcnt(0)
	v_dual_mov_b32 v1, s28 :: v_dual_mov_b32 v2, s29
	s_cbranch_scc1 .LBB136_21
; %bb.7:
	s_mul_i32 s6, s24, s15
	s_mul_hi_u32 s11, s24, s14
	v_dual_mov_b32 v1, s28 :: v_dual_mov_b32 v2, s29
	s_add_i32 s6, s11, s6
	s_mul_i32 s11, s25, s14
	s_mul_i32 s14, s24, s14
	s_add_i32 s15, s6, s11
	v_mov_b32_e32 v9, 0
	s_lshl_b64 s[14:15], s[14:15], 3
	s_mov_b32 s11, 0
	s_add_u32 s24, s14, s12
	s_addc_u32 s25, s15, s13
	s_or_b32 s6, s18, s17
	s_load_b64 s[34:35], s[24:25], 0x0
	s_cmp_lg_u32 s6, 0
	s_mov_b32 s13, 0
	s_cselect_b32 s6, -1, 0
	s_add_u32 s14, s19, 32
	s_addc_u32 s15, s30, 0
	s_add_u32 s8, s26, s8
	s_addc_u32 s9, s27, s9
	;; [unrolled: 2-line block ×4, first 2 shown]
	s_mov_b64 s[26:27], s[14:15]
	s_waitcnt lgkmcnt(0)
	v_dual_mov_b32 v3, s34 :: v_dual_mov_b32 v4, s35
	s_branch .LBB136_9
.LBB136_8:                              ;   in Loop: Header=BB136_9 Depth=1
	s_waitcnt vmcnt(0)
	v_mul_f64 v[1:2], v[5:6], v[1:2]
	s_add_i32 s11, s11, 1
	s_add_u32 s26, s26, 8
	s_addc_u32 s27, s27, 0
	s_add_u32 s8, s8, 8
	s_addc_u32 s9, s9, 0
	;; [unrolled: 2-line block ×3, first 2 shown]
	s_cmp_lg_u32 s10, s11
	s_cbranch_scc0 .LBB136_21
.LBB136_9:                              ; =>This Inner Loop Header: Depth=1
	s_delay_alu instid0(VALU_DEP_1)
	v_cmp_eq_f64_e32 vcc_lo, 0, v[3:4]
	v_mov_b32_e32 v7, 0
	v_mov_b32_e32 v8, 0
	s_cbranch_vccnz .LBB136_13
; %bb.10:                               ;   in Loop: Header=BB136_9 Depth=1
	s_delay_alu instid0(VALU_DEP_4)
	v_cmp_neq_f64_e32 vcc_lo, 0, v[1:2]
	s_cbranch_vccz .LBB136_14
; %bb.11:                               ;   in Loop: Header=BB136_9 Depth=1
	v_cmp_ngt_f64_e64 s12, |v[3:4]|, |v[1:2]|
	s_delay_alu instid0(VALU_DEP_1)
	s_and_b32 vcc_lo, exec_lo, s12
	s_cbranch_vccz .LBB136_15
; %bb.12:                               ;   in Loop: Header=BB136_9 Depth=1
	v_div_scale_f64 v[5:6], null, v[1:2], v[1:2], -v[3:4]
	v_div_scale_f64 v[12:13], vcc_lo, -v[3:4], v[1:2], -v[3:4]
	s_delay_alu instid0(VALU_DEP_2) | instskip(SKIP_2) | instid1(VALU_DEP_1)
	v_rcp_f64_e32 v[7:8], v[5:6]
	s_waitcnt_depctr 0xfff
	v_fma_f64 v[10:11], -v[5:6], v[7:8], 1.0
	v_fma_f64 v[7:8], v[7:8], v[10:11], v[7:8]
	s_delay_alu instid0(VALU_DEP_1) | instskip(NEXT) | instid1(VALU_DEP_1)
	v_fma_f64 v[10:11], -v[5:6], v[7:8], 1.0
	v_fma_f64 v[7:8], v[7:8], v[10:11], v[7:8]
	s_delay_alu instid0(VALU_DEP_1) | instskip(NEXT) | instid1(VALU_DEP_1)
	v_mul_f64 v[10:11], v[12:13], v[7:8]
	v_fma_f64 v[5:6], -v[5:6], v[10:11], v[12:13]
	s_delay_alu instid0(VALU_DEP_1) | instskip(NEXT) | instid1(VALU_DEP_1)
	v_div_fmas_f64 v[5:6], v[5:6], v[7:8], v[10:11]
	v_div_fixup_f64 v[7:8], v[5:6], v[1:2], -v[3:4]
	s_delay_alu instid0(VALU_DEP_1) | instskip(NEXT) | instid1(VALU_DEP_1)
	v_fma_f64 v[5:6], v[7:8], v[7:8], 1.0
	v_cmp_gt_f64_e32 vcc_lo, 0x10000000, v[5:6]
	v_cndmask_b32_e64 v10, 0, 1, vcc_lo
	s_and_b32 s12, vcc_lo, exec_lo
	s_cselect_b32 s12, 0xffffff80, 0
	s_delay_alu instid0(VALU_DEP_1) | instskip(NEXT) | instid1(VALU_DEP_1)
	v_lshlrev_b32_e32 v10, 8, v10
	v_ldexp_f64 v[5:6], v[5:6], v10
	s_delay_alu instid0(VALU_DEP_1) | instskip(SKIP_4) | instid1(VALU_DEP_1)
	v_rsq_f64_e32 v[10:11], v[5:6]
	v_cmp_class_f64_e64 vcc_lo, v[5:6], 0x260
	s_waitcnt_depctr 0xfff
	v_mul_f64 v[12:13], v[5:6], v[10:11]
	v_mul_f64 v[10:11], v[10:11], 0.5
	v_fma_f64 v[14:15], -v[10:11], v[12:13], 0.5
	s_delay_alu instid0(VALU_DEP_1) | instskip(SKIP_1) | instid1(VALU_DEP_2)
	v_fma_f64 v[12:13], v[12:13], v[14:15], v[12:13]
	v_fma_f64 v[10:11], v[10:11], v[14:15], v[10:11]
	v_fma_f64 v[14:15], -v[12:13], v[12:13], v[5:6]
	s_delay_alu instid0(VALU_DEP_1) | instskip(NEXT) | instid1(VALU_DEP_1)
	v_fma_f64 v[12:13], v[14:15], v[10:11], v[12:13]
	v_fma_f64 v[14:15], -v[12:13], v[12:13], v[5:6]
	s_delay_alu instid0(VALU_DEP_1) | instskip(NEXT) | instid1(VALU_DEP_1)
	v_fma_f64 v[10:11], v[14:15], v[10:11], v[12:13]
	v_ldexp_f64 v[10:11], v[10:11], s12
	s_delay_alu instid0(VALU_DEP_1) | instskip(NEXT) | instid1(VALU_DEP_1)
	v_dual_cndmask_b32 v6, v11, v6 :: v_dual_cndmask_b32 v5, v10, v5
	v_div_scale_f64 v[10:11], null, v[5:6], v[5:6], 1.0
	s_delay_alu instid0(VALU_DEP_1) | instskip(SKIP_2) | instid1(VALU_DEP_1)
	v_rcp_f64_e32 v[12:13], v[10:11]
	s_waitcnt_depctr 0xfff
	v_fma_f64 v[14:15], -v[10:11], v[12:13], 1.0
	v_fma_f64 v[12:13], v[12:13], v[14:15], v[12:13]
	s_delay_alu instid0(VALU_DEP_1) | instskip(NEXT) | instid1(VALU_DEP_1)
	v_fma_f64 v[14:15], -v[10:11], v[12:13], 1.0
	v_fma_f64 v[12:13], v[12:13], v[14:15], v[12:13]
	v_div_scale_f64 v[14:15], vcc_lo, 1.0, v[5:6], 1.0
	s_delay_alu instid0(VALU_DEP_1) | instskip(NEXT) | instid1(VALU_DEP_1)
	v_mul_f64 v[16:17], v[14:15], v[12:13]
	v_fma_f64 v[10:11], -v[10:11], v[16:17], v[14:15]
	s_delay_alu instid0(VALU_DEP_1) | instskip(NEXT) | instid1(VALU_DEP_1)
	v_div_fmas_f64 v[10:11], v[10:11], v[12:13], v[16:17]
	v_div_fixup_f64 v[5:6], v[10:11], v[5:6], 1.0
	s_delay_alu instid0(VALU_DEP_1)
	v_mul_f64 v[7:8], v[7:8], v[5:6]
	s_cbranch_execz .LBB136_16
	s_branch .LBB136_17
.LBB136_13:                             ;   in Loop: Header=BB136_9 Depth=1
	v_mov_b32_e32 v5, 0
	v_mov_b32_e32 v6, 0x3ff00000
	s_branch .LBB136_19
.LBB136_14:                             ;   in Loop: Header=BB136_9 Depth=1
                                        ; implicit-def: $vgpr1_vgpr2
                                        ; implicit-def: $vgpr5_vgpr6
                                        ; implicit-def: $vgpr7_vgpr8
	s_cbranch_execnz .LBB136_18
	s_branch .LBB136_19
.LBB136_15:                             ;   in Loop: Header=BB136_9 Depth=1
                                        ; implicit-def: $vgpr5_vgpr6
                                        ; implicit-def: $vgpr7_vgpr8
.LBB136_16:                             ;   in Loop: Header=BB136_9 Depth=1
	v_div_scale_f64 v[5:6], null, v[3:4], v[3:4], -v[1:2]
	v_div_scale_f64 v[12:13], vcc_lo, -v[1:2], v[3:4], -v[1:2]
	s_delay_alu instid0(VALU_DEP_2) | instskip(SKIP_2) | instid1(VALU_DEP_1)
	v_rcp_f64_e32 v[7:8], v[5:6]
	s_waitcnt_depctr 0xfff
	v_fma_f64 v[10:11], -v[5:6], v[7:8], 1.0
	v_fma_f64 v[7:8], v[7:8], v[10:11], v[7:8]
	s_delay_alu instid0(VALU_DEP_1) | instskip(NEXT) | instid1(VALU_DEP_1)
	v_fma_f64 v[10:11], -v[5:6], v[7:8], 1.0
	v_fma_f64 v[7:8], v[7:8], v[10:11], v[7:8]
	s_delay_alu instid0(VALU_DEP_1) | instskip(NEXT) | instid1(VALU_DEP_1)
	v_mul_f64 v[10:11], v[12:13], v[7:8]
	v_fma_f64 v[5:6], -v[5:6], v[10:11], v[12:13]
	s_delay_alu instid0(VALU_DEP_1) | instskip(NEXT) | instid1(VALU_DEP_1)
	v_div_fmas_f64 v[5:6], v[5:6], v[7:8], v[10:11]
	v_div_fixup_f64 v[5:6], v[5:6], v[3:4], -v[1:2]
	s_delay_alu instid0(VALU_DEP_1) | instskip(NEXT) | instid1(VALU_DEP_1)
	v_fma_f64 v[7:8], v[5:6], v[5:6], 1.0
	v_cmp_gt_f64_e32 vcc_lo, 0x10000000, v[7:8]
	v_cndmask_b32_e64 v10, 0, 1, vcc_lo
	s_and_b32 s12, vcc_lo, exec_lo
	s_cselect_b32 s12, 0xffffff80, 0
	s_delay_alu instid0(VALU_DEP_1) | instskip(NEXT) | instid1(VALU_DEP_1)
	v_lshlrev_b32_e32 v10, 8, v10
	v_ldexp_f64 v[7:8], v[7:8], v10
	s_delay_alu instid0(VALU_DEP_1) | instskip(SKIP_4) | instid1(VALU_DEP_1)
	v_rsq_f64_e32 v[10:11], v[7:8]
	v_cmp_class_f64_e64 vcc_lo, v[7:8], 0x260
	s_waitcnt_depctr 0xfff
	v_mul_f64 v[12:13], v[7:8], v[10:11]
	v_mul_f64 v[10:11], v[10:11], 0.5
	v_fma_f64 v[14:15], -v[10:11], v[12:13], 0.5
	s_delay_alu instid0(VALU_DEP_1) | instskip(SKIP_1) | instid1(VALU_DEP_2)
	v_fma_f64 v[12:13], v[12:13], v[14:15], v[12:13]
	v_fma_f64 v[10:11], v[10:11], v[14:15], v[10:11]
	v_fma_f64 v[14:15], -v[12:13], v[12:13], v[7:8]
	s_delay_alu instid0(VALU_DEP_1) | instskip(NEXT) | instid1(VALU_DEP_1)
	v_fma_f64 v[12:13], v[14:15], v[10:11], v[12:13]
	v_fma_f64 v[14:15], -v[12:13], v[12:13], v[7:8]
	s_delay_alu instid0(VALU_DEP_1) | instskip(NEXT) | instid1(VALU_DEP_1)
	v_fma_f64 v[10:11], v[14:15], v[10:11], v[12:13]
	v_ldexp_f64 v[10:11], v[10:11], s12
	s_delay_alu instid0(VALU_DEP_1) | instskip(NEXT) | instid1(VALU_DEP_1)
	v_dual_cndmask_b32 v8, v11, v8 :: v_dual_cndmask_b32 v7, v10, v7
	v_div_scale_f64 v[10:11], null, v[7:8], v[7:8], 1.0
	s_delay_alu instid0(VALU_DEP_1) | instskip(SKIP_2) | instid1(VALU_DEP_1)
	v_rcp_f64_e32 v[12:13], v[10:11]
	s_waitcnt_depctr 0xfff
	v_fma_f64 v[14:15], -v[10:11], v[12:13], 1.0
	v_fma_f64 v[12:13], v[12:13], v[14:15], v[12:13]
	s_delay_alu instid0(VALU_DEP_1) | instskip(NEXT) | instid1(VALU_DEP_1)
	v_fma_f64 v[14:15], -v[10:11], v[12:13], 1.0
	v_fma_f64 v[12:13], v[12:13], v[14:15], v[12:13]
	v_div_scale_f64 v[14:15], vcc_lo, 1.0, v[7:8], 1.0
	s_delay_alu instid0(VALU_DEP_1) | instskip(NEXT) | instid1(VALU_DEP_1)
	v_mul_f64 v[16:17], v[14:15], v[12:13]
	v_fma_f64 v[10:11], -v[10:11], v[16:17], v[14:15]
	s_delay_alu instid0(VALU_DEP_1) | instskip(NEXT) | instid1(VALU_DEP_1)
	v_div_fmas_f64 v[10:11], v[10:11], v[12:13], v[16:17]
	v_div_fixup_f64 v[7:8], v[10:11], v[7:8], 1.0
	s_delay_alu instid0(VALU_DEP_1)
	v_mul_f64 v[5:6], v[5:6], v[7:8]
.LBB136_17:                             ;   in Loop: Header=BB136_9 Depth=1
	s_delay_alu instid0(VALU_DEP_1) | instskip(NEXT) | instid1(VALU_DEP_1)
	v_mul_f64 v[10:11], v[3:4], v[7:8]
	v_fma_f64 v[1:2], v[1:2], v[5:6], -v[10:11]
	s_branch .LBB136_19
.LBB136_18:                             ;   in Loop: Header=BB136_9 Depth=1
	v_xor_b32_e32 v4, 0x80000000, v4
	v_mov_b32_e32 v5, 0
	v_dual_mov_b32 v6, 0 :: v_dual_mov_b32 v7, 0
	v_dual_mov_b32 v8, 0x3ff00000 :: v_dual_mov_b32 v1, v3
	s_delay_alu instid0(VALU_DEP_4)
	v_mov_b32_e32 v2, v4
.LBB136_19:                             ;   in Loop: Header=BB136_9 Depth=1
	global_load_b64 v[10:11], v9, s[8:9]
	global_store_b64 v9, v[1:2], s[8:9] offset:-8
	global_load_b64 v[3:4], v9, s[24:25]
	s_and_not1_b32 vcc_lo, exec_lo, s6
	s_waitcnt vmcnt(1)
	v_mul_f64 v[1:2], v[10:11], -v[7:8]
	global_store_b64 v9, v[1:2], s[24:25] offset:-8
	global_load_b64 v[1:2], v9, s[8:9]
	s_cbranch_vccnz .LBB136_8
; %bb.20:                               ;   in Loop: Header=BB136_9 Depth=1
	s_add_i32 s12, s16, s11
	s_delay_alu instid0(SALU_CYCLE_1) | instskip(NEXT) | instid1(SALU_CYCLE_1)
	s_lshl_b64 s[28:29], s[12:13], 3
	s_add_u32 s28, s14, s28
	s_addc_u32 s29, s15, s29
	s_clause 0x1
	global_store_b64 v9, v[5:6], s[26:27]
	global_store_b64 v9, v[7:8], s[28:29]
	s_branch .LBB136_8
.LBB136_21:
	s_ashr_i32 s11, s10, 31
	v_mov_b32_e32 v3, 0
	s_lshl_b64 s[8:9], s[10:11], 3
	s_delay_alu instid0(SALU_CYCLE_1)
	s_add_u32 s4, s4, s8
	s_addc_u32 s5, s5, s9
	global_store_b64 v3, v[1:2], s[4:5]
.LBB136_22:
	s_or_b32 exec_lo, exec_lo, s2
	s_delay_alu instid0(SALU_CYCLE_1)
	s_mov_b32 s24, exec_lo
	s_waitcnt_vscnt null, 0x0
	s_barrier
	buffer_gl0_inv
	v_cmpx_gt_i32_e64 s17, v0
	s_cbranch_execz .LBB136_28
; %bb.23:
	s_load_b32 s2, s[0:1], 0x8c
	s_add_i32 s25, s16, -1
	s_cmp_gt_i32 s16, 1
	s_mul_i32 s12, s25, s7
	s_cselect_b32 s26, -1, 0
	v_dual_mov_b32 v10, 0 :: v_dual_mov_b32 v5, v0
	s_mov_b32 s10, s7
	s_mov_b32 s5, 0
	;; [unrolled: 1-line block ×3, first 2 shown]
	s_waitcnt lgkmcnt(0)
	s_and_b32 s27, s2, 0xffff
	s_add_u32 s8, s19, 32
	s_addc_u32 s9, s30, 0
	s_ashr_i32 s13, s12, 31
	s_ashr_i32 s11, s7, 31
	s_lshl_b64 s[6:7], s[4:5], 3
	s_lshl_b64 s[10:11], s[10:11], 4
	;; [unrolled: 1-line block ×3, first 2 shown]
	s_branch .LBB136_25
.LBB136_24:                             ;   in Loop: Header=BB136_25 Depth=1
	s_set_inst_prefetch_distance 0x2
	v_add_nc_u32_e32 v5, s27, v5
	v_add_co_u32 v6, s2, v6, s12
	s_delay_alu instid0(VALU_DEP_1) | instskip(NEXT) | instid1(VALU_DEP_3)
	v_add_co_ci_u32_e64 v7, s2, s13, v7, s2
	v_cmp_le_i32_e32 vcc_lo, s17, v5
	s_waitcnt vmcnt(0) lgkmcnt(0)
	flat_store_b128 v[6:7], v[1:4]
	s_or_b32 s5, vcc_lo, s5
	s_delay_alu instid0(SALU_CYCLE_1)
	s_and_not1_b32 exec_lo, exec_lo, s5
	s_cbranch_execz .LBB136_28
.LBB136_25:                             ; =>This Loop Header: Depth=1
                                        ;     Child Loop BB136_27 Depth 2
	v_ashrrev_i32_e32 v6, 31, v5
	s_delay_alu instid0(VALU_DEP_1) | instskip(NEXT) | instid1(VALU_DEP_1)
	v_lshlrev_b64 v[1:2], 4, v[5:6]
	v_add_co_u32 v6, vcc_lo, s22, v1
	s_delay_alu instid0(VALU_DEP_2)
	v_add_co_ci_u32_e32 v7, vcc_lo, s23, v2, vcc_lo
	s_and_not1_b32 vcc_lo, exec_lo, s26
	flat_load_b128 v[1:4], v[6:7]
	s_cbranch_vccnz .LBB136_24
; %bb.26:                               ;   in Loop: Header=BB136_25 Depth=1
	v_dual_mov_b32 v9, v7 :: v_dual_mov_b32 v8, v6
	s_mov_b32 s2, s25
	s_mov_b64 s[14:15], s[8:9]
	s_set_inst_prefetch_distance 0x1
	.p2align	6
.LBB136_27:                             ;   Parent Loop BB136_25 Depth=1
                                        ; =>  This Inner Loop Header: Depth=2
	s_delay_alu instid0(VALU_DEP_1) | instskip(NEXT) | instid1(VALU_DEP_2)
	v_add_co_u32 v19, vcc_lo, v8, s10
	v_add_co_ci_u32_e32 v20, vcc_lo, s11, v9, vcc_lo
	s_add_u32 s28, s14, s6
	s_addc_u32 s29, s15, s7
	global_load_b64 v[15:16], v10, s[28:29]
	flat_load_b128 v[11:14], v[19:20]
	global_load_b64 v[21:22], v10, s[14:15]
	s_add_u32 s14, s14, 8
	s_addc_u32 s15, s15, 0
	s_add_i32 s2, s2, -1
	s_delay_alu instid0(SALU_CYCLE_1)
	s_cmp_lg_u32 s2, 0
	s_waitcnt vmcnt(2) lgkmcnt(1)
	v_mul_f64 v[25:26], v[1:2], v[15:16]
	s_waitcnt vmcnt(1) lgkmcnt(0)
	v_mul_f64 v[17:18], v[11:12], v[15:16]
	v_mul_f64 v[23:24], v[13:14], v[15:16]
	;; [unrolled: 1-line block ×3, first 2 shown]
	s_waitcnt vmcnt(0)
	s_delay_alu instid0(VALU_DEP_3) | instskip(NEXT) | instid1(VALU_DEP_3)
	v_fma_f64 v[15:16], v[1:2], v[21:22], -v[17:18]
	v_fma_f64 v[17:18], v[3:4], v[21:22], -v[23:24]
	v_fma_f64 v[1:2], v[11:12], v[21:22], v[25:26]
	s_delay_alu instid0(VALU_DEP_4)
	v_fma_f64 v[3:4], v[13:14], v[21:22], v[27:28]
	flat_store_b128 v[8:9], v[15:18]
	v_dual_mov_b32 v8, v19 :: v_dual_mov_b32 v9, v20
	s_cbranch_scc1 .LBB136_27
	s_branch .LBB136_24
.LBB136_28:
	s_or_b32 exec_lo, exec_lo, s24
	s_delay_alu instid0(SALU_CYCLE_1)
	s_mov_b32 s2, exec_lo
	v_cmpx_gt_i32_e64 s18, v0
	s_cbranch_execz .LBB136_34
; %bb.29:
	s_load_b32 s0, s[0:1], 0x8c
	s_add_i32 s4, s16, -1
	v_mul_lo_u32 v5, v0, s3
	s_cmp_gt_i32 s16, 1
	v_mov_b32_e32 v11, 0
	s_cselect_b32 s2, -1, 0
	s_mov_b32 s17, 0
	s_waitcnt lgkmcnt(0)
	s_and_b32 s12, s0, 0xffff
	s_add_u32 s6, s19, 32
	s_addc_u32 s7, s30, 0
	s_ashr_i32 s5, s4, 31
	s_mul_i32 s13, s3, s12
	s_lshl_b64 s[8:9], s[16:17], 3
	s_lshl_b64 s[10:11], s[4:5], 4
	s_branch .LBB136_31
.LBB136_30:                             ;   in Loop: Header=BB136_31 Depth=1
	s_set_inst_prefetch_distance 0x2
	v_add_nc_u32_e32 v0, s12, v0
	v_add_co_u32 v6, s0, v7, s10
	s_delay_alu instid0(VALU_DEP_1) | instskip(NEXT) | instid1(VALU_DEP_3)
	v_add_co_ci_u32_e64 v7, s0, s11, v8, s0
	v_cmp_le_i32_e32 vcc_lo, s18, v0
	v_add_nc_u32_e32 v5, s13, v5
	s_waitcnt vmcnt(0) lgkmcnt(0)
	flat_store_b128 v[6:7], v[1:4]
	s_or_b32 s17, vcc_lo, s17
	s_delay_alu instid0(SALU_CYCLE_1)
	s_and_not1_b32 exec_lo, exec_lo, s17
	s_cbranch_execz .LBB136_34
.LBB136_31:                             ; =>This Loop Header: Depth=1
                                        ;     Child Loop BB136_33 Depth 2
	v_mul_lo_u32 v1, v0, s3
	s_delay_alu instid0(VALU_DEP_1) | instskip(NEXT) | instid1(VALU_DEP_1)
	v_ashrrev_i32_e32 v2, 31, v1
	v_lshlrev_b64 v[1:2], 4, v[1:2]
	s_delay_alu instid0(VALU_DEP_1) | instskip(NEXT) | instid1(VALU_DEP_2)
	v_add_co_u32 v7, vcc_lo, s20, v1
	v_add_co_ci_u32_e32 v8, vcc_lo, s21, v2, vcc_lo
	s_and_not1_b32 vcc_lo, exec_lo, s2
	flat_load_b128 v[1:4], v[7:8]
	s_cbranch_vccnz .LBB136_30
; %bb.32:                               ;   in Loop: Header=BB136_31 Depth=1
	v_ashrrev_i32_e32 v6, 31, v5
	s_mov_b32 s5, s4
	s_mov_b64 s[0:1], s[6:7]
	s_delay_alu instid0(VALU_DEP_1) | instskip(NEXT) | instid1(VALU_DEP_1)
	v_lshlrev_b64 v[9:10], 4, v[5:6]
	v_add_co_u32 v9, vcc_lo, s20, v9
	s_delay_alu instid0(VALU_DEP_2)
	v_add_co_ci_u32_e32 v10, vcc_lo, s21, v10, vcc_lo
	s_set_inst_prefetch_distance 0x1
	.p2align	6
.LBB136_33:                             ;   Parent Loop BB136_31 Depth=1
                                        ; =>  This Inner Loop Header: Depth=2
	s_add_u32 s14, s0, s8
	s_addc_u32 s15, s1, s9
	flat_load_b128 v[12:15], v[9:10] offset:16
	s_clause 0x1
	global_load_b64 v[20:21], v11, s[0:1]
	global_load_b64 v[16:17], v11, s[14:15]
	s_add_u32 s0, s0, 8
	s_addc_u32 s1, s1, 0
	s_add_i32 s5, s5, -1
	s_delay_alu instid0(SALU_CYCLE_1)
	s_cmp_lg_u32 s5, 0
	s_waitcnt vmcnt(0) lgkmcnt(0)
	v_mul_f64 v[18:19], v[12:13], v[16:17]
	v_mul_f64 v[22:23], v[14:15], v[16:17]
	;; [unrolled: 1-line block ×4, first 2 shown]
	s_delay_alu instid0(VALU_DEP_4) | instskip(NEXT) | instid1(VALU_DEP_4)
	v_fma_f64 v[16:17], v[1:2], v[20:21], -v[18:19]
	v_fma_f64 v[18:19], v[3:4], v[20:21], -v[22:23]
	s_delay_alu instid0(VALU_DEP_4) | instskip(NEXT) | instid1(VALU_DEP_4)
	v_fma_f64 v[1:2], v[12:13], v[20:21], v[24:25]
	v_fma_f64 v[3:4], v[14:15], v[20:21], v[26:27]
	v_add_co_u32 v12, vcc_lo, v9, 16
	v_add_co_ci_u32_e32 v13, vcc_lo, 0, v10, vcc_lo
	flat_store_b128 v[9:10], v[16:19]
	v_dual_mov_b32 v9, v12 :: v_dual_mov_b32 v10, v13
	s_cbranch_scc1 .LBB136_33
	s_branch .LBB136_30
.LBB136_34:
	s_endpgm
	.section	.rodata,"a",@progbits
	.p2align	6, 0x0
	.amdhsa_kernel _ZN9rocsolver6v33100L17bdsqr_lower2upperI19rocblas_complex_numIdEdPS3_S4_EEviiiPT0_lS6_lT1_iilT2_iilPiS6_lS9_
		.amdhsa_group_segment_fixed_size 0
		.amdhsa_private_segment_fixed_size 0
		.amdhsa_kernarg_size 384
		.amdhsa_user_sgpr_count 14
		.amdhsa_user_sgpr_dispatch_ptr 0
		.amdhsa_user_sgpr_queue_ptr 0
		.amdhsa_user_sgpr_kernarg_segment_ptr 1
		.amdhsa_user_sgpr_dispatch_id 0
		.amdhsa_user_sgpr_private_segment_size 0
		.amdhsa_wavefront_size32 1
		.amdhsa_uses_dynamic_stack 0
		.amdhsa_enable_private_segment 0
		.amdhsa_system_sgpr_workgroup_id_x 1
		.amdhsa_system_sgpr_workgroup_id_y 1
		.amdhsa_system_sgpr_workgroup_id_z 0
		.amdhsa_system_sgpr_workgroup_info 0
		.amdhsa_system_vgpr_workitem_id 0
		.amdhsa_next_free_vgpr 29
		.amdhsa_next_free_sgpr 36
		.amdhsa_reserve_vcc 1
		.amdhsa_float_round_mode_32 0
		.amdhsa_float_round_mode_16_64 0
		.amdhsa_float_denorm_mode_32 3
		.amdhsa_float_denorm_mode_16_64 3
		.amdhsa_dx10_clamp 1
		.amdhsa_ieee_mode 1
		.amdhsa_fp16_overflow 0
		.amdhsa_workgroup_processor_mode 1
		.amdhsa_memory_ordered 1
		.amdhsa_forward_progress 0
		.amdhsa_shared_vgpr_count 0
		.amdhsa_exception_fp_ieee_invalid_op 0
		.amdhsa_exception_fp_denorm_src 0
		.amdhsa_exception_fp_ieee_div_zero 0
		.amdhsa_exception_fp_ieee_overflow 0
		.amdhsa_exception_fp_ieee_underflow 0
		.amdhsa_exception_fp_ieee_inexact 0
		.amdhsa_exception_int_div_zero 0
	.end_amdhsa_kernel
	.section	.text._ZN9rocsolver6v33100L17bdsqr_lower2upperI19rocblas_complex_numIdEdPS3_S4_EEviiiPT0_lS6_lT1_iilT2_iilPiS6_lS9_,"axG",@progbits,_ZN9rocsolver6v33100L17bdsqr_lower2upperI19rocblas_complex_numIdEdPS3_S4_EEviiiPT0_lS6_lT1_iilT2_iilPiS6_lS9_,comdat
.Lfunc_end136:
	.size	_ZN9rocsolver6v33100L17bdsqr_lower2upperI19rocblas_complex_numIdEdPS3_S4_EEviiiPT0_lS6_lT1_iilT2_iilPiS6_lS9_, .Lfunc_end136-_ZN9rocsolver6v33100L17bdsqr_lower2upperI19rocblas_complex_numIdEdPS3_S4_EEviiiPT0_lS6_lT1_iilT2_iilPiS6_lS9_
                                        ; -- End function
	.section	.AMDGPU.csdata,"",@progbits
; Kernel info:
; codeLenInByte = 2540
; NumSgprs: 38
; NumVgprs: 29
; ScratchSize: 0
; MemoryBound: 0
; FloatMode: 240
; IeeeMode: 1
; LDSByteSize: 0 bytes/workgroup (compile time only)
; SGPRBlocks: 4
; VGPRBlocks: 3
; NumSGPRsForWavesPerEU: 38
; NumVGPRsForWavesPerEU: 29
; Occupancy: 16
; WaveLimiterHint : 0
; COMPUTE_PGM_RSRC2:SCRATCH_EN: 0
; COMPUTE_PGM_RSRC2:USER_SGPR: 14
; COMPUTE_PGM_RSRC2:TRAP_HANDLER: 0
; COMPUTE_PGM_RSRC2:TGID_X_EN: 1
; COMPUTE_PGM_RSRC2:TGID_Y_EN: 1
; COMPUTE_PGM_RSRC2:TGID_Z_EN: 0
; COMPUTE_PGM_RSRC2:TIDIG_COMP_CNT: 0
	.section	.text._ZN9rocsolver6v33100L13bdsqr_computeILi256E19rocblas_complex_numIdEdPS3_S4_S4_EEviiiiPT1_lS6_lT2_iilT3_iilT4_iiliS5_S5_S5_S5_PiS6_ilSA_,"axG",@progbits,_ZN9rocsolver6v33100L13bdsqr_computeILi256E19rocblas_complex_numIdEdPS3_S4_S4_EEviiiiPT1_lS6_lT2_iilT3_iilT4_iiliS5_S5_S5_S5_PiS6_ilSA_,comdat
	.globl	_ZN9rocsolver6v33100L13bdsqr_computeILi256E19rocblas_complex_numIdEdPS3_S4_S4_EEviiiiPT1_lS6_lT2_iilT3_iilT4_iiliS5_S5_S5_S5_PiS6_ilSA_ ; -- Begin function _ZN9rocsolver6v33100L13bdsqr_computeILi256E19rocblas_complex_numIdEdPS3_S4_S4_EEviiiiPT1_lS6_lT2_iilT3_iilT4_iiliS5_S5_S5_S5_PiS6_ilSA_
	.p2align	8
	.type	_ZN9rocsolver6v33100L13bdsqr_computeILi256E19rocblas_complex_numIdEdPS3_S4_S4_EEviiiiPT1_lS6_lT2_iilT3_iilT4_iiliS5_S5_S5_S5_PiS6_ilSA_,@function
_ZN9rocsolver6v33100L13bdsqr_computeILi256E19rocblas_complex_numIdEdPS3_S4_S4_EEviiiiPT1_lS6_lT2_iilT3_iilT4_iiliS5_S5_S5_S5_PiS6_ilSA_: ; @_ZN9rocsolver6v33100L13bdsqr_computeILi256E19rocblas_complex_numIdEdPS3_S4_S4_EEviiiiPT1_lS6_lT2_iilT3_iilT4_iiliS5_S5_S5_S5_PiS6_ilSA_
; %bb.0:
	s_load_b128 s[4:7], s[0:1], 0xb8
	s_mov_b32 s42, s15
	s_ashr_i32 s43, s15, 31
	s_delay_alu instid0(SALU_CYCLE_1)
	s_lshl_b64 s[2:3], s[42:43], 2
	s_waitcnt lgkmcnt(0)
	s_add_u32 s2, s6, s2
	s_addc_u32 s3, s7, s3
	s_load_b32 s2, s[2:3], 0x8
	s_waitcnt lgkmcnt(0)
	s_cmp_lg_u32 s2, 0
	s_cbranch_scc1 .LBB137_183
; %bb.1:
	s_load_b256 s[16:23], s[0:1], 0x30
	s_mov_b64 s[12:13], 0
	s_mov_b64 s[34:35], 0
	s_waitcnt lgkmcnt(0)
	s_cmp_eq_u64 s[16:17], 0
	s_cbranch_scc1 .LBB137_3
; %bb.2:
	s_mul_i32 s2, s42, s21
	s_mul_hi_u32 s3, s42, s20
	s_mul_i32 s6, s43, s20
	s_add_i32 s2, s3, s2
	s_ashr_i32 s7, s18, 31
	s_add_i32 s3, s2, s6
	s_mul_i32 s2, s42, s20
	s_mov_b32 s6, s18
	s_lshl_b64 s[2:3], s[2:3], 4
	s_delay_alu instid0(SALU_CYCLE_1) | instskip(SKIP_2) | instid1(SALU_CYCLE_1)
	s_add_u32 s8, s16, s2
	s_addc_u32 s9, s17, s3
	s_lshl_b64 s[2:3], s[6:7], 4
	s_add_u32 s34, s8, s2
	s_addc_u32 s35, s9, s3
.LBB137_3:
	s_clause 0x1
	s_load_b64 s[16:17], s[0:1], 0x50
	s_load_b128 s[8:11], s[0:1], 0x58
	s_cmp_eq_u64 s[22:23], 0
	s_cbranch_scc1 .LBB137_5
; %bb.4:
	s_waitcnt lgkmcnt(0)
	s_mul_i32 s2, s42, s9
	s_mul_hi_u32 s3, s42, s8
	s_mul_i32 s6, s43, s8
	s_add_i32 s2, s3, s2
	s_ashr_i32 s7, s16, 31
	s_add_i32 s3, s2, s6
	s_mul_i32 s2, s42, s8
	s_mov_b32 s6, s16
	s_lshl_b64 s[2:3], s[2:3], 4
	s_delay_alu instid0(SALU_CYCLE_1) | instskip(SKIP_2) | instid1(SALU_CYCLE_1)
	s_add_u32 s8, s22, s2
	s_addc_u32 s9, s23, s3
	s_lshl_b64 s[2:3], s[6:7], 4
	s_add_u32 s12, s8, s2
	s_addc_u32 s13, s9, s3
.LBB137_5:
	s_load_b64 s[36:37], s[0:1], 0x68
	s_waitcnt lgkmcnt(0)
	s_cmp_eq_u64 s[10:11], 0
	s_mov_b64 s[38:39], 0
	s_cbranch_scc1 .LBB137_7
; %bb.6:
	s_load_b64 s[2:3], s[0:1], 0x70
	s_waitcnt lgkmcnt(0)
	s_mul_i32 s3, s42, s3
	s_mul_hi_u32 s6, s42, s2
	s_mul_i32 s7, s43, s2
	s_add_i32 s3, s6, s3
	s_mul_i32 s2, s42, s2
	s_add_i32 s3, s3, s7
	s_ashr_i32 s7, s36, 31
	s_lshl_b64 s[2:3], s[2:3], 4
	s_mov_b32 s6, s36
	s_add_u32 s8, s10, s2
	s_addc_u32 s9, s11, s3
	s_lshl_b64 s[2:3], s[6:7], 4
	s_delay_alu instid0(SALU_CYCLE_1)
	s_add_u32 s38, s8, s2
	s_addc_u32 s39, s9, s3
.LBB137_7:
	s_load_b256 s[20:27], s[0:1], 0x90
	s_mul_i32 s2, s42, s5
	s_mul_hi_u32 s3, s42, s4
	s_delay_alu instid0(SALU_CYCLE_1) | instskip(SKIP_1) | instid1(SALU_CYCLE_1)
	s_add_i32 s2, s3, s2
	s_mul_i32 s3, s43, s4
	s_add_i32 s3, s2, s3
	s_mul_i32 s2, s42, s4
	s_delay_alu instid0(SALU_CYCLE_1)
	s_lshl_b64 s[44:45], s[2:3], 3
	s_waitcnt lgkmcnt(0)
	s_add_u32 s40, s26, s44
	s_addc_u32 s41, s27, s45
	s_load_b64 s[2:3], s[40:41], 0x10
	s_waitcnt lgkmcnt(0)
	v_cvt_i32_f64_e32 v16, s[2:3]
	s_delay_alu instid0(VALU_DEP_1)
	v_cmp_ge_i32_e32 vcc_lo, s14, v16
	s_cbranch_vccnz .LBB137_183
; %bb.8:
	s_clause 0x1
	s_load_b128 s[28:31], s[0:1], 0x0
	s_load_b256 s[4:11], s[0:1], 0x10
	v_dual_mov_b32 v26, 1 :: v_dual_lshlrev_b32 v17, 3, v0
	s_clause 0x3
	s_load_b32 s76, s[0:1], 0x78
	s_load_b64 s[90:91], s[0:1], 0x80
	s_load_b32 s77, s[0:1], 0xb0
	s_load_b32 s78, s[0:1], 0xcc
	v_mul_lo_u32 v18, v0, s19
	v_mul_lo_u32 v19, v0, s37
                                        ; implicit-def: $vgpr44 : SGPR spill to VGPR lane
	v_cmp_gt_u32_e64 s2, 0x80, v0
	v_cmp_gt_u32_e64 s3, 64, v0
	s_delay_alu instid0(VALU_DEP_4) | instskip(NEXT) | instid1(VALU_DEP_4)
	v_dual_mov_b32 v5, 0 :: v_dual_add_nc_u32 v20, -1, v18
	v_add_nc_u32_e32 v21, -1, v19
	s_waitcnt lgkmcnt(0)
	s_mul_i32 s15, s42, s28
	s_mul_i32 s7, s42, s7
	s_lshl_b32 s46, s15, 1
	s_mul_hi_u32 s16, s42, s6
	s_ashr_i32 s47, s46, 31
	s_mul_i32 s28, s43, s6
	s_lshl_b64 s[46:47], s[46:47], 2
	s_mul_i32 s6, s42, s6
	s_add_u32 s15, s24, s46
	s_addc_u32 s18, s25, s47
	s_add_i32 s7, s16, s7
	s_mul_i32 s11, s42, s11
	s_add_i32 s7, s7, s28
	s_mul_hi_u32 s16, s42, s10
	s_lshl_b64 s[6:7], s[6:7], 3
	s_mul_i32 s24, s43, s10
	s_add_u32 s28, s4, s6
	s_addc_u32 s33, s5, s7
	s_add_i32 s4, s16, s11
	s_mul_i32 s10, s42, s10
	s_add_i32 s11, s4, s24
	v_add_co_u32 v22, s16, s28, v17
	s_lshl_b64 s[46:47], s[10:11], 3
	v_add_co_ci_u32_e64 v23, null, s33, 0, s16
	s_add_u32 s36, s8, s46
	s_addc_u32 s74, s9, s47
	s_cmp_lg_u32 s29, 0
	v_add_co_u32 v24, s24, s36, v17
	s_cselect_b32 s75, -1, 0
	s_or_b32 s6, s31, s30
	v_cmp_gt_u32_e64 s4, 32, v0
	s_cmp_eq_u32 s6, 0
	v_cmp_eq_u32_e64 s5, 0, v0
	s_cselect_b32 s79, -1, 0
	s_cmp_lg_u64 s[34:35], 0
	v_add_co_ci_u32_e64 v25, null, s74, 0, s24
	s_cselect_b32 s6, -1, 0
	s_delay_alu instid0(SALU_CYCLE_1)
	s_and_b32 s80, s75, s6
	s_add_u32 s42, s0, 0xc8
	s_addc_u32 s43, s1, 0
	s_cmp_lg_u64 s[12:13], 0
	v_cmp_gt_i32_e64 s0, s29, v0
	s_cselect_b32 s6, -1, 0
	s_cmp_lg_u32 s30, 0
	v_cmp_gt_i32_e64 s1, s30, v0
	s_cselect_b32 s7, -1, 0
	s_delay_alu instid0(SALU_CYCLE_1)
	s_and_b32 s81, s7, s6
	s_cmp_lg_u64 s[38:39], 0
	v_cmp_gt_i32_e64 s6, s31, v0
	s_cselect_b32 s7, -1, 0
	s_cmp_lg_u32 s31, 0
	s_cselect_b32 s16, -1, 0
	s_delay_alu instid0(SALU_CYCLE_1)
	s_and_b32 s82, s16, s7
	s_add_u32 s102, s28, -8
	s_addc_u32 s103, s33, -1
	s_add_u32 s85, s26, s44
	s_addc_u32 s86, s27, s45
	s_add_u32 s87, s85, 24
	s_addc_u32 s88, s86, 0
	s_add_u32 s89, s8, -8
	s_addc_u32 s83, s9, -1
	s_add_u32 s7, s89, s46
	s_delay_alu instid0(SALU_CYCLE_1) | instskip(SKIP_1) | instid1(SALU_CYCLE_1)
	v_writelane_b32 v44, s7, 0
	s_addc_u32 s7, s83, s47
	v_writelane_b32 v44, s7, 1
	s_branch .LBB137_11
.LBB137_9:                              ;   in Loop: Header=BB137_11 Depth=1
	s_or_b32 exec_lo, exec_lo, s58
.LBB137_10:                             ;   in Loop: Header=BB137_11 Depth=1
	s_add_i32 s14, s78, s14
	s_delay_alu instid0(SALU_CYCLE_1)
	v_cmp_lt_i32_e32 vcc_lo, s14, v16
	s_cbranch_vccz .LBB137_183
.LBB137_11:                             ; =>This Loop Header: Depth=1
                                        ;     Child Loop BB137_15 Depth 2
                                        ;     Child Loop BB137_42 Depth 2
	;; [unrolled: 1-line block ×5, first 2 shown]
                                        ;       Child Loop BB137_168 Depth 3
                                        ;     Child Loop BB137_173 Depth 2
                                        ;       Child Loop BB137_175 Depth 3
                                        ;     Child Loop BB137_180 Depth 2
                                        ;       Child Loop BB137_182 Depth 3
	s_lshl_b32 s8, s14, 2
	s_delay_alu instid0(SALU_CYCLE_1) | instskip(NEXT) | instid1(SALU_CYCLE_1)
	s_ashr_i32 s9, s8, 31
	s_lshl_b64 s[8:9], s[8:9], 2
	s_delay_alu instid0(SALU_CYCLE_1)
	s_add_u32 s50, s15, s8
	s_addc_u32 s51, s18, s9
	global_load_b64 v[1:2], v5, s[50:51] offset:4
	s_waitcnt vmcnt(0)
	v_readfirstlane_b32 s46, v1
	v_readfirstlane_b32 s44, v2
	s_delay_alu instid0(VALU_DEP_1)
	s_cmp_le_i32 s44, s46
	s_cbranch_scc1 .LBB137_10
; %bb.12:                               ;   in Loop: Header=BB137_11 Depth=1
	global_load_b32 v1, v5, s[50:51] offset:12
	s_waitcnt vmcnt(0)
	v_cmp_le_i32_e32 vcc_lo, s76, v1
	s_cbranch_vccnz .LBB137_10
; %bb.13:                               ;   in Loop: Header=BB137_11 Depth=1
	v_mov_b32_e32 v1, 0
	v_mov_b32_e32 v2, 0
	s_sub_i32 s26, s44, s46
	s_ashr_i32 s47, s46, 31
	s_mov_b32 s9, exec_lo
	v_cmpx_ge_i32_e64 s26, v0
	s_cbranch_execz .LBB137_17
; %bb.14:                               ;   in Loop: Header=BB137_11 Depth=1
	s_lshl_b64 s[48:49], s[46:47], 3
	v_dual_mov_b32 v1, 0 :: v_dual_mov_b32 v6, v0
	v_add_co_u32 v3, vcc_lo, v22, s48
	v_add_co_ci_u32_e32 v4, vcc_lo, s49, v23, vcc_lo
	v_mov_b32_e32 v2, 0
	s_mov_b32 s16, 0
	.p2align	6
.LBB137_15:                             ;   Parent Loop BB137_11 Depth=1
                                        ; =>  This Inner Loop Header: Depth=2
	global_load_b64 v[7:8], v[3:4], off
	v_add_co_u32 v3, s7, 0x800, v3
	s_delay_alu instid0(VALU_DEP_1)
	v_add_co_ci_u32_e64 v4, s7, 0, v4, s7
	s_waitcnt vmcnt(0)
	v_cmp_lt_f64_e64 vcc_lo, v[1:2], |v[7:8]|
	v_add_nc_u32_e32 v6, 0x100, v6
	v_and_b32_e32 v9, 0x7fffffff, v8
	v_cndmask_b32_e32 v1, v1, v7, vcc_lo
	s_delay_alu instid0(VALU_DEP_3) | instskip(NEXT) | instid1(VALU_DEP_3)
	v_cmp_lt_i32_e64 s8, s26, v6
	v_cndmask_b32_e32 v2, v2, v9, vcc_lo
	s_delay_alu instid0(VALU_DEP_2) | instskip(NEXT) | instid1(SALU_CYCLE_1)
	s_or_b32 s16, s8, s16
	s_and_not1_b32 exec_lo, exec_lo, s16
	s_cbranch_execnz .LBB137_15
; %bb.16:                               ;   in Loop: Header=BB137_11 Depth=1
	s_or_b32 exec_lo, exec_lo, s16
.LBB137_17:                             ;   in Loop: Header=BB137_11 Depth=1
	s_delay_alu instid0(SALU_CYCLE_1)
	s_or_b32 exec_lo, exec_lo, s9
	s_cmp_lt_i32 s26, 1
	ds_store_b64 v17, v[1:2]
	s_waitcnt lgkmcnt(0)
	s_waitcnt_vscnt null, 0x0
	s_barrier
	buffer_gl0_inv
	s_cbranch_scc1 .LBB137_40
; %bb.18:                               ;   in Loop: Header=BB137_11 Depth=1
	s_and_saveexec_b32 s7, s2
	s_cbranch_execz .LBB137_22
; %bb.19:                               ;   in Loop: Header=BB137_11 Depth=1
	ds_load_b64 v[3:4], v17 offset:1024
	s_mov_b32 s8, exec_lo
	s_waitcnt lgkmcnt(0)
	v_cmpx_lt_f64_e32 v[1:2], v[3:4]
	s_cbranch_execz .LBB137_21
; %bb.20:                               ;   in Loop: Header=BB137_11 Depth=1
	v_dual_mov_b32 v1, v3 :: v_dual_mov_b32 v2, v4
	ds_store_b64 v17, v[3:4]
.LBB137_21:                             ;   in Loop: Header=BB137_11 Depth=1
	s_or_b32 exec_lo, exec_lo, s8
.LBB137_22:                             ;   in Loop: Header=BB137_11 Depth=1
	s_delay_alu instid0(SALU_CYCLE_1)
	s_or_b32 exec_lo, exec_lo, s7
	s_waitcnt lgkmcnt(0)
	s_barrier
	buffer_gl0_inv
	s_and_saveexec_b32 s7, s3
	s_cbranch_execz .LBB137_26
; %bb.23:                               ;   in Loop: Header=BB137_11 Depth=1
	ds_load_b64 v[3:4], v17 offset:512
	s_mov_b32 s8, exec_lo
	s_waitcnt lgkmcnt(0)
	v_cmpx_lt_f64_e32 v[1:2], v[3:4]
	s_cbranch_execz .LBB137_25
; %bb.24:                               ;   in Loop: Header=BB137_11 Depth=1
	v_dual_mov_b32 v1, v3 :: v_dual_mov_b32 v2, v4
	ds_store_b64 v17, v[3:4]
.LBB137_25:                             ;   in Loop: Header=BB137_11 Depth=1
	s_or_b32 exec_lo, exec_lo, s8
.LBB137_26:                             ;   in Loop: Header=BB137_11 Depth=1
	s_delay_alu instid0(SALU_CYCLE_1)
	s_or_b32 exec_lo, exec_lo, s7
	s_waitcnt lgkmcnt(0)
	s_barrier
	buffer_gl0_inv
	s_and_saveexec_b32 s7, s4
	s_cbranch_execz .LBB137_39
; %bb.27:                               ;   in Loop: Header=BB137_11 Depth=1
	ds_load_b64 v[3:4], v17 offset:256
	s_mov_b32 s8, exec_lo
	s_waitcnt lgkmcnt(0)
	v_cmpx_lt_f64_e32 v[1:2], v[3:4]
	s_cbranch_execz .LBB137_29
; %bb.28:                               ;   in Loop: Header=BB137_11 Depth=1
	v_dual_mov_b32 v1, v3 :: v_dual_mov_b32 v2, v4
	ds_store_b64 v17, v[3:4]
.LBB137_29:                             ;   in Loop: Header=BB137_11 Depth=1
	s_or_b32 exec_lo, exec_lo, s8
	ds_load_b64 v[3:4], v17 offset:128
	s_mov_b32 s8, exec_lo
	s_waitcnt lgkmcnt(0)
	v_cmpx_lt_f64_e32 v[1:2], v[3:4]
	s_cbranch_execz .LBB137_31
; %bb.30:                               ;   in Loop: Header=BB137_11 Depth=1
	v_dual_mov_b32 v1, v3 :: v_dual_mov_b32 v2, v4
	ds_store_b64 v17, v[3:4]
.LBB137_31:                             ;   in Loop: Header=BB137_11 Depth=1
	s_or_b32 exec_lo, exec_lo, s8
	;; [unrolled: 10-line block ×5, first 2 shown]
	ds_load_b64 v[3:4], v17 offset:8
	s_waitcnt lgkmcnt(0)
	v_cmp_lt_f64_e32 vcc_lo, v[1:2], v[3:4]
	s_and_b32 exec_lo, exec_lo, vcc_lo
	s_cbranch_execz .LBB137_39
; %bb.38:                               ;   in Loop: Header=BB137_11 Depth=1
	ds_store_b64 v17, v[3:4]
.LBB137_39:                             ;   in Loop: Header=BB137_11 Depth=1
	s_or_b32 exec_lo, exec_lo, s7
.LBB137_40:                             ;   in Loop: Header=BB137_11 Depth=1
	v_mov_b32_e32 v1, 0
	v_mov_b32_e32 v2, 0
	s_mov_b32 s9, exec_lo
	s_waitcnt lgkmcnt(0)
	s_barrier
	buffer_gl0_inv
	v_cmpx_gt_i32_e64 s26, v0
	s_cbranch_execz .LBB137_44
; %bb.41:                               ;   in Loop: Header=BB137_11 Depth=1
	s_lshl_b64 s[48:49], s[46:47], 3
	v_dual_mov_b32 v1, 0 :: v_dual_mov_b32 v6, v0
	v_add_co_u32 v3, vcc_lo, v24, s48
	v_add_co_ci_u32_e32 v4, vcc_lo, s49, v25, vcc_lo
	v_mov_b32_e32 v2, 0
	s_mov_b32 s16, 0
	.p2align	6
.LBB137_42:                             ;   Parent Loop BB137_11 Depth=1
                                        ; =>  This Inner Loop Header: Depth=2
	global_load_b64 v[7:8], v[3:4], off
	v_add_co_u32 v3, s7, 0x800, v3
	s_delay_alu instid0(VALU_DEP_1)
	v_add_co_ci_u32_e64 v4, s7, 0, v4, s7
	s_waitcnt vmcnt(0)
	v_cmp_lt_f64_e64 vcc_lo, v[1:2], |v[7:8]|
	v_add_nc_u32_e32 v6, 0x100, v6
	v_and_b32_e32 v9, 0x7fffffff, v8
	v_cndmask_b32_e32 v1, v1, v7, vcc_lo
	s_delay_alu instid0(VALU_DEP_3) | instskip(NEXT) | instid1(VALU_DEP_3)
	v_cmp_le_i32_e64 s8, s26, v6
	v_cndmask_b32_e32 v2, v2, v9, vcc_lo
	s_delay_alu instid0(VALU_DEP_2) | instskip(NEXT) | instid1(SALU_CYCLE_1)
	s_or_b32 s16, s8, s16
	s_and_not1_b32 exec_lo, exec_lo, s16
	s_cbranch_execnz .LBB137_42
; %bb.43:                               ;   in Loop: Header=BB137_11 Depth=1
	s_or_b32 exec_lo, exec_lo, s16
.LBB137_44:                             ;   in Loop: Header=BB137_11 Depth=1
	s_delay_alu instid0(SALU_CYCLE_1)
	s_or_b32 exec_lo, exec_lo, s9
	s_cmp_lt_i32 s26, 2
	ds_store_b64 v17, v[1:2] offset:8
	s_waitcnt lgkmcnt(0)
	s_barrier
	buffer_gl0_inv
	s_cbranch_scc1 .LBB137_67
; %bb.45:                               ;   in Loop: Header=BB137_11 Depth=1
	s_and_saveexec_b32 s7, s2
	s_cbranch_execz .LBB137_49
; %bb.46:                               ;   in Loop: Header=BB137_11 Depth=1
	ds_load_b64 v[3:4], v17 offset:1032
	s_mov_b32 s8, exec_lo
	s_waitcnt lgkmcnt(0)
	v_cmpx_lt_f64_e32 v[1:2], v[3:4]
	s_cbranch_execz .LBB137_48
; %bb.47:                               ;   in Loop: Header=BB137_11 Depth=1
	v_dual_mov_b32 v1, v3 :: v_dual_mov_b32 v2, v4
	ds_store_b64 v17, v[3:4] offset:8
.LBB137_48:                             ;   in Loop: Header=BB137_11 Depth=1
	s_or_b32 exec_lo, exec_lo, s8
.LBB137_49:                             ;   in Loop: Header=BB137_11 Depth=1
	s_delay_alu instid0(SALU_CYCLE_1)
	s_or_b32 exec_lo, exec_lo, s7
	s_waitcnt lgkmcnt(0)
	s_barrier
	buffer_gl0_inv
	s_and_saveexec_b32 s7, s3
	s_cbranch_execz .LBB137_53
; %bb.50:                               ;   in Loop: Header=BB137_11 Depth=1
	ds_load_b64 v[3:4], v17 offset:520
	s_mov_b32 s8, exec_lo
	s_waitcnt lgkmcnt(0)
	v_cmpx_lt_f64_e32 v[1:2], v[3:4]
	s_cbranch_execz .LBB137_52
; %bb.51:                               ;   in Loop: Header=BB137_11 Depth=1
	v_dual_mov_b32 v1, v3 :: v_dual_mov_b32 v2, v4
	ds_store_b64 v17, v[3:4] offset:8
.LBB137_52:                             ;   in Loop: Header=BB137_11 Depth=1
	s_or_b32 exec_lo, exec_lo, s8
.LBB137_53:                             ;   in Loop: Header=BB137_11 Depth=1
	s_delay_alu instid0(SALU_CYCLE_1)
	s_or_b32 exec_lo, exec_lo, s7
	s_waitcnt lgkmcnt(0)
	s_barrier
	buffer_gl0_inv
	s_and_saveexec_b32 s7, s4
	s_cbranch_execz .LBB137_66
; %bb.54:                               ;   in Loop: Header=BB137_11 Depth=1
	ds_load_b64 v[3:4], v17 offset:264
	s_mov_b32 s8, exec_lo
	s_waitcnt lgkmcnt(0)
	v_cmpx_lt_f64_e32 v[1:2], v[3:4]
	s_cbranch_execz .LBB137_56
; %bb.55:                               ;   in Loop: Header=BB137_11 Depth=1
	v_dual_mov_b32 v1, v3 :: v_dual_mov_b32 v2, v4
	ds_store_b64 v17, v[3:4] offset:8
.LBB137_56:                             ;   in Loop: Header=BB137_11 Depth=1
	s_or_b32 exec_lo, exec_lo, s8
	ds_load_b64 v[3:4], v17 offset:136
	s_mov_b32 s8, exec_lo
	s_waitcnt lgkmcnt(0)
	v_cmpx_lt_f64_e32 v[1:2], v[3:4]
	s_cbranch_execz .LBB137_58
; %bb.57:                               ;   in Loop: Header=BB137_11 Depth=1
	v_dual_mov_b32 v1, v3 :: v_dual_mov_b32 v2, v4
	ds_store_b64 v17, v[3:4] offset:8
.LBB137_58:                             ;   in Loop: Header=BB137_11 Depth=1
	s_or_b32 exec_lo, exec_lo, s8
	;; [unrolled: 10-line block ×5, first 2 shown]
	ds_load_b64 v[3:4], v17 offset:16
	s_waitcnt lgkmcnt(0)
	v_cmp_lt_f64_e32 vcc_lo, v[1:2], v[3:4]
	s_and_b32 exec_lo, exec_lo, vcc_lo
	s_cbranch_execz .LBB137_66
; %bb.65:                               ;   in Loop: Header=BB137_11 Depth=1
	ds_store_b64 v17, v[3:4] offset:8
.LBB137_66:                             ;   in Loop: Header=BB137_11 Depth=1
	s_or_b32 exec_lo, exec_lo, s7
.LBB137_67:                             ;   in Loop: Header=BB137_11 Depth=1
	s_lshl_b64 s[8:9], s[46:47], 3
	s_waitcnt lgkmcnt(0)
	s_add_u32 s16, s36, s8
	s_addc_u32 s93, s74, s9
	s_add_u32 s60, s28, s8
	s_addc_u32 s61, s33, s9
	s_barrier
	buffer_gl0_inv
	s_and_saveexec_b32 s52, s5
	s_cbranch_execz .LBB137_82
; %bb.68:                               ;   in Loop: Header=BB137_11 Depth=1
	s_ashr_i32 s45, s44, 31
	s_delay_alu instid0(SALU_CYCLE_1) | instskip(NEXT) | instid1(SALU_CYCLE_1)
	s_lshl_b64 s[48:49], s[44:45], 3
	s_add_u32 s48, s28, s48
	s_addc_u32 s49, s33, s49
	s_clause 0x1
	global_load_b64 v[1:2], v5, s[60:61]
	global_load_b64 v[3:4], v5, s[48:49]
	s_ashr_i32 s27, s26, 31
	s_delay_alu instid0(SALU_CYCLE_1) | instskip(NEXT) | instid1(SALU_CYCLE_1)
	s_lshl_b64 s[48:49], s[26:27], 3
	s_add_u32 s24, s60, s48
	s_addc_u32 s25, s61, s49
	s_waitcnt vmcnt(0)
	v_cmp_ge_f64_e64 s7, |v[1:2]|, |v[3:4]|
	s_delay_alu instid0(VALU_DEP_1)
	s_and_b32 s27, s7, exec_lo
	s_cselect_b32 s49, s61, s25
	s_cselect_b32 s48, s60, s24
	v_cndmask_b32_e64 v6, 0, 1, s7
	global_load_b64 v[7:8], v5, s[48:49]
	s_cmp_lt_i32 s26, 1
	ds_store_b32 v5, v6 offset:2064
	s_waitcnt vmcnt(0)
	v_and_b32_e32 v8, 0x7fffffff, v8
	s_cbranch_scc1 .LBB137_75
; %bb.69:                               ;   in Loop: Header=BB137_11 Depth=1
	s_delay_alu instid0(VALU_DEP_1)
	v_dual_mov_b32 v10, v8 :: v_dual_mov_b32 v9, v7
	s_not_b32 s24, s46
	s_mov_b32 s45, 0
	s_add_i32 s27, s24, s44
	s_branch .LBB137_71
.LBB137_70:                             ;   in Loop: Header=BB137_71 Depth=2
	v_add_f64 v[11:12], v[9:10], |v[11:12]|
	s_add_i32 s45, s45, 1
	s_and_b32 s24, s7, exec_lo
	s_cselect_b32 s54, s45, s27
	s_mov_b32 s53, 0
	s_ashr_i32 s55, s54, 31
	s_delay_alu instid0(SALU_CYCLE_1) | instskip(NEXT) | instid1(SALU_CYCLE_1)
	s_lshl_b64 s[54:55], s[54:55], 3
	s_add_u32 s54, s60, s54
	s_addc_u32 s55, s61, s55
	s_add_i32 s27, s27, -1
	global_load_b64 v[29:30], v5, s[54:55]
	s_cmp_eq_u32 s27, -1
	s_cselect_b32 s54, -1, 0
	v_div_scale_f64 v[13:14], null, v[11:12], v[11:12], v[9:10]
	s_delay_alu instid0(VALU_DEP_1) | instskip(SKIP_2) | instid1(VALU_DEP_1)
	v_rcp_f64_e32 v[27:28], v[13:14]
	s_waitcnt_depctr 0xfff
	v_fma_f64 v[31:32], -v[13:14], v[27:28], 1.0
	v_fma_f64 v[27:28], v[27:28], v[31:32], v[27:28]
	s_delay_alu instid0(VALU_DEP_1) | instskip(NEXT) | instid1(VALU_DEP_1)
	v_fma_f64 v[31:32], -v[13:14], v[27:28], 1.0
	v_fma_f64 v[27:28], v[27:28], v[31:32], v[27:28]
	v_div_scale_f64 v[31:32], vcc_lo, v[9:10], v[11:12], v[9:10]
	s_delay_alu instid0(VALU_DEP_1) | instskip(NEXT) | instid1(VALU_DEP_1)
	v_mul_f64 v[33:34], v[31:32], v[27:28]
	v_fma_f64 v[13:14], -v[13:14], v[33:34], v[31:32]
	s_delay_alu instid0(VALU_DEP_1) | instskip(NEXT) | instid1(VALU_DEP_1)
	v_div_fmas_f64 v[13:14], v[13:14], v[27:28], v[33:34]
	v_div_fixup_f64 v[9:10], v[13:14], v[11:12], v[9:10]
	s_waitcnt vmcnt(0)
	s_delay_alu instid0(VALU_DEP_1) | instskip(NEXT) | instid1(VALU_DEP_1)
	v_mul_f64 v[9:10], v[9:10], |v[29:30]|
	v_cmp_lt_f64_e32 vcc_lo, v[9:10], v[7:8]
	v_dual_cndmask_b32 v8, v8, v10 :: v_dual_cndmask_b32 v7, v7, v9
	s_and_not1_b32 vcc_lo, exec_lo, s54
	s_cbranch_vccz .LBB137_73
.LBB137_71:                             ;   Parent Loop BB137_11 Depth=1
                                        ; =>  This Inner Loop Header: Depth=2
	s_and_b32 s24, s7, exec_lo
	s_cselect_b32 s48, s45, s27
	v_mul_f64 v[13:14], v[9:10], s[20:21]
	s_ashr_i32 s49, s48, 31
	s_delay_alu instid0(SALU_CYCLE_1) | instskip(NEXT) | instid1(SALU_CYCLE_1)
	s_lshl_b64 s[48:49], s[48:49], 3
	s_add_u32 s48, s16, s48
	s_addc_u32 s49, s93, s49
	global_load_b64 v[11:12], v5, s[48:49]
	s_waitcnt vmcnt(0)
	v_cmp_nle_f64_e64 s24, |v[11:12]|, v[13:14]
	s_delay_alu instid0(VALU_DEP_1)
	s_and_b32 vcc_lo, exec_lo, s24
	s_cbranch_vccnz .LBB137_70
; %bb.72:                               ;   in Loop: Header=BB137_11 Depth=1
	s_mov_b32 s53, -1
                                        ; implicit-def: $vgpr9_vgpr10
                                        ; implicit-def: $sgpr27
                                        ; implicit-def: $sgpr45
                                        ; implicit-def: $vgpr7_vgpr8
.LBB137_73:                             ;   in Loop: Header=BB137_11 Depth=1
	s_delay_alu instid0(SALU_CYCLE_1)
	s_and_b32 vcc_lo, exec_lo, s53
	s_cbranch_vccz .LBB137_75
; %bb.74:                               ;   in Loop: Header=BB137_11 Depth=1
	v_dual_mov_b32 v6, v5 :: v_dual_mov_b32 v7, 0
	v_mov_b32_e32 v8, 0xbff00000
	global_store_b64 v5, v[5:6], s[48:49]
.LBB137_75:                             ;   in Loop: Header=BB137_11 Depth=1
	s_delay_alu instid0(VALU_DEP_1)
	v_cmp_nle_f64_e32 vcc_lo, 0, v[7:8]
	v_and_b32_e32 v2, 0x7fffffff, v2
	v_and_b32_e32 v4, 0x7fffffff, v4
	ds_store_b64 v5, v[7:8] offset:2056
	ds_store_b8 v5, v5 offset:2068
	s_cbranch_vccnz .LBB137_82
; %bb.76:                               ;   in Loop: Header=BB137_11 Depth=1
	ds_load_b128 v[9:12], v5
	s_mov_b32 s27, -1
	s_waitcnt lgkmcnt(0)
	v_cmp_lt_f64_e32 vcc_lo, v[9:10], v[11:12]
	v_dual_cndmask_b32 v10, v10, v12 :: v_dual_cndmask_b32 v9, v9, v11
	s_delay_alu instid0(VALU_DEP_1) | instskip(NEXT) | instid1(VALU_DEP_1)
	v_div_scale_f64 v[11:12], null, v[9:10], v[9:10], v[7:8]
	v_rcp_f64_e32 v[13:14], v[11:12]
	s_waitcnt_depctr 0xfff
	v_fma_f64 v[27:28], -v[11:12], v[13:14], 1.0
	s_delay_alu instid0(VALU_DEP_1) | instskip(NEXT) | instid1(VALU_DEP_1)
	v_fma_f64 v[13:14], v[13:14], v[27:28], v[13:14]
	v_fma_f64 v[27:28], -v[11:12], v[13:14], 1.0
	s_delay_alu instid0(VALU_DEP_1) | instskip(SKIP_1) | instid1(VALU_DEP_1)
	v_fma_f64 v[13:14], v[13:14], v[27:28], v[13:14]
	v_div_scale_f64 v[27:28], vcc_lo, v[7:8], v[9:10], v[7:8]
	v_mul_f64 v[29:30], v[27:28], v[13:14]
	s_delay_alu instid0(VALU_DEP_1) | instskip(NEXT) | instid1(VALU_DEP_1)
	v_fma_f64 v[11:12], -v[11:12], v[29:30], v[27:28]
	v_div_fmas_f64 v[11:12], v[11:12], v[13:14], v[29:30]
	s_delay_alu instid0(VALU_DEP_1) | instskip(NEXT) | instid1(VALU_DEP_1)
	v_div_fixup_f64 v[9:10], v[11:12], v[9:10], v[7:8]
	v_cmp_ge_f64_e32 vcc_lo, s[22:23], v[9:10]
	s_cbranch_vccnz .LBB137_79
; %bb.77:                               ;   in Loop: Header=BB137_11 Depth=1
	v_cndmask_b32_e64 v2, v4, v2, s7
	v_cndmask_b32_e64 v1, v3, v1, s7
	s_mov_b32 s27, 0
	s_delay_alu instid0(VALU_DEP_1)
	v_cmp_lt_f64_e32 vcc_lo, 0, v[1:2]
	s_cbranch_vccz .LBB137_79
; %bb.78:                               ;   in Loop: Header=BB137_11 Depth=1
	v_mul_f64 v[3:4], v[7:8], v[7:8]
	s_delay_alu instid0(VALU_DEP_1) | instskip(SKIP_1) | instid1(VALU_DEP_2)
	v_div_scale_f64 v[6:7], null, v[1:2], v[1:2], v[3:4]
	v_div_scale_f64 v[12:13], vcc_lo, v[3:4], v[1:2], v[3:4]
	v_rcp_f64_e32 v[8:9], v[6:7]
	s_waitcnt_depctr 0xfff
	v_fma_f64 v[10:11], -v[6:7], v[8:9], 1.0
	s_delay_alu instid0(VALU_DEP_1) | instskip(NEXT) | instid1(VALU_DEP_1)
	v_fma_f64 v[8:9], v[8:9], v[10:11], v[8:9]
	v_fma_f64 v[10:11], -v[6:7], v[8:9], 1.0
	s_delay_alu instid0(VALU_DEP_1) | instskip(NEXT) | instid1(VALU_DEP_1)
	v_fma_f64 v[8:9], v[8:9], v[10:11], v[8:9]
	v_mul_f64 v[10:11], v[12:13], v[8:9]
	s_delay_alu instid0(VALU_DEP_1) | instskip(NEXT) | instid1(VALU_DEP_1)
	v_fma_f64 v[6:7], -v[6:7], v[10:11], v[12:13]
	v_div_fmas_f64 v[6:7], v[6:7], v[8:9], v[10:11]
	s_delay_alu instid0(VALU_DEP_1) | instskip(NEXT) | instid1(VALU_DEP_1)
	v_div_fixup_f64 v[3:4], v[6:7], v[1:2], v[3:4]
	v_div_scale_f64 v[6:7], null, v[1:2], v[1:2], v[3:4]
	s_delay_alu instid0(VALU_DEP_1) | instskip(SKIP_2) | instid1(VALU_DEP_1)
	v_rcp_f64_e32 v[8:9], v[6:7]
	s_waitcnt_depctr 0xfff
	v_fma_f64 v[10:11], -v[6:7], v[8:9], 1.0
	v_fma_f64 v[8:9], v[8:9], v[10:11], v[8:9]
	s_delay_alu instid0(VALU_DEP_1) | instskip(NEXT) | instid1(VALU_DEP_1)
	v_fma_f64 v[10:11], -v[6:7], v[8:9], 1.0
	v_fma_f64 v[8:9], v[8:9], v[10:11], v[8:9]
	v_div_scale_f64 v[10:11], vcc_lo, v[3:4], v[1:2], v[3:4]
	s_delay_alu instid0(VALU_DEP_1) | instskip(NEXT) | instid1(VALU_DEP_1)
	v_mul_f64 v[12:13], v[10:11], v[8:9]
	v_fma_f64 v[6:7], -v[6:7], v[12:13], v[10:11]
	s_delay_alu instid0(VALU_DEP_1) | instskip(NEXT) | instid1(VALU_DEP_1)
	v_div_fmas_f64 v[6:7], v[6:7], v[8:9], v[12:13]
	v_div_fixup_f64 v[1:2], v[6:7], v[1:2], v[3:4]
	s_delay_alu instid0(VALU_DEP_1)
	v_cmp_gt_f64_e64 s27, s[90:91], v[1:2]
.LBB137_79:                             ;   in Loop: Header=BB137_11 Depth=1
	s_delay_alu instid0(VALU_DEP_1)
	s_and_b32 vcc_lo, exec_lo, s27
	s_cbranch_vccz .LBB137_81
; %bb.80:                               ;   in Loop: Header=BB137_11 Depth=1
	v_mov_b32_e32 v6, v5
	ds_store_b64 v5, v[5:6] offset:2056
.LBB137_81:                             ;   in Loop: Header=BB137_11 Depth=1
	ds_store_b8 v5, v26 offset:2068
.LBB137_82:                             ;   in Loop: Header=BB137_11 Depth=1
	s_or_b32 exec_lo, exec_lo, s52
	s_waitcnt lgkmcnt(0)
	s_waitcnt_vscnt null, 0x0
	s_barrier
	buffer_gl0_inv
	ds_load_u8 v1, v5 offset:2068
	s_mov_b32 s7, -1
	s_waitcnt lgkmcnt(0)
	v_cmp_eq_u32_e32 vcc_lo, 0, v1
	s_cbranch_vccz .LBB137_86
; %bb.83:                               ;   in Loop: Header=BB137_11 Depth=1
	s_and_saveexec_b32 s7, s5
	s_cbranch_execz .LBB137_85
; %bb.84:                               ;   in Loop: Header=BB137_11 Depth=1
	global_store_b32 v5, v5, s[50:51]
.LBB137_85:                             ;   in Loop: Header=BB137_11 Depth=1
	s_or_b32 exec_lo, exec_lo, s7
	s_mov_b32 s7, 0
.LBB137_86:                             ;   in Loop: Header=BB137_11 Depth=1
	s_delay_alu instid0(SALU_CYCLE_1)
	s_and_not1_b32 vcc_lo, exec_lo, s7
	s_cbranch_vccnz .LBB137_10
; %bb.87:                               ;   in Loop: Header=BB137_11 Depth=1
	ds_load_b32 v1, v5 offset:2064
	s_waitcnt lgkmcnt(0)
	v_readfirstlane_b32 s48, v1
	s_and_saveexec_b32 s7, s5
	s_cbranch_execz .LBB137_89
; %bb.88:                               ;   in Loop: Header=BB137_11 Depth=1
	s_delay_alu instid0(VALU_DEP_1) | instskip(SKIP_1) | instid1(SALU_CYCLE_1)
	s_cmp_eq_u32 s48, 0
	s_cselect_b32 s24, -1, 1
	v_mov_b32_e32 v1, s24
	global_store_b32 v5, v1, s[50:51]
.LBB137_89:                             ;   in Loop: Header=BB137_11 Depth=1
	s_or_b32 exec_lo, exec_lo, s7
	s_add_i32 s56, s26, 1
	s_mul_i32 s50, s46, s77
	s_sub_i32 s54, 1, s48
	s_ashr_i32 s51, s50, 31
	s_sub_i32 s52, s48, s54
	s_lshl_b32 s7, s56, 1
	s_and_b32 s24, s75, exec_lo
	s_cselect_b32 s27, s7, 0
	s_and_saveexec_b32 s7, s5
	s_cbranch_execz .LBB137_160
; %bb.90:                               ;   in Loop: Header=BB137_11 Depth=1
	s_cmp_lg_u32 s48, 0
	v_mov_b32_e32 v3, 0
	s_cselect_b32 s45, -1, 0
	v_mov_b32_e32 v4, 0
	s_and_b32 s24, s45, exec_lo
	s_cselect_b32 s58, 0, s26
	s_delay_alu instid0(SALU_CYCLE_1) | instskip(NEXT) | instid1(SALU_CYCLE_1)
	s_ashr_i32 s59, s58, 31
	s_lshl_b64 s[62:63], s[58:59], 3
	s_delay_alu instid0(SALU_CYCLE_1)
	s_add_u32 s60, s60, s62
	s_addc_u32 s61, s61, s63
	global_load_b64 v[6:7], v5, s[60:61]
	s_waitcnt vmcnt(0)
	v_cmp_eq_f64_e32 vcc_lo, 0, v[6:7]
	s_cbranch_vccnz .LBB137_92
; %bb.91:                               ;   in Loop: Header=BB137_11 Depth=1
	ds_load_b64 v[1:2], v5 offset:2056
	s_waitcnt lgkmcnt(0)
	v_div_scale_f64 v[3:4], null, v[6:7], v[6:7], v[1:2]
	s_delay_alu instid0(VALU_DEP_1) | instskip(SKIP_2) | instid1(VALU_DEP_1)
	v_rcp_f64_e32 v[8:9], v[3:4]
	s_waitcnt_depctr 0xfff
	v_fma_f64 v[10:11], -v[3:4], v[8:9], 1.0
	v_fma_f64 v[8:9], v[8:9], v[10:11], v[8:9]
	s_delay_alu instid0(VALU_DEP_1) | instskip(NEXT) | instid1(VALU_DEP_1)
	v_fma_f64 v[10:11], -v[3:4], v[8:9], 1.0
	v_fma_f64 v[8:9], v[8:9], v[10:11], v[8:9]
	v_div_scale_f64 v[10:11], vcc_lo, v[1:2], v[6:7], v[1:2]
	s_delay_alu instid0(VALU_DEP_1) | instskip(NEXT) | instid1(VALU_DEP_1)
	v_mul_f64 v[12:13], v[10:11], v[8:9]
	v_fma_f64 v[3:4], -v[3:4], v[12:13], v[10:11]
	s_delay_alu instid0(VALU_DEP_1) | instskip(SKIP_1) | instid1(VALU_DEP_2)
	v_div_fmas_f64 v[3:4], v[3:4], v[8:9], v[12:13]
	v_cmp_lt_f64_e32 vcc_lo, 0, v[6:7]
	v_div_fixup_f64 v[3:4], v[3:4], v[6:7], v[1:2]
	v_cndmask_b32_e64 v8, 0, 1, vcc_lo
	v_cmp_gt_f64_e32 vcc_lo, 0, v[6:7]
	v_add_f64 v[1:2], |v[6:7]|, -v[1:2]
	s_delay_alu instid0(VALU_DEP_3) | instskip(NEXT) | instid1(VALU_DEP_1)
	v_subrev_co_ci_u32_e32 v8, vcc_lo, 0, v8, vcc_lo
	v_cvt_f64_i32_e32 v[8:9], v8
	s_delay_alu instid0(VALU_DEP_1) | instskip(NEXT) | instid1(VALU_DEP_1)
	v_add_f64 v[3:4], v[3:4], v[8:9]
	v_mul_f64 v[3:4], v[1:2], v[3:4]
.LBB137_92:                             ;   in Loop: Header=BB137_11 Depth=1
	s_cmp_gt_i32 s26, 0
	s_cbranch_scc1 .LBB137_94
; %bb.93:                               ;   in Loop: Header=BB137_11 Depth=1
	s_add_i32 s53, s26, -1
	s_cbranch_execz .LBB137_95
	s_branch .LBB137_159
.LBB137_94:                             ;   in Loop: Header=BB137_11 Depth=1
                                        ; implicit-def: $sgpr53
.LBB137_95:                             ;   in Loop: Header=BB137_11 Depth=1
	s_ashr_i32 s49, s48, 31
	s_sub_u32 s53, 0, s48
	s_subb_u32 s57, 0, s49
	s_add_u32 s62, s58, s48
	s_addc_u32 s63, s59, s49
	v_mov_b32_e32 v12, 0
	s_lshl_b64 s[64:65], s[62:63], 3
	v_mov_b32_e32 v13, 0
	s_add_u32 s66, s16, s64
	s_addc_u32 s67, s93, s65
	global_load_b64 v[8:9], v5, s[66:67] offset:-8
	s_waitcnt vmcnt(0)
	v_cmp_eq_f64_e32 vcc_lo, 0, v[8:9]
	s_cbranch_vccnz .LBB137_99
; %bb.96:                               ;   in Loop: Header=BB137_11 Depth=1
	v_cmp_eq_f64_e32 vcc_lo, 0, v[3:4]
	v_mov_b32_e32 v10, 0
	v_mov_b32_e32 v11, 0
	s_cbranch_vccnz .LBB137_100
; %bb.97:                               ;   in Loop: Header=BB137_11 Depth=1
	v_cmp_gt_f64_e64 s24, |v[8:9]|, |v[3:4]|
	s_delay_alu instid0(VALU_DEP_1)
	s_and_b32 vcc_lo, exec_lo, s24
	s_cbranch_vccnz .LBB137_101
; %bb.98:                               ;   in Loop: Header=BB137_11 Depth=1
	v_div_scale_f64 v[1:2], null, v[3:4], v[3:4], -v[8:9]
	v_div_scale_f64 v[14:15], vcc_lo, -v[8:9], v[3:4], -v[8:9]
	s_mov_b32 s55, 0
	s_delay_alu instid0(VALU_DEP_2) | instskip(SKIP_2) | instid1(VALU_DEP_1)
	v_rcp_f64_e32 v[10:11], v[1:2]
	s_waitcnt_depctr 0xfff
	v_fma_f64 v[12:13], -v[1:2], v[10:11], 1.0
	v_fma_f64 v[10:11], v[10:11], v[12:13], v[10:11]
	s_delay_alu instid0(VALU_DEP_1) | instskip(NEXT) | instid1(VALU_DEP_1)
	v_fma_f64 v[12:13], -v[1:2], v[10:11], 1.0
	v_fma_f64 v[10:11], v[10:11], v[12:13], v[10:11]
	s_delay_alu instid0(VALU_DEP_1) | instskip(NEXT) | instid1(VALU_DEP_1)
	v_mul_f64 v[12:13], v[14:15], v[10:11]
	v_fma_f64 v[1:2], -v[1:2], v[12:13], v[14:15]
	s_delay_alu instid0(VALU_DEP_1) | instskip(NEXT) | instid1(VALU_DEP_1)
	v_div_fmas_f64 v[1:2], v[1:2], v[10:11], v[12:13]
	v_div_fixup_f64 v[1:2], v[1:2], v[3:4], -v[8:9]
	s_delay_alu instid0(VALU_DEP_1) | instskip(NEXT) | instid1(VALU_DEP_1)
	v_fma_f64 v[10:11], v[1:2], v[1:2], 1.0
	v_cmp_gt_f64_e32 vcc_lo, 0x10000000, v[10:11]
	v_cndmask_b32_e64 v12, 0, 1, vcc_lo
	s_and_b32 s24, vcc_lo, exec_lo
	s_cselect_b32 s24, 0xffffff80, 0
	s_delay_alu instid0(VALU_DEP_1) | instskip(NEXT) | instid1(VALU_DEP_1)
	v_lshlrev_b32_e32 v12, 8, v12
	v_ldexp_f64 v[10:11], v[10:11], v12
	s_delay_alu instid0(VALU_DEP_1) | instskip(SKIP_4) | instid1(VALU_DEP_1)
	v_rsq_f64_e32 v[12:13], v[10:11]
	v_cmp_class_f64_e64 vcc_lo, v[10:11], 0x260
	s_waitcnt_depctr 0xfff
	v_mul_f64 v[14:15], v[10:11], v[12:13]
	v_mul_f64 v[12:13], v[12:13], 0.5
	v_fma_f64 v[27:28], -v[12:13], v[14:15], 0.5
	s_delay_alu instid0(VALU_DEP_1) | instskip(SKIP_1) | instid1(VALU_DEP_2)
	v_fma_f64 v[14:15], v[14:15], v[27:28], v[14:15]
	v_fma_f64 v[12:13], v[12:13], v[27:28], v[12:13]
	v_fma_f64 v[27:28], -v[14:15], v[14:15], v[10:11]
	s_delay_alu instid0(VALU_DEP_1) | instskip(NEXT) | instid1(VALU_DEP_1)
	v_fma_f64 v[14:15], v[27:28], v[12:13], v[14:15]
	v_fma_f64 v[27:28], -v[14:15], v[14:15], v[10:11]
	s_delay_alu instid0(VALU_DEP_1) | instskip(NEXT) | instid1(VALU_DEP_1)
	v_fma_f64 v[12:13], v[27:28], v[12:13], v[14:15]
	v_ldexp_f64 v[12:13], v[12:13], s24
	s_delay_alu instid0(VALU_DEP_1) | instskip(NEXT) | instid1(VALU_DEP_1)
	v_dual_cndmask_b32 v11, v13, v11 :: v_dual_cndmask_b32 v10, v12, v10
	v_div_scale_f64 v[12:13], null, v[10:11], v[10:11], 1.0
	s_delay_alu instid0(VALU_DEP_1) | instskip(SKIP_2) | instid1(VALU_DEP_1)
	v_rcp_f64_e32 v[14:15], v[12:13]
	s_waitcnt_depctr 0xfff
	v_fma_f64 v[27:28], -v[12:13], v[14:15], 1.0
	v_fma_f64 v[14:15], v[14:15], v[27:28], v[14:15]
	s_delay_alu instid0(VALU_DEP_1) | instskip(NEXT) | instid1(VALU_DEP_1)
	v_fma_f64 v[27:28], -v[12:13], v[14:15], 1.0
	v_fma_f64 v[14:15], v[14:15], v[27:28], v[14:15]
	v_div_scale_f64 v[27:28], vcc_lo, 1.0, v[10:11], 1.0
	s_delay_alu instid0(VALU_DEP_1) | instskip(NEXT) | instid1(VALU_DEP_1)
	v_mul_f64 v[29:30], v[27:28], v[14:15]
	v_fma_f64 v[12:13], -v[12:13], v[29:30], v[27:28]
	s_delay_alu instid0(VALU_DEP_1) | instskip(NEXT) | instid1(VALU_DEP_1)
	v_div_fmas_f64 v[12:13], v[12:13], v[14:15], v[29:30]
	v_div_fixup_f64 v[10:11], v[12:13], v[10:11], 1.0
	s_delay_alu instid0(VALU_DEP_1)
	v_mul_f64 v[12:13], v[1:2], v[10:11]
	s_branch .LBB137_102
.LBB137_99:                             ;   in Loop: Header=BB137_11 Depth=1
	v_mov_b32_e32 v10, 0
	v_mov_b32_e32 v11, 0x3ff00000
	s_branch .LBB137_104
.LBB137_100:                            ;   in Loop: Header=BB137_11 Depth=1
	v_mov_b32_e32 v12, 0
	v_mov_b32_e32 v13, 0x3ff00000
	s_branch .LBB137_104
.LBB137_101:                            ;   in Loop: Header=BB137_11 Depth=1
	s_mov_b32 s55, -1
                                        ; implicit-def: $vgpr10_vgpr11
                                        ; implicit-def: $vgpr12_vgpr13
.LBB137_102:                            ;   in Loop: Header=BB137_11 Depth=1
	s_delay_alu instid0(SALU_CYCLE_1)
	s_and_not1_b32 vcc_lo, exec_lo, s55
	s_cbranch_vccnz .LBB137_104
; %bb.103:                              ;   in Loop: Header=BB137_11 Depth=1
	v_div_scale_f64 v[1:2], null, v[8:9], v[8:9], -v[3:4]
	v_div_scale_f64 v[14:15], vcc_lo, -v[3:4], v[8:9], -v[3:4]
	s_delay_alu instid0(VALU_DEP_2) | instskip(SKIP_2) | instid1(VALU_DEP_1)
	v_rcp_f64_e32 v[10:11], v[1:2]
	s_waitcnt_depctr 0xfff
	v_fma_f64 v[12:13], -v[1:2], v[10:11], 1.0
	v_fma_f64 v[10:11], v[10:11], v[12:13], v[10:11]
	s_delay_alu instid0(VALU_DEP_1) | instskip(NEXT) | instid1(VALU_DEP_1)
	v_fma_f64 v[12:13], -v[1:2], v[10:11], 1.0
	v_fma_f64 v[10:11], v[10:11], v[12:13], v[10:11]
	s_delay_alu instid0(VALU_DEP_1) | instskip(NEXT) | instid1(VALU_DEP_1)
	v_mul_f64 v[12:13], v[14:15], v[10:11]
	v_fma_f64 v[1:2], -v[1:2], v[12:13], v[14:15]
	s_delay_alu instid0(VALU_DEP_1) | instskip(NEXT) | instid1(VALU_DEP_1)
	v_div_fmas_f64 v[1:2], v[1:2], v[10:11], v[12:13]
	v_div_fixup_f64 v[1:2], v[1:2], v[8:9], -v[3:4]
	s_delay_alu instid0(VALU_DEP_1) | instskip(NEXT) | instid1(VALU_DEP_1)
	v_fma_f64 v[3:4], v[1:2], v[1:2], 1.0
	v_cmp_gt_f64_e32 vcc_lo, 0x10000000, v[3:4]
	v_cndmask_b32_e64 v10, 0, 1, vcc_lo
	s_and_b32 s24, vcc_lo, exec_lo
	s_cselect_b32 s24, 0xffffff80, 0
	s_delay_alu instid0(VALU_DEP_1) | instskip(NEXT) | instid1(VALU_DEP_1)
	v_lshlrev_b32_e32 v10, 8, v10
	v_ldexp_f64 v[3:4], v[3:4], v10
	s_delay_alu instid0(VALU_DEP_1) | instskip(SKIP_4) | instid1(VALU_DEP_1)
	v_rsq_f64_e32 v[10:11], v[3:4]
	v_cmp_class_f64_e64 vcc_lo, v[3:4], 0x260
	s_waitcnt_depctr 0xfff
	v_mul_f64 v[12:13], v[3:4], v[10:11]
	v_mul_f64 v[10:11], v[10:11], 0.5
	v_fma_f64 v[14:15], -v[10:11], v[12:13], 0.5
	s_delay_alu instid0(VALU_DEP_1) | instskip(SKIP_1) | instid1(VALU_DEP_2)
	v_fma_f64 v[12:13], v[12:13], v[14:15], v[12:13]
	v_fma_f64 v[10:11], v[10:11], v[14:15], v[10:11]
	v_fma_f64 v[14:15], -v[12:13], v[12:13], v[3:4]
	s_delay_alu instid0(VALU_DEP_1) | instskip(NEXT) | instid1(VALU_DEP_1)
	v_fma_f64 v[12:13], v[14:15], v[10:11], v[12:13]
	v_fma_f64 v[14:15], -v[12:13], v[12:13], v[3:4]
	s_delay_alu instid0(VALU_DEP_1) | instskip(NEXT) | instid1(VALU_DEP_1)
	v_fma_f64 v[10:11], v[14:15], v[10:11], v[12:13]
	v_ldexp_f64 v[10:11], v[10:11], s24
	s_delay_alu instid0(VALU_DEP_1) | instskip(NEXT) | instid1(VALU_DEP_1)
	v_dual_cndmask_b32 v4, v11, v4 :: v_dual_cndmask_b32 v3, v10, v3
	v_div_scale_f64 v[10:11], null, v[3:4], v[3:4], 1.0
	s_delay_alu instid0(VALU_DEP_1) | instskip(SKIP_2) | instid1(VALU_DEP_1)
	v_rcp_f64_e32 v[12:13], v[10:11]
	s_waitcnt_depctr 0xfff
	v_fma_f64 v[14:15], -v[10:11], v[12:13], 1.0
	v_fma_f64 v[12:13], v[12:13], v[14:15], v[12:13]
	s_delay_alu instid0(VALU_DEP_1) | instskip(NEXT) | instid1(VALU_DEP_1)
	v_fma_f64 v[14:15], -v[10:11], v[12:13], 1.0
	v_fma_f64 v[12:13], v[12:13], v[14:15], v[12:13]
	v_div_scale_f64 v[14:15], vcc_lo, 1.0, v[3:4], 1.0
	s_delay_alu instid0(VALU_DEP_1) | instskip(NEXT) | instid1(VALU_DEP_1)
	v_mul_f64 v[27:28], v[14:15], v[12:13]
	v_fma_f64 v[10:11], -v[10:11], v[27:28], v[14:15]
	s_delay_alu instid0(VALU_DEP_1) | instskip(NEXT) | instid1(VALU_DEP_1)
	v_div_fmas_f64 v[10:11], v[10:11], v[12:13], v[27:28]
	v_div_fixup_f64 v[12:13], v[10:11], v[3:4], 1.0
	s_delay_alu instid0(VALU_DEP_1)
	v_mul_f64 v[10:11], v[1:2], v[12:13]
.LBB137_104:                            ;   in Loop: Header=BB137_11 Depth=1
	s_delay_alu instid0(VALU_DEP_1)
	v_mul_f64 v[1:2], v[8:9], v[10:11]
	s_lshl_b64 s[68:69], s[50:51], 3
	s_and_b32 s24, s75, s45
	s_add_u32 s25, s40, s68
	s_addc_u32 s59, s41, s69
	s_add_u32 s55, s25, 32
	s_addc_u32 s59, s59, 0
	s_sub_u32 s70, s48, s53
	s_subb_u32 s71, s49, s57
	v_cndmask_b32_e64 v14, 0, 1, s24
	s_lshl_b64 s[72:73], s[70:71], 3
	s_delay_alu instid0(SALU_CYCLE_1) | instskip(SKIP_2) | instid1(VALU_DEP_2)
	s_add_u32 s72, s60, s72
	s_addc_u32 s73, s61, s73
	s_and_not1_b32 vcc_lo, exec_lo, s24
	v_fma_f64 v[1:2], v[6:7], v[12:13], v[1:2]
	global_store_b64 v5, v[1:2], s[66:67] offset:-8
	global_load_b64 v[1:2], v5, s[72:73] offset:-8
	s_waitcnt vmcnt(0)
	v_mul_f64 v[3:4], v[10:11], v[1:2]
	global_store_b64 v5, v[3:4], s[72:73] offset:-8
	s_cbranch_vccnz .LBB137_106
; %bb.105:                              ;   in Loop: Header=BB137_11 Depth=1
	s_add_u32 s94, s55, s64
	s_addc_u32 s95, s59, s65
	s_ashr_i32 s57, s56, 31
	s_delay_alu instid0(SALU_CYCLE_1) | instskip(NEXT) | instid1(SALU_CYCLE_1)
	s_lshl_b64 s[96:97], s[56:57], 3
	s_add_u32 s96, s94, s96
	s_addc_u32 s97, s95, s97
	s_clause 0x1
	global_store_b64 v5, v[10:11], s[94:95] offset:-8
	global_store_b64 v5, v[12:13], s[96:97] offset:-8
.LBB137_106:                            ;   in Loop: Header=BB137_11 Depth=1
	s_cmp_lg_u32 s48, 1
	s_cselect_b32 s95, -1, 0
	s_cmp_eq_u32 s48, 1
	s_cselect_b32 s24, -1, 0
	s_delay_alu instid0(SALU_CYCLE_1) | instskip(NEXT) | instid1(SALU_CYCLE_1)
	s_or_b32 s94, s79, s24
	s_and_b32 vcc_lo, exec_lo, s94
	s_cbranch_vccnz .LBB137_108
; %bb.107:                              ;   in Loop: Header=BB137_11 Depth=1
	s_ashr_i32 s24, s27, 31
	s_add_u32 s96, s62, s27
	s_addc_u32 s97, s63, s24
	s_delay_alu instid0(SALU_CYCLE_1) | instskip(NEXT) | instid1(SALU_CYCLE_1)
	s_lshl_b64 s[96:97], s[96:97], 3
	s_add_u32 s96, s55, s96
	s_addc_u32 s97, s59, s97
	s_ashr_i32 s57, s56, 31
	s_delay_alu instid0(SALU_CYCLE_1) | instskip(NEXT) | instid1(SALU_CYCLE_1)
	s_lshl_b64 s[98:99], s[56:57], 3
	s_add_u32 s98, s96, s98
	s_addc_u32 s99, s97, s99
	s_clause 0x1
	global_store_b64 v5, v[10:11], s[96:97] offset:-8
	global_store_b64 v5, v[12:13], s[98:99] offset:-8
.LBB137_108:                            ;   in Loop: Header=BB137_11 Depth=1
	v_mul_f64 v[1:2], v[1:2], -v[12:13]
	v_mul_f64 v[3:4], v[8:9], v[12:13]
	s_delay_alu instid0(VALU_DEP_2) | instskip(NEXT) | instid1(VALU_DEP_2)
	v_cmp_eq_f64_e32 vcc_lo, 0, v[1:2]
	v_fma_f64 v[3:4], v[6:7], v[10:11], -v[3:4]
	v_mov_b32_e32 v6, 0
	v_mov_b32_e32 v7, 0
	s_cbranch_vccnz .LBB137_112
; %bb.109:                              ;   in Loop: Header=BB137_11 Depth=1
	s_delay_alu instid0(VALU_DEP_3)
	v_cmp_eq_f64_e32 vcc_lo, 0, v[3:4]
	s_cbranch_vccnz .LBB137_113
; %bb.110:                              ;   in Loop: Header=BB137_11 Depth=1
	v_cmp_gt_f64_e64 s24, |v[1:2]|, |v[3:4]|
	s_delay_alu instid0(VALU_DEP_1)
	s_and_b32 vcc_lo, exec_lo, s24
	s_cbranch_vccnz .LBB137_114
; %bb.111:                              ;   in Loop: Header=BB137_11 Depth=1
	v_div_scale_f64 v[6:7], null, v[3:4], v[3:4], -v[1:2]
	v_div_scale_f64 v[12:13], vcc_lo, -v[1:2], v[3:4], -v[1:2]
	s_mov_b32 s53, 0
	s_delay_alu instid0(VALU_DEP_2) | instskip(SKIP_2) | instid1(VALU_DEP_1)
	v_rcp_f64_e32 v[8:9], v[6:7]
	s_waitcnt_depctr 0xfff
	v_fma_f64 v[10:11], -v[6:7], v[8:9], 1.0
	v_fma_f64 v[8:9], v[8:9], v[10:11], v[8:9]
	s_delay_alu instid0(VALU_DEP_1) | instskip(NEXT) | instid1(VALU_DEP_1)
	v_fma_f64 v[10:11], -v[6:7], v[8:9], 1.0
	v_fma_f64 v[8:9], v[8:9], v[10:11], v[8:9]
	s_delay_alu instid0(VALU_DEP_1) | instskip(NEXT) | instid1(VALU_DEP_1)
	v_mul_f64 v[10:11], v[12:13], v[8:9]
	v_fma_f64 v[6:7], -v[6:7], v[10:11], v[12:13]
	s_delay_alu instid0(VALU_DEP_1) | instskip(NEXT) | instid1(VALU_DEP_1)
	v_div_fmas_f64 v[6:7], v[6:7], v[8:9], v[10:11]
	v_div_fixup_f64 v[6:7], v[6:7], v[3:4], -v[1:2]
	s_delay_alu instid0(VALU_DEP_1) | instskip(NEXT) | instid1(VALU_DEP_1)
	v_fma_f64 v[8:9], v[6:7], v[6:7], 1.0
	v_cmp_gt_f64_e32 vcc_lo, 0x10000000, v[8:9]
	v_cndmask_b32_e64 v10, 0, 1, vcc_lo
	s_and_b32 s24, vcc_lo, exec_lo
	s_cselect_b32 s24, 0xffffff80, 0
	s_delay_alu instid0(VALU_DEP_1) | instskip(NEXT) | instid1(VALU_DEP_1)
	v_lshlrev_b32_e32 v10, 8, v10
	v_ldexp_f64 v[8:9], v[8:9], v10
	s_delay_alu instid0(VALU_DEP_1) | instskip(SKIP_4) | instid1(VALU_DEP_1)
	v_rsq_f64_e32 v[10:11], v[8:9]
	v_cmp_class_f64_e64 vcc_lo, v[8:9], 0x260
	s_waitcnt_depctr 0xfff
	v_mul_f64 v[12:13], v[8:9], v[10:11]
	v_mul_f64 v[10:11], v[10:11], 0.5
	v_fma_f64 v[27:28], -v[10:11], v[12:13], 0.5
	s_delay_alu instid0(VALU_DEP_1) | instskip(SKIP_1) | instid1(VALU_DEP_2)
	v_fma_f64 v[12:13], v[12:13], v[27:28], v[12:13]
	v_fma_f64 v[10:11], v[10:11], v[27:28], v[10:11]
	v_fma_f64 v[27:28], -v[12:13], v[12:13], v[8:9]
	s_delay_alu instid0(VALU_DEP_1) | instskip(NEXT) | instid1(VALU_DEP_1)
	v_fma_f64 v[12:13], v[27:28], v[10:11], v[12:13]
	v_fma_f64 v[27:28], -v[12:13], v[12:13], v[8:9]
	s_delay_alu instid0(VALU_DEP_1) | instskip(NEXT) | instid1(VALU_DEP_1)
	v_fma_f64 v[10:11], v[27:28], v[10:11], v[12:13]
	v_ldexp_f64 v[10:11], v[10:11], s24
	s_delay_alu instid0(VALU_DEP_1) | instskip(NEXT) | instid1(VALU_DEP_1)
	v_dual_cndmask_b32 v9, v11, v9 :: v_dual_cndmask_b32 v8, v10, v8
	v_div_scale_f64 v[10:11], null, v[8:9], v[8:9], 1.0
	s_delay_alu instid0(VALU_DEP_1) | instskip(SKIP_2) | instid1(VALU_DEP_1)
	v_rcp_f64_e32 v[12:13], v[10:11]
	s_waitcnt_depctr 0xfff
	v_fma_f64 v[27:28], -v[10:11], v[12:13], 1.0
	v_fma_f64 v[12:13], v[12:13], v[27:28], v[12:13]
	s_delay_alu instid0(VALU_DEP_1) | instskip(NEXT) | instid1(VALU_DEP_1)
	v_fma_f64 v[27:28], -v[10:11], v[12:13], 1.0
	v_fma_f64 v[12:13], v[12:13], v[27:28], v[12:13]
	v_div_scale_f64 v[27:28], vcc_lo, 1.0, v[8:9], 1.0
	s_delay_alu instid0(VALU_DEP_1) | instskip(NEXT) | instid1(VALU_DEP_1)
	v_mul_f64 v[29:30], v[27:28], v[12:13]
	v_fma_f64 v[10:11], -v[10:11], v[29:30], v[27:28]
	s_delay_alu instid0(VALU_DEP_1) | instskip(NEXT) | instid1(VALU_DEP_1)
	v_div_fmas_f64 v[10:11], v[10:11], v[12:13], v[29:30]
	v_div_fixup_f64 v[8:9], v[10:11], v[8:9], 1.0
	s_delay_alu instid0(VALU_DEP_1)
	v_mul_f64 v[6:7], v[6:7], v[8:9]
	s_branch .LBB137_115
.LBB137_112:                            ;   in Loop: Header=BB137_11 Depth=1
	v_mov_b32_e32 v8, 0
	v_mov_b32_e32 v9, 0x3ff00000
	s_branch .LBB137_119
.LBB137_113:                            ;   in Loop: Header=BB137_11 Depth=1
                                        ; implicit-def: $vgpr3_vgpr4
                                        ; implicit-def: $vgpr8_vgpr9
                                        ; implicit-def: $vgpr6_vgpr7
	s_cbranch_execnz .LBB137_118
	s_branch .LBB137_119
.LBB137_114:                            ;   in Loop: Header=BB137_11 Depth=1
	s_mov_b32 s53, -1
                                        ; implicit-def: $vgpr8_vgpr9
                                        ; implicit-def: $vgpr6_vgpr7
.LBB137_115:                            ;   in Loop: Header=BB137_11 Depth=1
	s_delay_alu instid0(SALU_CYCLE_1)
	s_and_not1_b32 vcc_lo, exec_lo, s53
	s_cbranch_vccnz .LBB137_117
; %bb.116:                              ;   in Loop: Header=BB137_11 Depth=1
	v_div_scale_f64 v[6:7], null, v[1:2], v[1:2], -v[3:4]
	v_div_scale_f64 v[12:13], vcc_lo, -v[3:4], v[1:2], -v[3:4]
	s_delay_alu instid0(VALU_DEP_2) | instskip(SKIP_2) | instid1(VALU_DEP_1)
	v_rcp_f64_e32 v[8:9], v[6:7]
	s_waitcnt_depctr 0xfff
	v_fma_f64 v[10:11], -v[6:7], v[8:9], 1.0
	v_fma_f64 v[8:9], v[8:9], v[10:11], v[8:9]
	s_delay_alu instid0(VALU_DEP_1) | instskip(NEXT) | instid1(VALU_DEP_1)
	v_fma_f64 v[10:11], -v[6:7], v[8:9], 1.0
	v_fma_f64 v[8:9], v[8:9], v[10:11], v[8:9]
	s_delay_alu instid0(VALU_DEP_1) | instskip(NEXT) | instid1(VALU_DEP_1)
	v_mul_f64 v[10:11], v[12:13], v[8:9]
	v_fma_f64 v[6:7], -v[6:7], v[10:11], v[12:13]
	s_delay_alu instid0(VALU_DEP_1) | instskip(NEXT) | instid1(VALU_DEP_1)
	v_div_fmas_f64 v[6:7], v[6:7], v[8:9], v[10:11]
	v_div_fixup_f64 v[8:9], v[6:7], v[1:2], -v[3:4]
	s_delay_alu instid0(VALU_DEP_1) | instskip(NEXT) | instid1(VALU_DEP_1)
	v_fma_f64 v[6:7], v[8:9], v[8:9], 1.0
	v_cmp_gt_f64_e32 vcc_lo, 0x10000000, v[6:7]
	v_cndmask_b32_e64 v10, 0, 1, vcc_lo
	s_and_b32 s24, vcc_lo, exec_lo
	s_cselect_b32 s24, 0xffffff80, 0
	s_delay_alu instid0(VALU_DEP_1) | instskip(NEXT) | instid1(VALU_DEP_1)
	v_lshlrev_b32_e32 v10, 8, v10
	v_ldexp_f64 v[6:7], v[6:7], v10
	s_delay_alu instid0(VALU_DEP_1) | instskip(SKIP_4) | instid1(VALU_DEP_1)
	v_rsq_f64_e32 v[10:11], v[6:7]
	v_cmp_class_f64_e64 vcc_lo, v[6:7], 0x260
	s_waitcnt_depctr 0xfff
	v_mul_f64 v[12:13], v[6:7], v[10:11]
	v_mul_f64 v[10:11], v[10:11], 0.5
	v_fma_f64 v[27:28], -v[10:11], v[12:13], 0.5
	s_delay_alu instid0(VALU_DEP_1) | instskip(SKIP_1) | instid1(VALU_DEP_2)
	v_fma_f64 v[12:13], v[12:13], v[27:28], v[12:13]
	v_fma_f64 v[10:11], v[10:11], v[27:28], v[10:11]
	v_fma_f64 v[27:28], -v[12:13], v[12:13], v[6:7]
	s_delay_alu instid0(VALU_DEP_1) | instskip(NEXT) | instid1(VALU_DEP_1)
	v_fma_f64 v[12:13], v[27:28], v[10:11], v[12:13]
	v_fma_f64 v[27:28], -v[12:13], v[12:13], v[6:7]
	s_delay_alu instid0(VALU_DEP_1) | instskip(NEXT) | instid1(VALU_DEP_1)
	v_fma_f64 v[10:11], v[27:28], v[10:11], v[12:13]
	v_ldexp_f64 v[10:11], v[10:11], s24
	s_delay_alu instid0(VALU_DEP_1) | instskip(NEXT) | instid1(VALU_DEP_1)
	v_dual_cndmask_b32 v7, v11, v7 :: v_dual_cndmask_b32 v6, v10, v6
	v_div_scale_f64 v[10:11], null, v[6:7], v[6:7], 1.0
	s_delay_alu instid0(VALU_DEP_1) | instskip(SKIP_2) | instid1(VALU_DEP_1)
	v_rcp_f64_e32 v[12:13], v[10:11]
	s_waitcnt_depctr 0xfff
	v_fma_f64 v[27:28], -v[10:11], v[12:13], 1.0
	v_fma_f64 v[12:13], v[12:13], v[27:28], v[12:13]
	s_delay_alu instid0(VALU_DEP_1) | instskip(NEXT) | instid1(VALU_DEP_1)
	v_fma_f64 v[27:28], -v[10:11], v[12:13], 1.0
	v_fma_f64 v[12:13], v[12:13], v[27:28], v[12:13]
	v_div_scale_f64 v[27:28], vcc_lo, 1.0, v[6:7], 1.0
	s_delay_alu instid0(VALU_DEP_1) | instskip(NEXT) | instid1(VALU_DEP_1)
	v_mul_f64 v[29:30], v[27:28], v[12:13]
	v_fma_f64 v[10:11], -v[10:11], v[29:30], v[27:28]
	s_delay_alu instid0(VALU_DEP_1) | instskip(NEXT) | instid1(VALU_DEP_1)
	v_div_fmas_f64 v[10:11], v[10:11], v[12:13], v[29:30]
	v_div_fixup_f64 v[6:7], v[10:11], v[6:7], 1.0
	s_delay_alu instid0(VALU_DEP_1)
	v_mul_f64 v[8:9], v[8:9], v[6:7]
.LBB137_117:                            ;   in Loop: Header=BB137_11 Depth=1
	s_delay_alu instid0(VALU_DEP_1) | instskip(NEXT) | instid1(VALU_DEP_1)
	v_mul_f64 v[10:11], v[1:2], v[6:7]
	v_fma_f64 v[3:4], v[3:4], v[8:9], -v[10:11]
	s_branch .LBB137_119
.LBB137_118:                            ;   in Loop: Header=BB137_11 Depth=1
	v_mov_b32_e32 v8, 0
	v_dual_mov_b32 v9, 0 :: v_dual_mov_b32 v6, 0
	v_xor_b32_e32 v4, 0x80000000, v2
	v_mov_b32_e32 v7, 0x3ff00000
	v_mov_b32_e32 v3, v1
.LBB137_119:                            ;   in Loop: Header=BB137_11 Depth=1
	global_store_b64 v5, v[3:4], s[60:61]
	s_clause 0x1
	global_load_b64 v[10:11], v5, s[72:73] offset:-8
	global_load_b64 v[3:4], v5, s[66:67] offset:-8
	s_cmp_eq_u32 s56, 2
	s_waitcnt vmcnt(1)
	v_mul_f64 v[12:13], v[8:9], v[10:11]
	s_waitcnt vmcnt(0)
	s_delay_alu instid0(VALU_DEP_1)
	v_fma_f64 v[12:13], v[6:7], v[3:4], v[12:13]
	global_store_b64 v5, v[12:13], s[72:73] offset:-8
	s_cbranch_scc0 .LBB137_156
; %bb.120:                              ;   in Loop: Header=BB137_11 Depth=1
	s_and_b32 s24, s75, s95
	s_delay_alu instid0(SALU_CYCLE_1)
	v_cndmask_b32_e64 v12, 0, 1, s24
	s_and_not1_b32 vcc_lo, exec_lo, s24
	s_cbranch_vccz .LBB137_157
.LBB137_121:                            ;   in Loop: Header=BB137_11 Depth=1
	s_xor_b32 s24, s45, -1
	s_delay_alu instid0(SALU_CYCLE_1) | instskip(NEXT) | instid1(SALU_CYCLE_1)
	s_or_b32 s60, s79, s24
	s_and_b32 vcc_lo, exec_lo, s60
	s_cbranch_vccnz .LBB137_123
.LBB137_122:                            ;   in Loop: Header=BB137_11 Depth=1
	s_ashr_i32 s24, s27, 31
	s_add_u32 s62, s62, s27
	s_addc_u32 s63, s63, s24
	s_delay_alu instid0(SALU_CYCLE_1) | instskip(NEXT) | instid1(SALU_CYCLE_1)
	s_lshl_b64 s[62:63], s[62:63], 3
	s_add_u32 s62, s55, s62
	s_addc_u32 s63, s59, s63
	s_ashr_i32 s57, s56, 31
	s_delay_alu instid0(SALU_CYCLE_1) | instskip(NEXT) | instid1(SALU_CYCLE_1)
	s_lshl_b64 s[64:65], s[56:57], 3
	s_add_u32 s64, s62, s64
	s_addc_u32 s65, s63, s65
	s_clause 0x1
	global_store_b64 v5, v[8:9], s[62:63] offset:-8
	global_store_b64 v5, v[6:7], s[64:65] offset:-8
.LBB137_123:                            ;   in Loop: Header=BB137_11 Depth=1
	v_mul_f64 v[6:7], v[6:7], v[10:11]
	s_cmp_eq_u32 s26, 1
	s_mov_b32 s53, 0
	s_delay_alu instid0(VALU_DEP_1)
	v_fma_f64 v[3:4], v[8:9], v[3:4], -v[6:7]
	s_cbranch_scc1 .LBB137_159
; %bb.124:                              ;   in Loop: Header=BB137_11 Depth=1
	s_lshl_b64 s[96:97], s[48:49], 4
	s_xor_b32 s64, s94, -1
	s_xor_b32 s65, s60, -1
	s_add_i32 s60, s58, s52
	s_add_i32 s53, s26, -1
	s_sub_i32 s62, s58, s54
	s_ashr_i32 s24, s27, 31
	s_ashr_i32 s57, s56, 31
	s_add_u32 s25, s96, s8
	s_addc_u32 s100, s97, s9
	s_ashr_i32 s61, s60, 31
	s_mov_b32 s84, s102
	s_lshl_b64 s[60:61], s[60:61], 3
	s_mov_b32 s92, s103
	s_add_u32 s49, s25, s60
	s_addc_u32 s55, s100, s61
	s_add_u32 s49, s102, s49
	s_addc_u32 s66, s103, s55
	s_lshl_b32 s55, s48, 1
	s_delay_alu instid0(SALU_CYCLE_1) | instskip(NEXT) | instid1(SALU_CYCLE_1)
	s_add_i32 s58, s55, -2
	s_ashr_i32 s59, s58, 31
	s_delay_alu instid0(SALU_CYCLE_1) | instskip(NEXT) | instid1(SALU_CYCLE_1)
	s_lshl_b64 s[58:59], s[58:59], 3
	s_or_b32 s58, s58, 8
	s_add_u32 s55, s8, s60
	s_addc_u32 s60, s9, s61
	s_add_u32 s67, s28, s55
	s_addc_u32 s72, s33, s60
	;; [unrolled: 2-line block ×3, first 2 shown]
	s_ashr_i32 s63, s62, 31
	s_add_u32 s60, s55, s62
	s_addc_u32 s61, s24, s63
	s_delay_alu instid0(SALU_CYCLE_1) | instskip(NEXT) | instid1(SALU_CYCLE_1)
	s_lshl_b64 s[60:61], s[60:61], 3
	s_add_u32 s24, s60, s68
	s_addc_u32 s55, s61, s69
	s_lshl_b64 s[56:57], s[56:57], 3
	s_delay_alu instid0(SALU_CYCLE_1)
	s_add_u32 s60, s24, s56
	s_addc_u32 s61, s55, s57
	s_add_u32 s70, s87, s60
	s_addc_u32 s71, s88, s61
	;; [unrolled: 2-line block ×4, first 2 shown]
	s_lshl_b64 s[60:61], s[62:63], 3
	s_mov_b32 s97, 1
	s_add_u32 s24, s24, s60
	s_addc_u32 s55, s55, s61
	s_add_u32 s56, s24, s56
	s_addc_u32 s57, s55, s57
	;; [unrolled: 2-line block ×6, first 2 shown]
	s_mul_i32 s24, s48, 24
	s_lshl_b64 s[56:57], s[56:57], 3
	s_mul_hi_i32 s55, s48, 24
	s_add_u32 s24, s24, s56
	s_addc_u32 s56, s55, s57
	s_ashr_i32 s55, s54, 31
	s_delay_alu instid0(SALU_CYCLE_1) | instskip(NEXT) | instid1(SALU_CYCLE_1)
	s_lshl_b64 s[54:55], s[54:55], 3
	s_sub_u32 s24, s24, s54
	s_subb_u32 s54, s56, s55
	s_add_u32 s98, s89, s24
	s_addc_u32 s99, s83, s54
	v_readlane_b32 s54, v44, 0
	s_add_u32 s24, s25, s60
	s_addc_u32 s25, s100, s61
	s_delay_alu instid0(VALU_DEP_1) | instskip(SKIP_2) | instid1(VALU_DEP_1)
	s_add_u32 s100, s54, s24
	v_readlane_b32 s24, v44, 1
	s_mov_b64 s[54:55], 0
	s_addc_u32 s101, s24, s25
	s_add_u32 s24, s8, s60
	s_addc_u32 s25, s9, s61
	s_add_u32 s102, s36, s24
	s_addc_u32 s103, s74, s25
	s_branch .LBB137_126
.LBB137_125:                            ;   in Loop: Header=BB137_126 Depth=2
	v_mul_f64 v[6:7], v[6:7], v[10:11]
	s_add_i32 s97, s97, 1
	s_add_u32 s54, s54, s58
	s_addc_u32 s55, s55, s59
	s_cmp_eq_u32 s26, s97
	s_delay_alu instid0(VALU_DEP_1)
	v_fma_f64 v[3:4], v[8:9], v[3:4], -v[6:7]
	s_cbranch_scc1 .LBB137_158
.LBB137_126:                            ;   Parent Loop BB137_11 Depth=1
                                        ; =>  This Inner Loop Header: Depth=2
	v_cmp_eq_f64_e32 vcc_lo, 0, v[1:2]
	v_mov_b32_e32 v8, 0
	v_mov_b32_e32 v9, 0
	s_cbranch_vccnz .LBB137_130
; %bb.127:                              ;   in Loop: Header=BB137_126 Depth=2
	s_delay_alu instid0(VALU_DEP_4)
	v_cmp_neq_f64_e32 vcc_lo, 0, v[3:4]
	s_cbranch_vccz .LBB137_131
; %bb.128:                              ;   in Loop: Header=BB137_126 Depth=2
	v_cmp_ngt_f64_e64 s24, |v[1:2]|, |v[3:4]|
	s_delay_alu instid0(VALU_DEP_1)
	s_and_b32 vcc_lo, exec_lo, s24
	s_cbranch_vccz .LBB137_132
; %bb.129:                              ;   in Loop: Header=BB137_126 Depth=2
	v_div_scale_f64 v[6:7], null, v[3:4], v[3:4], -v[1:2]
	v_div_scale_f64 v[27:28], vcc_lo, -v[1:2], v[3:4], -v[1:2]
	s_delay_alu instid0(VALU_DEP_2) | instskip(SKIP_2) | instid1(VALU_DEP_1)
	v_rcp_f64_e32 v[8:9], v[6:7]
	s_waitcnt_depctr 0xfff
	v_fma_f64 v[10:11], -v[6:7], v[8:9], 1.0
	v_fma_f64 v[8:9], v[8:9], v[10:11], v[8:9]
	s_delay_alu instid0(VALU_DEP_1) | instskip(NEXT) | instid1(VALU_DEP_1)
	v_fma_f64 v[10:11], -v[6:7], v[8:9], 1.0
	v_fma_f64 v[8:9], v[8:9], v[10:11], v[8:9]
	s_delay_alu instid0(VALU_DEP_1) | instskip(NEXT) | instid1(VALU_DEP_1)
	v_mul_f64 v[10:11], v[27:28], v[8:9]
	v_fma_f64 v[6:7], -v[6:7], v[10:11], v[27:28]
	s_delay_alu instid0(VALU_DEP_1) | instskip(NEXT) | instid1(VALU_DEP_1)
	v_div_fmas_f64 v[6:7], v[6:7], v[8:9], v[10:11]
	v_div_fixup_f64 v[8:9], v[6:7], v[3:4], -v[1:2]
	s_delay_alu instid0(VALU_DEP_1) | instskip(NEXT) | instid1(VALU_DEP_1)
	v_fma_f64 v[6:7], v[8:9], v[8:9], 1.0
	v_cmp_gt_f64_e32 vcc_lo, 0x10000000, v[6:7]
	v_cndmask_b32_e64 v10, 0, 1, vcc_lo
	s_and_b32 s24, vcc_lo, exec_lo
	s_cselect_b32 s24, 0xffffff80, 0
	s_delay_alu instid0(VALU_DEP_1) | instskip(NEXT) | instid1(VALU_DEP_1)
	v_lshlrev_b32_e32 v10, 8, v10
	v_ldexp_f64 v[6:7], v[6:7], v10
	s_delay_alu instid0(VALU_DEP_1) | instskip(SKIP_4) | instid1(VALU_DEP_1)
	v_rsq_f64_e32 v[10:11], v[6:7]
	v_cmp_class_f64_e64 vcc_lo, v[6:7], 0x260
	s_waitcnt_depctr 0xfff
	v_mul_f64 v[27:28], v[6:7], v[10:11]
	v_mul_f64 v[10:11], v[10:11], 0.5
	v_fma_f64 v[29:30], -v[10:11], v[27:28], 0.5
	s_delay_alu instid0(VALU_DEP_1) | instskip(SKIP_1) | instid1(VALU_DEP_2)
	v_fma_f64 v[27:28], v[27:28], v[29:30], v[27:28]
	v_fma_f64 v[10:11], v[10:11], v[29:30], v[10:11]
	v_fma_f64 v[29:30], -v[27:28], v[27:28], v[6:7]
	s_delay_alu instid0(VALU_DEP_1) | instskip(NEXT) | instid1(VALU_DEP_1)
	v_fma_f64 v[27:28], v[29:30], v[10:11], v[27:28]
	v_fma_f64 v[29:30], -v[27:28], v[27:28], v[6:7]
	s_delay_alu instid0(VALU_DEP_1) | instskip(NEXT) | instid1(VALU_DEP_1)
	v_fma_f64 v[10:11], v[29:30], v[10:11], v[27:28]
	v_ldexp_f64 v[10:11], v[10:11], s24
	s_delay_alu instid0(VALU_DEP_1) | instskip(NEXT) | instid1(VALU_DEP_1)
	v_dual_cndmask_b32 v7, v11, v7 :: v_dual_cndmask_b32 v6, v10, v6
	v_div_scale_f64 v[10:11], null, v[6:7], v[6:7], 1.0
	s_delay_alu instid0(VALU_DEP_1) | instskip(SKIP_2) | instid1(VALU_DEP_1)
	v_rcp_f64_e32 v[27:28], v[10:11]
	s_waitcnt_depctr 0xfff
	v_fma_f64 v[29:30], -v[10:11], v[27:28], 1.0
	v_fma_f64 v[27:28], v[27:28], v[29:30], v[27:28]
	s_delay_alu instid0(VALU_DEP_1) | instskip(NEXT) | instid1(VALU_DEP_1)
	v_fma_f64 v[29:30], -v[10:11], v[27:28], 1.0
	v_fma_f64 v[27:28], v[27:28], v[29:30], v[27:28]
	v_div_scale_f64 v[29:30], vcc_lo, 1.0, v[6:7], 1.0
	s_delay_alu instid0(VALU_DEP_1) | instskip(NEXT) | instid1(VALU_DEP_1)
	v_mul_f64 v[31:32], v[29:30], v[27:28]
	v_fma_f64 v[10:11], -v[10:11], v[31:32], v[29:30]
	s_delay_alu instid0(VALU_DEP_1) | instskip(NEXT) | instid1(VALU_DEP_1)
	v_div_fmas_f64 v[10:11], v[10:11], v[27:28], v[31:32]
	v_div_fixup_f64 v[6:7], v[10:11], v[6:7], 1.0
	s_delay_alu instid0(VALU_DEP_1)
	v_mul_f64 v[8:9], v[8:9], v[6:7]
	s_cbranch_execz .LBB137_133
	s_branch .LBB137_134
.LBB137_130:                            ;   in Loop: Header=BB137_126 Depth=2
	v_mov_b32_e32 v6, 0
	v_mov_b32_e32 v7, 0x3ff00000
	s_branch .LBB137_136
.LBB137_131:                            ;   in Loop: Header=BB137_126 Depth=2
                                        ; implicit-def: $vgpr3_vgpr4
                                        ; implicit-def: $vgpr6_vgpr7
                                        ; implicit-def: $vgpr8_vgpr9
	s_cbranch_execnz .LBB137_135
	s_branch .LBB137_136
.LBB137_132:                            ;   in Loop: Header=BB137_126 Depth=2
                                        ; implicit-def: $vgpr6_vgpr7
                                        ; implicit-def: $vgpr8_vgpr9
.LBB137_133:                            ;   in Loop: Header=BB137_126 Depth=2
	v_div_scale_f64 v[6:7], null, v[1:2], v[1:2], -v[3:4]
	v_div_scale_f64 v[27:28], vcc_lo, -v[3:4], v[1:2], -v[3:4]
	s_delay_alu instid0(VALU_DEP_2) | instskip(SKIP_2) | instid1(VALU_DEP_1)
	v_rcp_f64_e32 v[8:9], v[6:7]
	s_waitcnt_depctr 0xfff
	v_fma_f64 v[10:11], -v[6:7], v[8:9], 1.0
	v_fma_f64 v[8:9], v[8:9], v[10:11], v[8:9]
	s_delay_alu instid0(VALU_DEP_1) | instskip(NEXT) | instid1(VALU_DEP_1)
	v_fma_f64 v[10:11], -v[6:7], v[8:9], 1.0
	v_fma_f64 v[8:9], v[8:9], v[10:11], v[8:9]
	s_delay_alu instid0(VALU_DEP_1) | instskip(NEXT) | instid1(VALU_DEP_1)
	v_mul_f64 v[10:11], v[27:28], v[8:9]
	v_fma_f64 v[6:7], -v[6:7], v[10:11], v[27:28]
	s_delay_alu instid0(VALU_DEP_1) | instskip(NEXT) | instid1(VALU_DEP_1)
	v_div_fmas_f64 v[6:7], v[6:7], v[8:9], v[10:11]
	v_div_fixup_f64 v[6:7], v[6:7], v[1:2], -v[3:4]
	s_delay_alu instid0(VALU_DEP_1) | instskip(NEXT) | instid1(VALU_DEP_1)
	v_fma_f64 v[8:9], v[6:7], v[6:7], 1.0
	v_cmp_gt_f64_e32 vcc_lo, 0x10000000, v[8:9]
	v_cndmask_b32_e64 v10, 0, 1, vcc_lo
	s_and_b32 s24, vcc_lo, exec_lo
	s_cselect_b32 s24, 0xffffff80, 0
	s_delay_alu instid0(VALU_DEP_1) | instskip(NEXT) | instid1(VALU_DEP_1)
	v_lshlrev_b32_e32 v10, 8, v10
	v_ldexp_f64 v[8:9], v[8:9], v10
	s_delay_alu instid0(VALU_DEP_1) | instskip(SKIP_4) | instid1(VALU_DEP_1)
	v_rsq_f64_e32 v[10:11], v[8:9]
	v_cmp_class_f64_e64 vcc_lo, v[8:9], 0x260
	s_waitcnt_depctr 0xfff
	v_mul_f64 v[27:28], v[8:9], v[10:11]
	v_mul_f64 v[10:11], v[10:11], 0.5
	v_fma_f64 v[29:30], -v[10:11], v[27:28], 0.5
	s_delay_alu instid0(VALU_DEP_1) | instskip(SKIP_1) | instid1(VALU_DEP_2)
	v_fma_f64 v[27:28], v[27:28], v[29:30], v[27:28]
	v_fma_f64 v[10:11], v[10:11], v[29:30], v[10:11]
	v_fma_f64 v[29:30], -v[27:28], v[27:28], v[8:9]
	s_delay_alu instid0(VALU_DEP_1) | instskip(NEXT) | instid1(VALU_DEP_1)
	v_fma_f64 v[27:28], v[29:30], v[10:11], v[27:28]
	v_fma_f64 v[29:30], -v[27:28], v[27:28], v[8:9]
	s_delay_alu instid0(VALU_DEP_1) | instskip(NEXT) | instid1(VALU_DEP_1)
	v_fma_f64 v[10:11], v[29:30], v[10:11], v[27:28]
	v_ldexp_f64 v[10:11], v[10:11], s24
	s_delay_alu instid0(VALU_DEP_1) | instskip(NEXT) | instid1(VALU_DEP_1)
	v_dual_cndmask_b32 v9, v11, v9 :: v_dual_cndmask_b32 v8, v10, v8
	v_div_scale_f64 v[10:11], null, v[8:9], v[8:9], 1.0
	s_delay_alu instid0(VALU_DEP_1) | instskip(SKIP_2) | instid1(VALU_DEP_1)
	v_rcp_f64_e32 v[27:28], v[10:11]
	s_waitcnt_depctr 0xfff
	v_fma_f64 v[29:30], -v[10:11], v[27:28], 1.0
	v_fma_f64 v[27:28], v[27:28], v[29:30], v[27:28]
	s_delay_alu instid0(VALU_DEP_1) | instskip(NEXT) | instid1(VALU_DEP_1)
	v_fma_f64 v[29:30], -v[10:11], v[27:28], 1.0
	v_fma_f64 v[27:28], v[27:28], v[29:30], v[27:28]
	v_div_scale_f64 v[29:30], vcc_lo, 1.0, v[8:9], 1.0
	s_delay_alu instid0(VALU_DEP_1) | instskip(NEXT) | instid1(VALU_DEP_1)
	v_mul_f64 v[31:32], v[29:30], v[27:28]
	v_fma_f64 v[10:11], -v[10:11], v[31:32], v[29:30]
	s_delay_alu instid0(VALU_DEP_1) | instskip(NEXT) | instid1(VALU_DEP_1)
	v_div_fmas_f64 v[10:11], v[10:11], v[27:28], v[31:32]
	v_div_fixup_f64 v[8:9], v[10:11], v[8:9], 1.0
	s_delay_alu instid0(VALU_DEP_1)
	v_mul_f64 v[6:7], v[6:7], v[8:9]
.LBB137_134:                            ;   in Loop: Header=BB137_126 Depth=2
	s_delay_alu instid0(VALU_DEP_1) | instskip(NEXT) | instid1(VALU_DEP_1)
	v_mul_f64 v[10:11], v[1:2], v[8:9]
	v_fma_f64 v[3:4], v[3:4], v[6:7], -v[10:11]
	s_branch .LBB137_136
.LBB137_135:                            ;   in Loop: Header=BB137_126 Depth=2
	v_xor_b32_e32 v2, 0x80000000, v2
	v_mov_b32_e32 v6, 0
	v_dual_mov_b32 v7, 0 :: v_dual_mov_b32 v8, 0
	s_delay_alu instid0(VALU_DEP_3)
	v_dual_mov_b32 v9, 0x3ff00000 :: v_dual_mov_b32 v4, v2
	v_mov_b32_e32 v3, v1
.LBB137_136:                            ;   in Loop: Header=BB137_126 Depth=2
	s_add_u32 s62, s102, s54
	s_addc_u32 s63, s103, s55
	s_add_u32 s56, s67, s54
	s_addc_u32 s57, s72, s55
	;; [unrolled: 2-line block ×3, first 2 shown]
	global_store_b64 v5, v[3:4], s[62:63]
	s_clause 0x1
	global_load_b64 v[10:11], v5, s[60:61]
	global_load_b64 v[3:4], v5, s[56:57]
	s_add_u32 s62, s49, s54
	s_addc_u32 s63, s66, s55
	v_cmp_ne_u32_e32 vcc_lo, 1, v14
	s_and_b32 vcc_lo, exec_lo, vcc_lo
	s_waitcnt vmcnt(1)
	v_mul_f64 v[1:2], v[6:7], v[10:11]
	s_waitcnt vmcnt(0)
	s_delay_alu instid0(VALU_DEP_1)
	v_fma_f64 v[1:2], v[8:9], v[3:4], v[1:2]
	global_store_b64 v5, v[1:2], s[60:61]
	global_load_b64 v[1:2], v5, s[62:63]
	s_waitcnt vmcnt(0)
	v_mul_f64 v[27:28], v[6:7], v[1:2]
	global_store_b64 v5, v[27:28], s[62:63]
	s_cbranch_vccnz .LBB137_138
; %bb.137:                              ;   in Loop: Header=BB137_126 Depth=2
	s_add_u32 vcc_lo, s95, s54
	s_addc_u32 vcc_hi, s96, s55
	s_add_u32 s24, s68, s54
	s_addc_u32 s25, s69, s55
	s_clause 0x1
	global_store_b64 v5, v[6:7], vcc
	global_store_b64 v5, v[8:9], s[24:25]
.LBB137_138:                            ;   in Loop: Header=BB137_126 Depth=2
	s_and_not1_b32 vcc_lo, exec_lo, s64
	s_cbranch_vccnz .LBB137_140
; %bb.139:                              ;   in Loop: Header=BB137_126 Depth=2
	s_add_u32 s24, s73, s54
	s_addc_u32 s25, s94, s55
	s_add_u32 vcc_lo, s70, s54
	s_addc_u32 vcc_hi, s71, s55
	s_clause 0x1
	global_store_b64 v5, v[6:7], s[24:25]
	global_store_b64 v5, v[8:9], vcc
.LBB137_140:                            ;   in Loop: Header=BB137_126 Depth=2
	v_mul_f64 v[1:2], v[1:2], -v[8:9]
	v_mul_f64 v[8:9], v[8:9], v[10:11]
	s_delay_alu instid0(VALU_DEP_2) | instskip(NEXT) | instid1(VALU_DEP_2)
	v_cmp_eq_f64_e32 vcc_lo, 0, v[1:2]
	v_fma_f64 v[3:4], v[6:7], v[3:4], -v[8:9]
	v_mov_b32_e32 v6, 0
	v_mov_b32_e32 v7, 0
	s_cbranch_vccnz .LBB137_144
; %bb.141:                              ;   in Loop: Header=BB137_126 Depth=2
	s_delay_alu instid0(VALU_DEP_3)
	v_cmp_neq_f64_e32 vcc_lo, 0, v[3:4]
	s_cbranch_vccz .LBB137_145
; %bb.142:                              ;   in Loop: Header=BB137_126 Depth=2
	v_cmp_ngt_f64_e64 s24, |v[1:2]|, |v[3:4]|
	s_delay_alu instid0(VALU_DEP_1)
	s_and_b32 vcc_lo, exec_lo, s24
	s_cbranch_vccz .LBB137_146
; %bb.143:                              ;   in Loop: Header=BB137_126 Depth=2
	v_div_scale_f64 v[6:7], null, v[3:4], v[3:4], -v[1:2]
	v_div_scale_f64 v[27:28], vcc_lo, -v[1:2], v[3:4], -v[1:2]
	s_delay_alu instid0(VALU_DEP_2) | instskip(SKIP_2) | instid1(VALU_DEP_1)
	v_rcp_f64_e32 v[8:9], v[6:7]
	s_waitcnt_depctr 0xfff
	v_fma_f64 v[10:11], -v[6:7], v[8:9], 1.0
	v_fma_f64 v[8:9], v[8:9], v[10:11], v[8:9]
	s_delay_alu instid0(VALU_DEP_1) | instskip(NEXT) | instid1(VALU_DEP_1)
	v_fma_f64 v[10:11], -v[6:7], v[8:9], 1.0
	v_fma_f64 v[8:9], v[8:9], v[10:11], v[8:9]
	s_delay_alu instid0(VALU_DEP_1) | instskip(NEXT) | instid1(VALU_DEP_1)
	v_mul_f64 v[10:11], v[27:28], v[8:9]
	v_fma_f64 v[6:7], -v[6:7], v[10:11], v[27:28]
	s_delay_alu instid0(VALU_DEP_1) | instskip(NEXT) | instid1(VALU_DEP_1)
	v_div_fmas_f64 v[6:7], v[6:7], v[8:9], v[10:11]
	v_div_fixup_f64 v[6:7], v[6:7], v[3:4], -v[1:2]
	s_delay_alu instid0(VALU_DEP_1) | instskip(NEXT) | instid1(VALU_DEP_1)
	v_fma_f64 v[8:9], v[6:7], v[6:7], 1.0
	v_cmp_gt_f64_e32 vcc_lo, 0x10000000, v[8:9]
	v_cndmask_b32_e64 v10, 0, 1, vcc_lo
	s_and_b32 s24, vcc_lo, exec_lo
	s_cselect_b32 s24, 0xffffff80, 0
	s_delay_alu instid0(VALU_DEP_1) | instskip(NEXT) | instid1(VALU_DEP_1)
	v_lshlrev_b32_e32 v10, 8, v10
	v_ldexp_f64 v[8:9], v[8:9], v10
	s_delay_alu instid0(VALU_DEP_1) | instskip(SKIP_4) | instid1(VALU_DEP_1)
	v_rsq_f64_e32 v[10:11], v[8:9]
	v_cmp_class_f64_e64 vcc_lo, v[8:9], 0x260
	s_waitcnt_depctr 0xfff
	v_mul_f64 v[27:28], v[8:9], v[10:11]
	v_mul_f64 v[10:11], v[10:11], 0.5
	v_fma_f64 v[29:30], -v[10:11], v[27:28], 0.5
	s_delay_alu instid0(VALU_DEP_1) | instskip(SKIP_1) | instid1(VALU_DEP_2)
	v_fma_f64 v[27:28], v[27:28], v[29:30], v[27:28]
	v_fma_f64 v[10:11], v[10:11], v[29:30], v[10:11]
	v_fma_f64 v[29:30], -v[27:28], v[27:28], v[8:9]
	s_delay_alu instid0(VALU_DEP_1) | instskip(NEXT) | instid1(VALU_DEP_1)
	v_fma_f64 v[27:28], v[29:30], v[10:11], v[27:28]
	v_fma_f64 v[29:30], -v[27:28], v[27:28], v[8:9]
	s_delay_alu instid0(VALU_DEP_1) | instskip(NEXT) | instid1(VALU_DEP_1)
	v_fma_f64 v[10:11], v[29:30], v[10:11], v[27:28]
	v_ldexp_f64 v[10:11], v[10:11], s24
	s_delay_alu instid0(VALU_DEP_1) | instskip(NEXT) | instid1(VALU_DEP_1)
	v_dual_cndmask_b32 v9, v11, v9 :: v_dual_cndmask_b32 v8, v10, v8
	v_div_scale_f64 v[10:11], null, v[8:9], v[8:9], 1.0
	s_delay_alu instid0(VALU_DEP_1) | instskip(SKIP_2) | instid1(VALU_DEP_1)
	v_rcp_f64_e32 v[27:28], v[10:11]
	s_waitcnt_depctr 0xfff
	v_fma_f64 v[29:30], -v[10:11], v[27:28], 1.0
	v_fma_f64 v[27:28], v[27:28], v[29:30], v[27:28]
	s_delay_alu instid0(VALU_DEP_1) | instskip(NEXT) | instid1(VALU_DEP_1)
	v_fma_f64 v[29:30], -v[10:11], v[27:28], 1.0
	v_fma_f64 v[27:28], v[27:28], v[29:30], v[27:28]
	v_div_scale_f64 v[29:30], vcc_lo, 1.0, v[8:9], 1.0
	s_delay_alu instid0(VALU_DEP_1) | instskip(NEXT) | instid1(VALU_DEP_1)
	v_mul_f64 v[31:32], v[29:30], v[27:28]
	v_fma_f64 v[10:11], -v[10:11], v[31:32], v[29:30]
	s_delay_alu instid0(VALU_DEP_1) | instskip(NEXT) | instid1(VALU_DEP_1)
	v_div_fmas_f64 v[10:11], v[10:11], v[27:28], v[31:32]
	v_div_fixup_f64 v[8:9], v[10:11], v[8:9], 1.0
	s_delay_alu instid0(VALU_DEP_1)
	v_mul_f64 v[6:7], v[6:7], v[8:9]
	s_cbranch_execz .LBB137_147
	s_branch .LBB137_148
.LBB137_144:                            ;   in Loop: Header=BB137_126 Depth=2
	v_mov_b32_e32 v8, 0
	v_mov_b32_e32 v9, 0x3ff00000
	s_branch .LBB137_150
.LBB137_145:                            ;   in Loop: Header=BB137_126 Depth=2
                                        ; implicit-def: $vgpr3_vgpr4
                                        ; implicit-def: $vgpr8_vgpr9
                                        ; implicit-def: $vgpr6_vgpr7
	s_cbranch_execnz .LBB137_149
	s_branch .LBB137_150
.LBB137_146:                            ;   in Loop: Header=BB137_126 Depth=2
                                        ; implicit-def: $vgpr8_vgpr9
                                        ; implicit-def: $vgpr6_vgpr7
.LBB137_147:                            ;   in Loop: Header=BB137_126 Depth=2
	v_div_scale_f64 v[6:7], null, v[1:2], v[1:2], -v[3:4]
	v_div_scale_f64 v[27:28], vcc_lo, -v[3:4], v[1:2], -v[3:4]
	s_delay_alu instid0(VALU_DEP_2) | instskip(SKIP_2) | instid1(VALU_DEP_1)
	v_rcp_f64_e32 v[8:9], v[6:7]
	s_waitcnt_depctr 0xfff
	v_fma_f64 v[10:11], -v[6:7], v[8:9], 1.0
	v_fma_f64 v[8:9], v[8:9], v[10:11], v[8:9]
	s_delay_alu instid0(VALU_DEP_1) | instskip(NEXT) | instid1(VALU_DEP_1)
	v_fma_f64 v[10:11], -v[6:7], v[8:9], 1.0
	v_fma_f64 v[8:9], v[8:9], v[10:11], v[8:9]
	s_delay_alu instid0(VALU_DEP_1) | instskip(NEXT) | instid1(VALU_DEP_1)
	v_mul_f64 v[10:11], v[27:28], v[8:9]
	v_fma_f64 v[6:7], -v[6:7], v[10:11], v[27:28]
	s_delay_alu instid0(VALU_DEP_1) | instskip(NEXT) | instid1(VALU_DEP_1)
	v_div_fmas_f64 v[6:7], v[6:7], v[8:9], v[10:11]
	v_div_fixup_f64 v[8:9], v[6:7], v[1:2], -v[3:4]
	s_delay_alu instid0(VALU_DEP_1) | instskip(NEXT) | instid1(VALU_DEP_1)
	v_fma_f64 v[6:7], v[8:9], v[8:9], 1.0
	v_cmp_gt_f64_e32 vcc_lo, 0x10000000, v[6:7]
	v_cndmask_b32_e64 v10, 0, 1, vcc_lo
	s_and_b32 s24, vcc_lo, exec_lo
	s_cselect_b32 s24, 0xffffff80, 0
	s_delay_alu instid0(VALU_DEP_1) | instskip(NEXT) | instid1(VALU_DEP_1)
	v_lshlrev_b32_e32 v10, 8, v10
	v_ldexp_f64 v[6:7], v[6:7], v10
	s_delay_alu instid0(VALU_DEP_1) | instskip(SKIP_4) | instid1(VALU_DEP_1)
	v_rsq_f64_e32 v[10:11], v[6:7]
	v_cmp_class_f64_e64 vcc_lo, v[6:7], 0x260
	s_waitcnt_depctr 0xfff
	v_mul_f64 v[27:28], v[6:7], v[10:11]
	v_mul_f64 v[10:11], v[10:11], 0.5
	v_fma_f64 v[29:30], -v[10:11], v[27:28], 0.5
	s_delay_alu instid0(VALU_DEP_1) | instskip(SKIP_1) | instid1(VALU_DEP_2)
	v_fma_f64 v[27:28], v[27:28], v[29:30], v[27:28]
	v_fma_f64 v[10:11], v[10:11], v[29:30], v[10:11]
	v_fma_f64 v[29:30], -v[27:28], v[27:28], v[6:7]
	s_delay_alu instid0(VALU_DEP_1) | instskip(NEXT) | instid1(VALU_DEP_1)
	v_fma_f64 v[27:28], v[29:30], v[10:11], v[27:28]
	v_fma_f64 v[29:30], -v[27:28], v[27:28], v[6:7]
	s_delay_alu instid0(VALU_DEP_1) | instskip(NEXT) | instid1(VALU_DEP_1)
	v_fma_f64 v[10:11], v[29:30], v[10:11], v[27:28]
	v_ldexp_f64 v[10:11], v[10:11], s24
	s_delay_alu instid0(VALU_DEP_1) | instskip(NEXT) | instid1(VALU_DEP_1)
	v_dual_cndmask_b32 v7, v11, v7 :: v_dual_cndmask_b32 v6, v10, v6
	v_div_scale_f64 v[10:11], null, v[6:7], v[6:7], 1.0
	s_delay_alu instid0(VALU_DEP_1) | instskip(SKIP_2) | instid1(VALU_DEP_1)
	v_rcp_f64_e32 v[27:28], v[10:11]
	s_waitcnt_depctr 0xfff
	v_fma_f64 v[29:30], -v[10:11], v[27:28], 1.0
	v_fma_f64 v[27:28], v[27:28], v[29:30], v[27:28]
	s_delay_alu instid0(VALU_DEP_1) | instskip(NEXT) | instid1(VALU_DEP_1)
	v_fma_f64 v[29:30], -v[10:11], v[27:28], 1.0
	v_fma_f64 v[27:28], v[27:28], v[29:30], v[27:28]
	v_div_scale_f64 v[29:30], vcc_lo, 1.0, v[6:7], 1.0
	s_delay_alu instid0(VALU_DEP_1) | instskip(NEXT) | instid1(VALU_DEP_1)
	v_mul_f64 v[31:32], v[29:30], v[27:28]
	v_fma_f64 v[10:11], -v[10:11], v[31:32], v[29:30]
	s_delay_alu instid0(VALU_DEP_1) | instskip(NEXT) | instid1(VALU_DEP_1)
	v_div_fmas_f64 v[10:11], v[10:11], v[27:28], v[31:32]
	v_div_fixup_f64 v[6:7], v[10:11], v[6:7], 1.0
	s_delay_alu instid0(VALU_DEP_1)
	v_mul_f64 v[8:9], v[8:9], v[6:7]
.LBB137_148:                            ;   in Loop: Header=BB137_126 Depth=2
	s_delay_alu instid0(VALU_DEP_1) | instskip(NEXT) | instid1(VALU_DEP_1)
	v_mul_f64 v[10:11], v[1:2], v[6:7]
	v_fma_f64 v[3:4], v[3:4], v[8:9], -v[10:11]
	s_branch .LBB137_150
.LBB137_149:                            ;   in Loop: Header=BB137_126 Depth=2
	v_mov_b32_e32 v8, 0
	v_dual_mov_b32 v9, 0 :: v_dual_mov_b32 v6, 0
	v_xor_b32_e32 v4, 0x80000000, v2
	v_mov_b32_e32 v7, 0x3ff00000
	v_mov_b32_e32 v3, v1
.LBB137_150:                            ;   in Loop: Header=BB137_126 Depth=2
	global_store_b64 v5, v[3:4], s[56:57]
	s_clause 0x1
	global_load_b64 v[10:11], v5, s[62:63]
	global_load_b64 v[3:4], v5, s[60:61]
	s_cmp_ge_i32 s97, s53
	s_waitcnt vmcnt(1)
	v_mul_f64 v[27:28], v[8:9], v[10:11]
	s_waitcnt vmcnt(0)
	s_delay_alu instid0(VALU_DEP_1)
	v_fma_f64 v[27:28], v[6:7], v[3:4], v[27:28]
	global_store_b64 v5, v[27:28], s[62:63]
	s_cbranch_scc0 .LBB137_153
; %bb.151:                              ;   in Loop: Header=BB137_126 Depth=2
	v_cmp_ne_u32_e32 vcc_lo, 1, v12
	s_cbranch_vccz .LBB137_154
.LBB137_152:                            ;   in Loop: Header=BB137_126 Depth=2
	s_and_not1_b32 vcc_lo, exec_lo, s65
	s_cbranch_vccnz .LBB137_125
	s_branch .LBB137_155
.LBB137_153:                            ;   in Loop: Header=BB137_126 Depth=2
	s_add_u32 s24, s98, s54
	s_addc_u32 s25, s99, s55
	global_load_b64 v[1:2], v5, s[24:25]
	s_waitcnt vmcnt(0)
	v_mul_f64 v[27:28], v[8:9], v[1:2]
	v_mul_f64 v[1:2], v[1:2], -v[6:7]
	global_store_b64 v5, v[27:28], s[24:25]
	v_cmp_ne_u32_e32 vcc_lo, 1, v12
	s_cbranch_vccnz .LBB137_152
.LBB137_154:                            ;   in Loop: Header=BB137_126 Depth=2
	s_add_u32 s24, s95, s54
	s_addc_u32 s25, s96, s55
	s_add_u32 s56, s68, s54
	s_addc_u32 s57, s69, s55
	s_clause 0x1
	global_store_b64 v5, v[8:9], s[24:25]
	global_store_b64 v5, v[6:7], s[56:57]
	s_and_not1_b32 vcc_lo, exec_lo, s65
	s_cbranch_vccnz .LBB137_125
.LBB137_155:                            ;   in Loop: Header=BB137_126 Depth=2
	s_add_u32 s24, s73, s54
	s_addc_u32 s25, s94, s55
	s_add_u32 s56, s70, s54
	s_addc_u32 s57, s71, s55
	s_clause 0x1
	global_store_b64 v5, v[8:9], s[24:25]
	global_store_b64 v5, v[6:7], s[56:57]
	s_branch .LBB137_125
.LBB137_156:                            ;   in Loop: Header=BB137_11 Depth=1
	s_ashr_i32 s53, s52, 31
	s_delay_alu instid0(SALU_CYCLE_1) | instskip(NEXT) | instid1(SALU_CYCLE_1)
	s_lshl_b64 s[60:61], s[52:53], 3
	s_add_u32 s60, s66, s60
	s_addc_u32 s61, s67, s61
	global_load_b64 v[1:2], v5, s[60:61] offset:-8
	s_waitcnt vmcnt(0)
	v_mul_f64 v[12:13], v[8:9], v[1:2]
	v_mul_f64 v[1:2], v[1:2], -v[6:7]
	global_store_b64 v5, v[12:13], s[60:61] offset:-8
	s_and_b32 s24, s75, s95
	s_delay_alu instid0(SALU_CYCLE_1)
	v_cndmask_b32_e64 v12, 0, 1, s24
	s_and_not1_b32 vcc_lo, exec_lo, s24
	s_cbranch_vccnz .LBB137_121
.LBB137_157:                            ;   in Loop: Header=BB137_11 Depth=1
	s_add_u32 s60, s55, s64
	s_addc_u32 s61, s59, s65
	s_ashr_i32 s57, s56, 31
	s_delay_alu instid0(SALU_CYCLE_1) | instskip(NEXT) | instid1(SALU_CYCLE_1)
	s_lshl_b64 s[64:65], s[56:57], 3
	s_add_u32 s64, s60, s64
	s_addc_u32 s65, s61, s65
	s_clause 0x1
	global_store_b64 v5, v[8:9], s[60:61] offset:-8
	global_store_b64 v5, v[6:7], s[64:65] offset:-8
	s_xor_b32 s24, s45, -1
	s_delay_alu instid0(SALU_CYCLE_1) | instskip(NEXT) | instid1(SALU_CYCLE_1)
	s_or_b32 s60, s79, s24
	s_and_b32 vcc_lo, exec_lo, s60
	s_cbranch_vccz .LBB137_122
	s_branch .LBB137_123
.LBB137_158:                            ;   in Loop: Header=BB137_11 Depth=1
	s_mov_b32 s102, s84
	s_mov_b32 s103, s92
.LBB137_159:                            ;   in Loop: Header=BB137_11 Depth=1
	s_and_b32 s24, s45, exec_lo
	s_cselect_b32 s54, s53, 0
	s_delay_alu instid0(SALU_CYCLE_1) | instskip(NEXT) | instid1(SALU_CYCLE_1)
	s_ashr_i32 s55, s54, 31
	s_lshl_b64 s[54:55], s[54:55], 3
	s_delay_alu instid0(SALU_CYCLE_1)
	s_add_u32 s54, s16, s54
	s_addc_u32 s55, s93, s55
	global_store_b64 v5, v[3:4], s[54:55]
.LBB137_160:                            ;   in Loop: Header=BB137_11 Depth=1
	s_or_b32 exec_lo, exec_lo, s7
	s_delay_alu instid0(SALU_CYCLE_1)
	s_and_not1_b32 vcc_lo, exec_lo, s80
	s_waitcnt_vscnt null, 0x0
	s_barrier
	buffer_gl0_inv
	s_cbranch_vccz .LBB137_163
; %bb.161:                              ;   in Loop: Header=BB137_11 Depth=1
	s_and_not1_b32 vcc_lo, exec_lo, s81
	s_cbranch_vccz .LBB137_170
.LBB137_162:                            ;   in Loop: Header=BB137_11 Depth=1
	s_and_not1_b32 vcc_lo, exec_lo, s82
	s_cbranch_vccnz .LBB137_10
	s_branch .LBB137_177
.LBB137_163:                            ;   in Loop: Header=BB137_11 Depth=1
	s_and_saveexec_b32 s49, s0
	s_cbranch_execz .LBB137_169
; %bb.164:                              ;   in Loop: Header=BB137_11 Depth=1
	s_load_b32 s7, s[42:43], 0xc
	s_lshl_b64 s[24:25], s[46:47], 4
	s_mov_b32 s53, 0
	s_add_u32 s54, s34, s24
	s_addc_u32 s55, s35, s25
	s_add_i32 s24, s26, -1
	s_cmp_eq_u32 s48, 0
	v_mov_b32_e32 v27, v0
	s_cselect_b32 s16, s26, 0
	s_cselect_b32 s24, s24, 0
	s_cmp_gt_i32 s26, 0
	v_add_nc_u32_e32 v6, s16, v18
	s_cselect_b32 s68, -1, 0
	s_lshl_b32 s62, s48, 1
	s_ashr_i32 s45, s44, 31
	s_add_i32 s64, s62, -2
	s_lshl_b64 s[60:61], s[44:45], 3
	s_ashr_i32 s65, s64, 31
	s_or_b32 s69, s64, 1
	s_lshl_b64 s[56:57], s[64:65], 4
	s_not_b64 s[58:59], s[64:65]
	s_or_b32 s56, s56, 16
	s_waitcnt lgkmcnt(0)
	s_and_b32 s45, s7, 0xffff
	s_sub_u32 s7, s60, s8
	s_subb_u32 s25, s61, s9
	s_add_u32 s70, s7, 40
	s_addc_u32 s71, s25, 0
	s_ashr_i32 s25, s24, 31
	s_lshl_b64 s[60:61], s[50:51], 3
	s_lshl_b64 s[24:25], s[24:25], 3
	v_add3_u32 v8, s62, s16, v20
	s_add_u32 s7, s24, s60
	s_addc_u32 s24, s25, s61
	s_add_u32 s60, s85, s7
	s_addc_u32 s61, s86, s24
	s_lshl_b64 s[62:63], s[64:65], 3
	s_mul_i32 s72, s19, s45
	s_mov_b32 s73, s65
	s_or_b32 s62, s62, 8
	s_branch .LBB137_166
.LBB137_165:                            ;   in Loop: Header=BB137_166 Depth=2
	s_set_inst_prefetch_distance 0x2
	v_lshlrev_b64 v[9:10], 4, v[10:11]
	v_add_nc_u32_e32 v27, s45, v27
	v_add_nc_u32_e32 v6, s72, v6
	;; [unrolled: 1-line block ×3, first 2 shown]
	s_delay_alu instid0(VALU_DEP_3) | instskip(SKIP_1) | instid1(VALU_DEP_1)
	v_cmp_le_i32_e32 vcc_lo, s29, v27
	v_add_co_u32 v9, s7, s54, v9
	v_add_co_ci_u32_e64 v10, s7, s55, v10, s7
	s_or_b32 s53, vcc_lo, s53
	s_waitcnt vmcnt(0) lgkmcnt(0)
	flat_store_b128 v[9:10], v[1:4]
	s_and_not1_b32 exec_lo, exec_lo, s53
	s_cbranch_execz .LBB137_169
.LBB137_166:                            ;   Parent Loop BB137_11 Depth=1
                                        ; =>  This Loop Header: Depth=2
                                        ;       Child Loop BB137_168 Depth 3
	v_mad_u64_u32 v[10:11], null, v27, s19, s[16:17]
	s_delay_alu instid0(VALU_DEP_1) | instskip(NEXT) | instid1(VALU_DEP_1)
	v_ashrrev_i32_e32 v11, 31, v10
	v_lshlrev_b64 v[1:2], 4, v[10:11]
	s_delay_alu instid0(VALU_DEP_1) | instskip(NEXT) | instid1(VALU_DEP_2)
	v_add_co_u32 v1, vcc_lo, s54, v1
	v_add_co_ci_u32_e32 v2, vcc_lo, s55, v2, vcc_lo
	s_and_not1_b32 vcc_lo, exec_lo, s68
	flat_load_b128 v[1:4], v[1:2]
	s_cbranch_vccnz .LBB137_165
; %bb.167:                              ;   in Loop: Header=BB137_166 Depth=2
	v_ashrrev_i32_e32 v7, 31, v6
	v_ashrrev_i32_e32 v9, 31, v8
	v_add_co_u32 v10, vcc_lo, s58, v8
	s_mov_b64 s[64:65], s[60:61]
	s_delay_alu instid0(VALU_DEP_3) | instskip(NEXT) | instid1(VALU_DEP_3)
	v_lshlrev_b64 v[12:13], 4, v[6:7]
	v_lshlrev_b64 v[14:15], 4, v[8:9]
	v_add_co_ci_u32_e32 v11, vcc_lo, s59, v9, vcc_lo
	s_mov_b64 s[66:67], s[54:55]
	s_mov_b32 s7, s26
	s_set_inst_prefetch_distance 0x1
	.p2align	6
.LBB137_168:                            ;   Parent Loop BB137_11 Depth=1
                                        ;     Parent Loop BB137_166 Depth=2
                                        ; =>    This Inner Loop Header: Depth=3
	s_delay_alu instid0(VALU_DEP_2)
	v_add_co_u32 v28, vcc_lo, s66, v14
	v_add_co_ci_u32_e32 v29, vcc_lo, s67, v15, vcc_lo
	s_add_u32 s24, s64, s70
	s_addc_u32 s25, s65, s71
	s_clause 0x1
	global_load_b64 v[36:37], v5, s[64:65] offset:32
	global_load_b64 v[32:33], v5, s[24:25]
	flat_load_b128 v[28:31], v[28:29]
	s_add_i32 s7, s7, -1
	s_waitcnt vmcnt(1) lgkmcnt(1)
	v_mul_f64 v[38:39], v[1:2], v[32:33]
	s_waitcnt vmcnt(0) lgkmcnt(0)
	v_mul_f64 v[34:35], v[28:29], v[32:33]
	v_mul_f64 v[40:41], v[30:31], v[32:33]
	;; [unrolled: 1-line block ×3, first 2 shown]
	s_delay_alu instid0(VALU_DEP_3) | instskip(NEXT) | instid1(VALU_DEP_3)
	v_fma_f64 v[32:33], v[1:2], v[36:37], -v[34:35]
	v_fma_f64 v[34:35], v[3:4], v[36:37], -v[40:41]
	v_fma_f64 v[1:2], v[28:29], v[36:37], v[38:39]
	s_delay_alu instid0(VALU_DEP_4)
	v_fma_f64 v[3:4], v[30:31], v[36:37], v[42:43]
	v_add_co_u32 v28, vcc_lo, s66, v12
	v_add_co_ci_u32_e32 v29, vcc_lo, s67, v13, vcc_lo
	v_add_co_u32 v10, vcc_lo, v10, s69
	s_add_u32 s66, s66, s56
	v_add_co_ci_u32_e32 v11, vcc_lo, s73, v11, vcc_lo
	s_addc_u32 s67, s67, s57
	s_add_u32 s64, s64, s62
	s_addc_u32 s65, s65, s63
	s_cmp_eq_u32 s7, 0
	flat_store_b128 v[28:29], v[32:35]
	s_cbranch_scc0 .LBB137_168
	s_branch .LBB137_165
.LBB137_169:                            ;   in Loop: Header=BB137_11 Depth=1
	s_or_b32 exec_lo, exec_lo, s49
	s_delay_alu instid0(SALU_CYCLE_1)
	s_and_not1_b32 vcc_lo, exec_lo, s81
	s_cbranch_vccnz .LBB137_162
.LBB137_170:                            ;   in Loop: Header=BB137_11 Depth=1
	s_and_saveexec_b32 s16, s1
	s_cbranch_execz .LBB137_176
; %bb.171:                              ;   in Loop: Header=BB137_11 Depth=1
	s_load_b32 s7, s[42:43], 0xc
	s_mul_i32 s24, s46, s17
	s_mov_b32 s63, 0
	s_ashr_i32 s25, s24, 31
	s_mul_i32 s64, s17, s52
	s_lshl_b64 s[24:25], s[24:25], 4
	v_mov_b32_e32 v10, v0
	s_add_u32 s49, s12, s24
	s_addc_u32 s58, s13, s25
	s_add_i32 s24, s26, -1
	s_cmp_eq_u32 s48, 0
	s_cselect_b32 s24, s24, 0
	s_cselect_b32 s53, s26, 0
	s_add_i32 s24, s24, s27
	s_cmp_gt_i32 s26, 0
	s_mul_i32 s62, s53, s17
	s_cselect_b32 s59, -1, 0
	s_ashr_i32 s25, s24, 31
	s_lshl_b64 s[54:55], s[50:51], 3
	s_lshl_b64 s[24:25], s[24:25], 3
	s_waitcnt lgkmcnt(0)
	s_and_b32 s60, s7, 0xffff
	s_add_u32 s7, s54, s24
	s_addc_u32 s24, s55, s25
	s_add_u32 s54, s85, s7
	s_addc_u32 s55, s86, s24
	s_lshl_b32 s7, s48, 1
	s_ashr_i32 s45, s44, 31
	s_add_i32 s24, s7, -2
	v_add_nc_u32_e32 v9, s62, v0
	s_ashr_i32 s25, s24, 31
	s_delay_alu instid0(SALU_CYCLE_1)
	s_lshl_b64 s[56:57], s[24:25], 3
	s_lshl_b64 s[24:25], s[44:45], 3
	s_or_b32 s56, s56, 8
	s_sub_u32 s24, s24, s8
	s_subb_u32 s25, s25, s9
	s_add_u32 s45, s24, 40
	s_addc_u32 s61, s25, 0
	s_add_i32 s7, s53, s7
	s_delay_alu instid0(SALU_CYCLE_1) | instskip(NEXT) | instid1(SALU_CYCLE_1)
	s_add_i32 s7, s7, -1
	v_mad_u64_u32 v[6:7], null, s17, s7, v[0:1]
	s_branch .LBB137_173
.LBB137_172:                            ;   in Loop: Header=BB137_173 Depth=2
	s_set_inst_prefetch_distance 0x2
	v_lshlrev_b64 v[7:8], 4, v[7:8]
	v_add_nc_u32_e32 v10, s60, v10
	v_add_nc_u32_e32 v9, s60, v9
	;; [unrolled: 1-line block ×3, first 2 shown]
	s_delay_alu instid0(VALU_DEP_3) | instskip(SKIP_1) | instid1(VALU_DEP_1)
	v_cmp_le_i32_e32 vcc_lo, s30, v10
	v_add_co_u32 v7, s7, s49, v7
	v_add_co_ci_u32_e64 v8, s7, s58, v8, s7
	s_or_b32 s63, vcc_lo, s63
	s_waitcnt vmcnt(0) lgkmcnt(0)
	flat_store_b128 v[7:8], v[1:4]
	s_and_not1_b32 exec_lo, exec_lo, s63
	s_cbranch_execz .LBB137_176
.LBB137_173:                            ;   Parent Loop BB137_11 Depth=1
                                        ; =>  This Loop Header: Depth=2
                                        ;       Child Loop BB137_175 Depth 3
	v_add_nc_u32_e32 v7, s62, v10
	s_delay_alu instid0(VALU_DEP_1) | instskip(NEXT) | instid1(VALU_DEP_1)
	v_ashrrev_i32_e32 v8, 31, v7
	v_lshlrev_b64 v[1:2], 4, v[7:8]
	s_delay_alu instid0(VALU_DEP_1) | instskip(NEXT) | instid1(VALU_DEP_2)
	v_add_co_u32 v1, vcc_lo, s49, v1
	v_add_co_ci_u32_e32 v2, vcc_lo, s58, v2, vcc_lo
	s_and_not1_b32 vcc_lo, exec_lo, s59
	flat_load_b128 v[1:4], v[1:2]
	s_cbranch_vccnz .LBB137_172
; %bb.174:                              ;   in Loop: Header=BB137_173 Depth=2
	s_mov_b32 s7, 0
	s_mov_b64 s[52:53], s[54:55]
	s_mov_b32 s65, s26
	s_set_inst_prefetch_distance 0x1
	.p2align	6
.LBB137_175:                            ;   Parent Loop BB137_11 Depth=1
                                        ;     Parent Loop BB137_173 Depth=2
                                        ; =>    This Inner Loop Header: Depth=3
	v_add_nc_u32_e32 v7, s7, v6
	s_add_u32 s24, s52, s45
	s_addc_u32 s25, s53, s61
	global_load_b64 v[31:32], v5, s[52:53] offset:32
	s_add_i32 s65, s65, -1
	v_ashrrev_i32_e32 v8, 31, v7
	s_add_u32 s52, s52, s56
	s_addc_u32 s53, s53, s57
	s_delay_alu instid0(VALU_DEP_1) | instskip(NEXT) | instid1(VALU_DEP_1)
	v_lshlrev_b64 v[11:12], 4, v[7:8]
	v_add_co_u32 v11, vcc_lo, s49, v11
	s_delay_alu instid0(VALU_DEP_2)
	v_add_co_ci_u32_e32 v12, vcc_lo, s58, v12, vcc_lo
	global_load_b64 v[27:28], v5, s[24:25]
	flat_load_b128 v[11:14], v[11:12]
	s_waitcnt vmcnt(1) lgkmcnt(1)
	v_mul_f64 v[33:34], v[1:2], v[27:28]
	s_waitcnt vmcnt(0) lgkmcnt(0)
	v_mul_f64 v[29:30], v[11:12], v[27:28]
	v_mul_f64 v[35:36], v[13:14], v[27:28]
	;; [unrolled: 1-line block ×3, first 2 shown]
	s_delay_alu instid0(VALU_DEP_3) | instskip(NEXT) | instid1(VALU_DEP_3)
	v_fma_f64 v[27:28], v[1:2], v[31:32], -v[29:30]
	v_fma_f64 v[29:30], v[3:4], v[31:32], -v[35:36]
	v_fma_f64 v[1:2], v[11:12], v[31:32], v[33:34]
	s_delay_alu instid0(VALU_DEP_4) | instskip(SKIP_3) | instid1(VALU_DEP_1)
	v_fma_f64 v[3:4], v[13:14], v[31:32], v[37:38]
	v_add_nc_u32_e32 v11, s7, v9
	s_add_i32 s7, s7, s64
	s_cmp_eq_u32 s65, 0
	v_ashrrev_i32_e32 v12, 31, v11
	s_delay_alu instid0(VALU_DEP_1) | instskip(NEXT) | instid1(VALU_DEP_1)
	v_lshlrev_b64 v[11:12], 4, v[11:12]
	v_add_co_u32 v11, vcc_lo, s49, v11
	s_delay_alu instid0(VALU_DEP_2)
	v_add_co_ci_u32_e32 v12, vcc_lo, s58, v12, vcc_lo
	flat_store_b128 v[11:12], v[27:30]
	s_cbranch_scc0 .LBB137_175
	s_branch .LBB137_172
.LBB137_176:                            ;   in Loop: Header=BB137_11 Depth=1
	s_or_b32 exec_lo, exec_lo, s16
	s_delay_alu instid0(SALU_CYCLE_1)
	s_and_not1_b32 vcc_lo, exec_lo, s82
	s_cbranch_vccnz .LBB137_10
.LBB137_177:                            ;   in Loop: Header=BB137_11 Depth=1
	s_and_saveexec_b32 s58, s6
	s_cbranch_execz .LBB137_9
; %bb.178:                              ;   in Loop: Header=BB137_11 Depth=1
	s_load_b32 s7, s[42:43], 0xc
	s_lshl_b64 s[24:25], s[46:47], 4
	s_mov_b32 s59, 0
	s_add_u32 s46, s38, s24
	s_addc_u32 s47, s39, s25
	s_add_i32 s16, s26, -1
	s_cmp_eq_u32 s48, 0
	s_cselect_b32 s24, s16, 0
	s_cselect_b32 s16, s26, 0
	s_add_i32 s24, s24, s27
	s_cmp_gt_i32 s26, 0
	v_dual_mov_b32 v27, v0 :: v_dual_add_nc_u32 v6, s16, v19
	s_cselect_b32 s27, -1, 0
	s_ashr_i32 s25, s24, 31
	s_lshl_b64 s[50:51], s[50:51], 3
	s_lshl_b64 s[24:25], s[24:25], 3
	s_waitcnt lgkmcnt(0)
	s_and_b32 s60, s7, 0xffff
	s_add_u32 s7, s50, s24
	s_addc_u32 s24, s51, s25
	s_add_u32 s50, s85, s7
	s_addc_u32 s51, s86, s24
	s_lshl_b32 s7, s48, 1
	s_ashr_i32 s45, s44, 31
	s_add_i32 s48, s7, -2
	s_lshl_b64 s[24:25], s[44:45], 3
	s_ashr_i32 s49, s48, 31
	v_add3_u32 v8, s7, s16, v21
	s_lshl_b64 s[44:45], s[48:49], 3
	s_mul_i32 s61, s37, s60
	s_or_b32 s44, s44, 8
	s_sub_u32 s7, s24, s8
	s_subb_u32 s8, s25, s9
	s_add_u32 s62, s7, 40
	s_addc_u32 s63, s8, 0
	s_lshl_b64 s[8:9], s[48:49], 4
	s_not_b64 s[52:53], s[48:49]
	s_or_b32 s8, s8, 16
	s_or_b32 s48, s48, 1
	s_branch .LBB137_180
.LBB137_179:                            ;   in Loop: Header=BB137_180 Depth=2
	s_set_inst_prefetch_distance 0x2
	v_lshlrev_b64 v[9:10], 4, v[10:11]
	v_add_nc_u32_e32 v27, s60, v27
	v_add_nc_u32_e32 v8, s61, v8
	v_add_nc_u32_e32 v6, s61, v6
	s_delay_alu instid0(VALU_DEP_3) | instskip(SKIP_1) | instid1(VALU_DEP_1)
	v_cmp_le_i32_e32 vcc_lo, s31, v27
	v_add_co_u32 v9, s7, s46, v9
	v_add_co_ci_u32_e64 v10, s7, s47, v10, s7
	s_or_b32 s59, vcc_lo, s59
	s_waitcnt vmcnt(0) lgkmcnt(0)
	flat_store_b128 v[9:10], v[1:4]
	s_and_not1_b32 exec_lo, exec_lo, s59
	s_cbranch_execz .LBB137_9
.LBB137_180:                            ;   Parent Loop BB137_11 Depth=1
                                        ; =>  This Loop Header: Depth=2
                                        ;       Child Loop BB137_182 Depth 3
	v_mad_u64_u32 v[10:11], null, v27, s37, s[16:17]
	s_delay_alu instid0(VALU_DEP_1) | instskip(NEXT) | instid1(VALU_DEP_1)
	v_ashrrev_i32_e32 v11, 31, v10
	v_lshlrev_b64 v[1:2], 4, v[10:11]
	s_delay_alu instid0(VALU_DEP_1) | instskip(NEXT) | instid1(VALU_DEP_2)
	v_add_co_u32 v1, vcc_lo, s46, v1
	v_add_co_ci_u32_e32 v2, vcc_lo, s47, v2, vcc_lo
	s_and_not1_b32 vcc_lo, exec_lo, s27
	flat_load_b128 v[1:4], v[1:2]
	s_cbranch_vccnz .LBB137_179
; %bb.181:                              ;   in Loop: Header=BB137_180 Depth=2
	v_ashrrev_i32_e32 v9, 31, v8
	v_ashrrev_i32_e32 v7, 31, v6
	v_add_co_u32 v10, vcc_lo, s52, v8
	s_mov_b64 s[54:55], s[46:47]
	s_delay_alu instid0(VALU_DEP_3) | instskip(NEXT) | instid1(VALU_DEP_3)
	v_lshlrev_b64 v[12:13], 4, v[8:9]
	v_lshlrev_b64 v[14:15], 4, v[6:7]
	v_add_co_ci_u32_e32 v11, vcc_lo, s53, v9, vcc_lo
	s_mov_b64 s[56:57], s[50:51]
	s_mov_b32 s7, s26
	s_set_inst_prefetch_distance 0x1
	.p2align	6
.LBB137_182:                            ;   Parent Loop BB137_11 Depth=1
                                        ;     Parent Loop BB137_180 Depth=2
                                        ; =>    This Inner Loop Header: Depth=3
	v_add_co_u32 v28, vcc_lo, s54, v12
	v_add_co_ci_u32_e32 v29, vcc_lo, s55, v13, vcc_lo
	s_add_u32 s24, s56, s62
	s_addc_u32 s25, s57, s63
	s_clause 0x1
	global_load_b64 v[36:37], v5, s[56:57] offset:32
	global_load_b64 v[32:33], v5, s[24:25]
	flat_load_b128 v[28:31], v[28:29]
	s_add_i32 s7, s7, -1
	s_add_u32 s56, s56, s44
	s_addc_u32 s57, s57, s45
	s_waitcnt vmcnt(1) lgkmcnt(1)
	v_mul_f64 v[38:39], v[1:2], v[32:33]
	s_waitcnt vmcnt(0) lgkmcnt(0)
	v_mul_f64 v[34:35], v[28:29], v[32:33]
	v_mul_f64 v[40:41], v[30:31], v[32:33]
	;; [unrolled: 1-line block ×3, first 2 shown]
	s_delay_alu instid0(VALU_DEP_3) | instskip(NEXT) | instid1(VALU_DEP_3)
	v_fma_f64 v[32:33], v[1:2], v[36:37], -v[34:35]
	v_fma_f64 v[34:35], v[3:4], v[36:37], -v[40:41]
	v_fma_f64 v[1:2], v[28:29], v[36:37], v[38:39]
	s_delay_alu instid0(VALU_DEP_4)
	v_fma_f64 v[3:4], v[30:31], v[36:37], v[42:43]
	v_add_co_u32 v28, vcc_lo, s54, v14
	v_add_co_ci_u32_e32 v29, vcc_lo, s55, v15, vcc_lo
	v_add_co_u32 v10, vcc_lo, v10, s48
	v_add_co_ci_u32_e32 v11, vcc_lo, s49, v11, vcc_lo
	s_add_u32 s54, s54, s8
	s_addc_u32 s55, s55, s9
	s_cmp_eq_u32 s7, 0
	flat_store_b128 v[28:29], v[32:35]
	s_cbranch_scc0 .LBB137_182
	s_branch .LBB137_179
.LBB137_183:
	s_endpgm
	.section	.rodata,"a",@progbits
	.p2align	6, 0x0
	.amdhsa_kernel _ZN9rocsolver6v33100L13bdsqr_computeILi256E19rocblas_complex_numIdEdPS3_S4_S4_EEviiiiPT1_lS6_lT2_iilT3_iilT4_iiliS5_S5_S5_S5_PiS6_ilSA_
		.amdhsa_group_segment_fixed_size 2072
		.amdhsa_private_segment_fixed_size 0
		.amdhsa_kernarg_size 456
		.amdhsa_user_sgpr_count 13
		.amdhsa_user_sgpr_dispatch_ptr 0
		.amdhsa_user_sgpr_queue_ptr 0
		.amdhsa_user_sgpr_kernarg_segment_ptr 1
		.amdhsa_user_sgpr_dispatch_id 0
		.amdhsa_user_sgpr_private_segment_size 0
		.amdhsa_wavefront_size32 1
		.amdhsa_uses_dynamic_stack 0
		.amdhsa_enable_private_segment 0
		.amdhsa_system_sgpr_workgroup_id_x 1
		.amdhsa_system_sgpr_workgroup_id_y 1
		.amdhsa_system_sgpr_workgroup_id_z 1
		.amdhsa_system_sgpr_workgroup_info 0
		.amdhsa_system_vgpr_workitem_id 0
		.amdhsa_next_free_vgpr 45
		.amdhsa_next_free_sgpr 104
		.amdhsa_reserve_vcc 1
		.amdhsa_float_round_mode_32 0
		.amdhsa_float_round_mode_16_64 0
		.amdhsa_float_denorm_mode_32 3
		.amdhsa_float_denorm_mode_16_64 3
		.amdhsa_dx10_clamp 1
		.amdhsa_ieee_mode 1
		.amdhsa_fp16_overflow 0
		.amdhsa_workgroup_processor_mode 1
		.amdhsa_memory_ordered 1
		.amdhsa_forward_progress 0
		.amdhsa_shared_vgpr_count 0
		.amdhsa_exception_fp_ieee_invalid_op 0
		.amdhsa_exception_fp_denorm_src 0
		.amdhsa_exception_fp_ieee_div_zero 0
		.amdhsa_exception_fp_ieee_overflow 0
		.amdhsa_exception_fp_ieee_underflow 0
		.amdhsa_exception_fp_ieee_inexact 0
		.amdhsa_exception_int_div_zero 0
	.end_amdhsa_kernel
	.section	.text._ZN9rocsolver6v33100L13bdsqr_computeILi256E19rocblas_complex_numIdEdPS3_S4_S4_EEviiiiPT1_lS6_lT2_iilT3_iilT4_iiliS5_S5_S5_S5_PiS6_ilSA_,"axG",@progbits,_ZN9rocsolver6v33100L13bdsqr_computeILi256E19rocblas_complex_numIdEdPS3_S4_S4_EEviiiiPT1_lS6_lT2_iilT3_iilT4_iiliS5_S5_S5_S5_PiS6_ilSA_,comdat
.Lfunc_end137:
	.size	_ZN9rocsolver6v33100L13bdsqr_computeILi256E19rocblas_complex_numIdEdPS3_S4_S4_EEviiiiPT1_lS6_lT2_iilT3_iilT4_iiliS5_S5_S5_S5_PiS6_ilSA_, .Lfunc_end137-_ZN9rocsolver6v33100L13bdsqr_computeILi256E19rocblas_complex_numIdEdPS3_S4_S4_EEviiiiPT1_lS6_lT2_iilT3_iilT4_iiliS5_S5_S5_S5_PiS6_ilSA_
                                        ; -- End function
	.section	.AMDGPU.csdata,"",@progbits
; Kernel info:
; codeLenInByte = 10816
; NumSgprs: 106
; NumVgprs: 45
; ScratchSize: 0
; MemoryBound: 0
; FloatMode: 240
; IeeeMode: 1
; LDSByteSize: 2072 bytes/workgroup (compile time only)
; SGPRBlocks: 13
; VGPRBlocks: 5
; NumSGPRsForWavesPerEU: 106
; NumVGPRsForWavesPerEU: 45
; Occupancy: 16
; WaveLimiterHint : 1
; COMPUTE_PGM_RSRC2:SCRATCH_EN: 0
; COMPUTE_PGM_RSRC2:USER_SGPR: 13
; COMPUTE_PGM_RSRC2:TRAP_HANDLER: 0
; COMPUTE_PGM_RSRC2:TGID_X_EN: 1
; COMPUTE_PGM_RSRC2:TGID_Y_EN: 1
; COMPUTE_PGM_RSRC2:TGID_Z_EN: 1
; COMPUTE_PGM_RSRC2:TIDIG_COMP_CNT: 0
	.section	.text._ZN9rocsolver6v33100L12bdsqr_rotateI19rocblas_complex_numIdEdPS3_S4_S4_EEviiiiT1_iilT2_iilT3_iiliPiPT0_ilS8_,"axG",@progbits,_ZN9rocsolver6v33100L12bdsqr_rotateI19rocblas_complex_numIdEdPS3_S4_S4_EEviiiiT1_iilT2_iilT3_iiliPiPT0_ilS8_,comdat
	.globl	_ZN9rocsolver6v33100L12bdsqr_rotateI19rocblas_complex_numIdEdPS3_S4_S4_EEviiiiT1_iilT2_iilT3_iiliPiPT0_ilS8_ ; -- Begin function _ZN9rocsolver6v33100L12bdsqr_rotateI19rocblas_complex_numIdEdPS3_S4_S4_EEviiiiT1_iilT2_iilT3_iiliPiPT0_ilS8_
	.p2align	8
	.type	_ZN9rocsolver6v33100L12bdsqr_rotateI19rocblas_complex_numIdEdPS3_S4_S4_EEviiiiT1_iilT2_iilT3_iiliPiPT0_ilS8_,@function
_ZN9rocsolver6v33100L12bdsqr_rotateI19rocblas_complex_numIdEdPS3_S4_S4_EEviiiiT1_iilT2_iilT3_iiliPiPT0_ilS8_: ; @_ZN9rocsolver6v33100L12bdsqr_rotateI19rocblas_complex_numIdEdPS3_S4_S4_EEviiiiT1_iilT2_iilT3_iiliPiPT0_ilS8_
; %bb.0:
	s_load_b128 s[16:19], s[0:1], 0x78
	s_mov_b32 s26, s15
	s_ashr_i32 s27, s15, 31
	s_delay_alu instid0(SALU_CYCLE_1)
	s_lshl_b64 s[2:3], s[26:27], 2
	s_waitcnt lgkmcnt(0)
	s_add_u32 s2, s18, s2
	s_addc_u32 s3, s19, s3
	s_load_b32 s2, s[2:3], 0x8
	s_waitcnt lgkmcnt(0)
	s_cmp_lg_u32 s2, 0
	s_cbranch_scc1 .LBB138_25
; %bb.1:
	s_load_b256 s[4:11], s[0:1], 0x10
	s_add_u32 s24, s0, 0x88
	s_addc_u32 s25, s1, 0
	s_mov_b64 s[2:3], 0
	s_mov_b64 s[18:19], 0
	s_waitcnt lgkmcnt(0)
	s_cmp_eq_u64 s[4:5], 0
	s_cbranch_scc1 .LBB138_3
; %bb.2:
	s_mul_i32 s9, s26, s9
	s_mul_hi_u32 s12, s26, s8
	s_mul_i32 s15, s27, s8
	s_add_i32 s9, s12, s9
	s_mul_i32 s8, s26, s8
	s_add_i32 s9, s9, s15
	s_ashr_i32 s19, s6, 31
	s_lshl_b64 s[8:9], s[8:9], 4
	s_mov_b32 s18, s6
	s_add_u32 s6, s4, s8
	s_addc_u32 s8, s5, s9
	s_lshl_b64 s[4:5], s[18:19], 4
	s_delay_alu instid0(SALU_CYCLE_1)
	s_add_u32 s18, s6, s4
	s_addc_u32 s19, s8, s5
.LBB138_3:
	s_clause 0x1
	s_load_b64 s[4:5], s[0:1], 0x30
	s_load_b128 s[20:23], s[0:1], 0x38
	s_cmp_eq_u64 s[10:11], 0
	s_cbranch_scc1 .LBB138_5
; %bb.4:
	s_waitcnt lgkmcnt(0)
	s_mul_i32 s2, s26, s21
	s_mul_hi_u32 s3, s26, s20
	s_mul_i32 s6, s27, s20
	s_add_i32 s2, s3, s2
	s_ashr_i32 s9, s4, 31
	s_add_i32 s3, s2, s6
	s_mul_i32 s2, s26, s20
	s_mov_b32 s8, s4
	s_lshl_b64 s[2:3], s[2:3], 4
	s_delay_alu instid0(SALU_CYCLE_1) | instskip(SKIP_2) | instid1(SALU_CYCLE_1)
	s_add_u32 s4, s10, s2
	s_addc_u32 s6, s11, s3
	s_lshl_b64 s[2:3], s[8:9], 4
	s_add_u32 s2, s4, s2
	s_addc_u32 s3, s6, s3
.LBB138_5:
	s_load_b64 s[28:29], s[0:1], 0x48
	s_waitcnt lgkmcnt(0)
	s_cmp_eq_u64 s[22:23], 0
	s_mov_b64 s[20:21], 0
	s_cbranch_scc1 .LBB138_7
; %bb.6:
	s_load_b64 s[8:9], s[0:1], 0x50
	s_ashr_i32 s11, s28, 31
	s_mov_b32 s10, s28
	s_waitcnt lgkmcnt(0)
	s_mul_i32 s4, s26, s9
	s_mul_hi_u32 s6, s26, s8
	s_mul_i32 s9, s27, s8
	s_add_i32 s4, s6, s4
	s_mul_i32 s8, s26, s8
	s_add_i32 s9, s4, s9
	s_delay_alu instid0(SALU_CYCLE_1) | instskip(NEXT) | instid1(SALU_CYCLE_1)
	s_lshl_b64 s[8:9], s[8:9], 4
	s_add_u32 s4, s22, s8
	s_addc_u32 s6, s23, s9
	s_lshl_b64 s[8:9], s[10:11], 4
	s_delay_alu instid0(SALU_CYCLE_1)
	s_add_u32 s20, s4, s8
	s_addc_u32 s21, s6, s9
.LBB138_7:
	s_load_b128 s[8:11], s[0:1], 0x60
	s_mul_i32 s4, s26, s17
	s_mul_hi_u32 s6, s26, s16
	s_delay_alu instid0(SALU_CYCLE_1) | instskip(SKIP_3) | instid1(SALU_CYCLE_1)
	s_add_i32 s4, s6, s4
	s_mul_i32 s6, s27, s16
	s_mul_i32 s16, s26, s16
	s_add_i32 s17, s4, s6
	s_lshl_b64 s[16:17], s[16:17], 3
	s_waitcnt lgkmcnt(0)
	s_add_u32 s22, s10, s16
	s_addc_u32 s23, s11, s17
	s_load_b64 s[22:23], s[22:23], 0x10
	s_waitcnt lgkmcnt(0)
	v_cvt_i32_f64_e32 v9, s[22:23]
	s_delay_alu instid0(VALU_DEP_1)
	v_cmp_ge_i32_e32 vcc_lo, s14, v9
	s_cbranch_vccnz .LBB138_25
; %bb.8:
	s_clause 0x3
	s_load_b128 s[36:39], s[0:1], 0x0
	s_load_b32 s6, s[0:1], 0x94
	s_load_b32 s4, s[0:1], 0x58
	;; [unrolled: 1-line block ×4, first 2 shown]
	v_mov_b32_e32 v12, 0
	s_waitcnt lgkmcnt(0)
	s_mul_i32 s0, s26, s36
	s_delay_alu instid0(SALU_CYCLE_1) | instskip(NEXT) | instid1(SALU_CYCLE_1)
	s_lshl_b32 s0, s0, 1
	s_ashr_i32 s1, s0, 31
	s_delay_alu instid0(SALU_CYCLE_1) | instskip(NEXT) | instid1(SALU_CYCLE_1)
	s_lshl_b64 s[0:1], s[0:1], 2
	s_add_u32 s26, s8, s0
	s_addc_u32 s27, s9, s1
	s_and_b32 s0, 0xffff, s6
	s_cmp_eq_u32 s37, 0
	v_mad_u64_u32 v[4:5], null, s13, s0, v[0:1]
	s_cselect_b32 s30, -1, 0
	s_cmp_lg_u64 s[18:19], 0
	s_cselect_b32 s1, -1, 0
	s_delay_alu instid0(VALU_DEP_1)
	v_cmp_gt_i32_e32 vcc_lo, s37, v4
	v_cmp_gt_i32_e64 s0, s38, v4
	v_mul_lo_u32 v10, v4, s7
	v_mul_lo_u32 v11, v4, s29
	s_and_b32 s31, vcc_lo, s1
	s_cmp_lg_u64 s[2:3], 0
	v_cmp_gt_i32_e32 vcc_lo, s39, v4
	s_cselect_b32 s1, -1, 0
	s_delay_alu instid0(SALU_CYCLE_1) | instskip(SKIP_2) | instid1(SALU_CYCLE_1)
	s_and_b32 s33, s0, s1
	s_cmp_lg_u64 s[20:21], 0
	s_cselect_b32 s0, -1, 0
	s_and_b32 s29, vcc_lo, s0
	s_add_u32 s34, s10, s16
	s_addc_u32 s35, s11, s17
	s_branch .LBB138_12
.LBB138_9:                              ;   in Loop: Header=BB138_12 Depth=1
	s_set_inst_prefetch_distance 0x2
	v_sub_co_u32 v5, vcc_lo, v7, s12
	v_subrev_co_ci_u32_e32 v6, vcc_lo, s13, v8, vcc_lo
	s_delay_alu instid0(VALU_DEP_2) | instskip(NEXT) | instid1(VALU_DEP_2)
	v_add_co_u32 v5, vcc_lo, s6, v5
	v_add_co_ci_u32_e32 v6, vcc_lo, s7, v6, vcc_lo
	flat_store_b128 v[5:6], v[0:3]
.LBB138_10:                             ;   in Loop: Header=BB138_12 Depth=1
	s_or_b32 exec_lo, exec_lo, s16
.LBB138_11:                             ;   in Loop: Header=BB138_12 Depth=1
	s_add_i32 s14, s28, s14
	s_delay_alu instid0(SALU_CYCLE_1)
	v_cmp_lt_i32_e32 vcc_lo, s14, v9
	s_cbranch_vccz .LBB138_25
.LBB138_12:                             ; =>This Loop Header: Depth=1
                                        ;     Child Loop BB138_16 Depth 2
                                        ;     Child Loop BB138_20 Depth 2
                                        ;     Child Loop BB138_24 Depth 2
	s_lshl_b32 s0, s14, 2
	s_delay_alu instid0(SALU_CYCLE_1) | instskip(NEXT) | instid1(SALU_CYCLE_1)
	s_ashr_i32 s1, s0, 31
	s_lshl_b64 s[0:1], s[0:1], 2
	s_delay_alu instid0(SALU_CYCLE_1)
	s_add_u32 s0, s26, s0
	s_addc_u32 s1, s27, s1
	s_clause 0x1
	s_load_b64 s[6:7], s[0:1], 0x0
	s_load_b32 s10, s[0:1], 0x8
	s_waitcnt lgkmcnt(0)
	s_cmp_le_i32 s10, s7
	s_cbranch_scc1 .LBB138_11
; %bb.13:                               ;   in Loop: Header=BB138_12 Depth=1
	s_load_b32 s0, s[0:1], 0xc
	s_waitcnt lgkmcnt(0)
	s_cmp_lt_i32 s0, s4
	s_cselect_b32 s0, -1, 0
	s_cmp_lg_u32 s6, 0
	s_cselect_b32 s1, -1, 0
	s_delay_alu instid0(SALU_CYCLE_1) | instskip(NEXT) | instid1(SALU_CYCLE_1)
	s_and_b32 s0, s0, s1
	s_and_not1_b32 vcc_lo, exec_lo, s0
	s_cbranch_vccnz .LBB138_11
; %bb.14:                               ;   in Loop: Header=BB138_12 Depth=1
	s_mul_i32 s8, s7, s15
	s_delay_alu instid0(SALU_CYCLE_1)
	s_ashr_i32 s9, s8, 31
	s_cmp_gt_i32 s6, 0
	s_cselect_b32 s36, -1, 0
	s_sub_i32 s0, s10, s7
	s_and_saveexec_b32 s1, s31
	s_cbranch_execz .LBB138_18
; %bb.15:                               ;   in Loop: Header=BB138_12 Depth=1
	s_and_b32 s11, s36, exec_lo
	s_cselect_b32 s11, s7, s10
	s_mov_b32 s22, s6
	v_add_nc_u32_e32 v7, s11, v10
	s_add_i32 s11, s0, -1
	s_and_b32 s12, s36, exec_lo
	s_cselect_b32 s12, 0, s11
	s_ashr_i32 s23, s6, 31
	v_ashrrev_i32_e32 v8, 31, v7
	s_ashr_i32 s13, s12, 31
	s_lshl_b64 s[24:25], s[8:9], 3
	s_lshl_b64 s[16:17], s[12:13], 3
	;; [unrolled: 1-line block ×3, first 2 shown]
	v_lshlrev_b64 v[5:6], 4, v[7:8]
	v_add_nc_u32_e32 v7, s6, v7
	s_add_u32 s11, s16, s24
	s_addc_u32 s17, s17, s25
	s_add_u32 s16, s34, s11
	s_addc_u32 s17, s35, s17
	v_add_co_u32 v0, vcc_lo, s18, v5
	v_add_co_ci_u32_e32 v1, vcc_lo, s19, v6, vcc_lo
	v_ashrrev_i32_e32 v8, 31, v7
	s_ashr_i32 s11, s10, 31
	s_ashr_i32 s25, s7, 31
	flat_load_b128 v[0:3], v[0:1]
	s_mov_b32 s24, s7
	s_lshl_b64 s[38:39], s[10:11], 3
	s_lshl_b64 s[24:25], s[24:25], 3
	v_lshlrev_b64 v[7:8], 4, v[7:8]
	s_lshl_b64 s[22:23], s[22:23], 3
	s_sub_u32 s11, s38, s24
	s_subb_u32 s24, s39, s25
	s_add_u32 s11, s11, 40
	s_addc_u32 s37, s24, 0
	s_mov_b32 s38, s0
	s_mov_b64 s[24:25], s[18:19]
	s_set_inst_prefetch_distance 0x1
	.p2align	6
.LBB138_16:                             ;   Parent Loop BB138_12 Depth=1
                                        ; =>  This Inner Loop Header: Depth=2
	v_add_co_u32 v13, vcc_lo, s24, v7
	v_add_co_ci_u32_e32 v14, vcc_lo, s25, v8, vcc_lo
	s_add_u32 s40, s16, s11
	s_addc_u32 s41, s17, s37
	s_clause 0x1
	global_load_b64 v[21:22], v12, s[16:17] offset:32
	global_load_b64 v[17:18], v12, s[40:41]
	flat_load_b128 v[13:16], v[13:14]
	s_waitcnt vmcnt(1) lgkmcnt(1)
	v_mul_f64 v[23:24], v[0:1], v[17:18]
	s_waitcnt vmcnt(0) lgkmcnt(0)
	v_mul_f64 v[19:20], v[13:14], v[17:18]
	v_mul_f64 v[25:26], v[15:16], v[17:18]
	;; [unrolled: 1-line block ×3, first 2 shown]
	s_delay_alu instid0(VALU_DEP_3) | instskip(NEXT) | instid1(VALU_DEP_3)
	v_fma_f64 v[17:18], v[0:1], v[21:22], -v[19:20]
	v_fma_f64 v[19:20], v[2:3], v[21:22], -v[25:26]
	v_fma_f64 v[0:1], v[13:14], v[21:22], v[23:24]
	s_delay_alu instid0(VALU_DEP_4)
	v_fma_f64 v[2:3], v[15:16], v[21:22], v[27:28]
	v_add_co_u32 v13, vcc_lo, s24, v5
	s_add_u32 s24, s24, s12
	v_add_co_ci_u32_e32 v14, vcc_lo, s25, v6, vcc_lo
	s_addc_u32 s25, s25, s13
	s_add_u32 s16, s16, s22
	s_addc_u32 s17, s17, s23
	s_add_i32 s38, s38, -1
	s_delay_alu instid0(SALU_CYCLE_1)
	s_cmp_eq_u32 s38, 0
	flat_store_b128 v[13:14], v[17:20]
	s_cbranch_scc0 .LBB138_16
; %bb.17:                               ;   in Loop: Header=BB138_12 Depth=1
	s_set_inst_prefetch_distance 0x2
	v_sub_co_u32 v5, vcc_lo, v7, s12
	v_subrev_co_ci_u32_e32 v6, vcc_lo, s13, v8, vcc_lo
	s_delay_alu instid0(VALU_DEP_2) | instskip(NEXT) | instid1(VALU_DEP_2)
	v_add_co_u32 v5, vcc_lo, s24, v5
	v_add_co_ci_u32_e32 v6, vcc_lo, s25, v6, vcc_lo
	flat_store_b128 v[5:6], v[0:3]
.LBB138_18:                             ;   in Loop: Header=BB138_12 Depth=1
	s_or_b32 exec_lo, exec_lo, s1
	s_lshl_b32 s1, s0, 1
	s_delay_alu instid0(SALU_CYCLE_1)
	s_add_i32 s1, s1, 2
	s_and_b32 s11, s30, exec_lo
	s_cselect_b32 s11, 0, s1
	s_and_saveexec_b32 s22, s33
	s_cbranch_execz .LBB138_22
; %bb.19:                               ;   in Loop: Header=BB138_12 Depth=1
	s_and_b32 s1, s36, exec_lo
	s_cselect_b32 s13, s7, s10
	s_add_i32 s1, s0, -1
	s_mul_i32 s23, s13, s5
	s_and_b32 s12, s36, exec_lo
	v_dual_mov_b32 v7, v4 :: v_dual_add_nc_u32 v0, s23, v4
	s_cselect_b32 s1, 0, s1
	s_add_i32 s24, s13, s6
	s_add_i32 s12, s11, s1
	s_delay_alu instid0(VALU_DEP_1)
	v_ashrrev_i32_e32 v1, 31, v0
	s_ashr_i32 s13, s12, 31
	s_lshl_b64 s[16:17], s[8:9], 3
	s_lshl_b64 s[12:13], s[12:13], 3
	s_ashr_i32 s1, s0, 31
	v_lshlrev_b64 v[0:1], 4, v[0:1]
	s_add_u32 s12, s16, s12
	s_addc_u32 s13, s17, s13
	s_add_u32 s12, s34, s12
	s_addc_u32 s13, s35, s13
	s_ashr_i32 s17, s6, 31
	v_add_co_u32 v0, vcc_lo, s2, v0
	v_add_co_ci_u32_e32 v1, vcc_lo, s3, v1, vcc_lo
	s_mov_b32 s16, s6
	s_lshl_b64 s[38:39], s[0:1], 3
	s_lshl_b64 s[16:17], s[16:17], 3
	flat_load_b128 v[0:3], v[0:1]
	s_add_u32 s1, s38, 40
	s_mul_i32 s24, s5, s24
	s_mul_i32 s25, s5, s6
	s_addc_u32 s37, s39, 0
	s_mov_b32 s38, s0
	s_set_inst_prefetch_distance 0x1
	.p2align	6
.LBB138_20:                             ;   Parent Loop BB138_12 Depth=1
                                        ; =>  This Inner Loop Header: Depth=2
	v_add_nc_u32_e32 v5, s24, v7
	s_add_u32 s40, s12, s1
	s_addc_u32 s41, s13, s37
	global_load_b64 v[21:22], v12, s[12:13] offset:32
	s_add_u32 s12, s12, s16
	v_ashrrev_i32_e32 v6, 31, v5
	s_addc_u32 s13, s13, s17
	s_add_i32 s38, s38, -1
	s_delay_alu instid0(SALU_CYCLE_1) | instskip(NEXT) | instid1(VALU_DEP_1)
	s_cmp_eq_u32 s38, 0
	v_lshlrev_b64 v[5:6], 4, v[5:6]
	s_delay_alu instid0(VALU_DEP_1) | instskip(NEXT) | instid1(VALU_DEP_2)
	v_add_co_u32 v5, vcc_lo, s2, v5
	v_add_co_ci_u32_e32 v6, vcc_lo, s3, v6, vcc_lo
	global_load_b64 v[17:18], v12, s[40:41]
	flat_load_b128 v[13:16], v[5:6]
	s_waitcnt vmcnt(1) lgkmcnt(1)
	v_mul_f64 v[23:24], v[0:1], v[17:18]
	s_waitcnt vmcnt(0) lgkmcnt(0)
	v_mul_f64 v[19:20], v[13:14], v[17:18]
	v_mul_f64 v[25:26], v[15:16], v[17:18]
	;; [unrolled: 1-line block ×3, first 2 shown]
	s_delay_alu instid0(VALU_DEP_3) | instskip(NEXT) | instid1(VALU_DEP_3)
	v_fma_f64 v[17:18], v[0:1], v[21:22], -v[19:20]
	v_fma_f64 v[19:20], v[2:3], v[21:22], -v[25:26]
	v_fma_f64 v[0:1], v[13:14], v[21:22], v[23:24]
	s_delay_alu instid0(VALU_DEP_4) | instskip(SKIP_2) | instid1(VALU_DEP_2)
	v_fma_f64 v[2:3], v[15:16], v[21:22], v[27:28]
	v_add_nc_u32_e32 v13, s23, v7
	v_add_nc_u32_e32 v7, s25, v7
	v_ashrrev_i32_e32 v14, 31, v13
	s_delay_alu instid0(VALU_DEP_1) | instskip(NEXT) | instid1(VALU_DEP_1)
	v_lshlrev_b64 v[13:14], 4, v[13:14]
	v_add_co_u32 v13, vcc_lo, s2, v13
	s_delay_alu instid0(VALU_DEP_2)
	v_add_co_ci_u32_e32 v14, vcc_lo, s3, v14, vcc_lo
	flat_store_b128 v[13:14], v[17:20]
	s_cbranch_scc0 .LBB138_20
; %bb.21:                               ;   in Loop: Header=BB138_12 Depth=1
	s_set_inst_prefetch_distance 0x2
	flat_store_b128 v[5:6], v[0:3]
.LBB138_22:                             ;   in Loop: Header=BB138_12 Depth=1
	s_or_b32 exec_lo, exec_lo, s22
	s_and_saveexec_b32 s16, s29
	s_cbranch_execz .LBB138_10
; %bb.23:                               ;   in Loop: Header=BB138_12 Depth=1
	s_and_b32 s1, s36, exec_lo
	s_cselect_b32 s1, s7, s10
	s_delay_alu instid0(SALU_CYCLE_1)
	v_add_nc_u32_e32 v7, s1, v11
	s_add_i32 s1, s0, -1
	s_and_b32 s7, s36, exec_lo
	s_cselect_b32 s1, 0, s1
	s_lshl_b64 s[8:9], s[8:9], 3
	v_ashrrev_i32_e32 v8, 31, v7
	s_add_i32 s10, s11, s1
	s_ashr_i32 s1, s0, 31
	s_ashr_i32 s11, s10, 31
	s_delay_alu instid0(SALU_CYCLE_1)
	s_lshl_b64 s[10:11], s[10:11], 3
	v_lshlrev_b64 v[5:6], 4, v[7:8]
	v_add_nc_u32_e32 v7, s6, v7
	s_add_u32 s7, s8, s10
	s_addc_u32 s9, s9, s11
	s_add_u32 s8, s34, s7
	s_addc_u32 s9, s35, s9
	v_add_co_u32 v0, vcc_lo, s20, v5
	v_add_co_ci_u32_e32 v1, vcc_lo, s21, v6, vcc_lo
	v_ashrrev_i32_e32 v8, 31, v7
	s_ashr_i32 s7, s6, 31
	s_lshl_b64 s[12:13], s[0:1], 3
	flat_load_b128 v[0:3], v[0:1]
	s_lshl_b64 s[10:11], s[6:7], 3
	v_lshlrev_b64 v[7:8], 4, v[7:8]
	s_add_u32 s1, s12, 40
	s_addc_u32 s17, s13, 0
	s_lshl_b64 s[12:13], s[6:7], 4
	s_mov_b64 s[6:7], s[20:21]
	s_set_inst_prefetch_distance 0x1
	.p2align	6
.LBB138_24:                             ;   Parent Loop BB138_12 Depth=1
                                        ; =>  This Inner Loop Header: Depth=2
	v_add_co_u32 v13, vcc_lo, s6, v7
	v_add_co_ci_u32_e32 v14, vcc_lo, s7, v8, vcc_lo
	s_add_u32 s22, s8, s1
	s_addc_u32 s23, s9, s17
	s_clause 0x1
	global_load_b64 v[21:22], v12, s[8:9] offset:32
	global_load_b64 v[17:18], v12, s[22:23]
	flat_load_b128 v[13:16], v[13:14]
	s_add_i32 s0, s0, -1
	s_add_u32 s8, s8, s10
	s_addc_u32 s9, s9, s11
	s_waitcnt vmcnt(1) lgkmcnt(1)
	v_mul_f64 v[23:24], v[0:1], v[17:18]
	s_waitcnt vmcnt(0) lgkmcnt(0)
	v_mul_f64 v[19:20], v[13:14], v[17:18]
	v_mul_f64 v[25:26], v[15:16], v[17:18]
	;; [unrolled: 1-line block ×3, first 2 shown]
	s_delay_alu instid0(VALU_DEP_3) | instskip(NEXT) | instid1(VALU_DEP_3)
	v_fma_f64 v[17:18], v[0:1], v[21:22], -v[19:20]
	v_fma_f64 v[19:20], v[2:3], v[21:22], -v[25:26]
	v_fma_f64 v[0:1], v[13:14], v[21:22], v[23:24]
	s_delay_alu instid0(VALU_DEP_4)
	v_fma_f64 v[2:3], v[15:16], v[21:22], v[27:28]
	v_add_co_u32 v13, vcc_lo, s6, v5
	v_add_co_ci_u32_e32 v14, vcc_lo, s7, v6, vcc_lo
	s_add_u32 s6, s6, s12
	s_addc_u32 s7, s7, s13
	s_cmp_eq_u32 s0, 0
	flat_store_b128 v[13:14], v[17:20]
	s_cbranch_scc0 .LBB138_24
	s_branch .LBB138_9
.LBB138_25:
	s_endpgm
	.section	.rodata,"a",@progbits
	.p2align	6, 0x0
	.amdhsa_kernel _ZN9rocsolver6v33100L12bdsqr_rotateI19rocblas_complex_numIdEdPS3_S4_S4_EEviiiiT1_iilT2_iilT3_iiliPiPT0_ilS8_
		.amdhsa_group_segment_fixed_size 0
		.amdhsa_private_segment_fixed_size 0
		.amdhsa_kernarg_size 392
		.amdhsa_user_sgpr_count 13
		.amdhsa_user_sgpr_dispatch_ptr 0
		.amdhsa_user_sgpr_queue_ptr 0
		.amdhsa_user_sgpr_kernarg_segment_ptr 1
		.amdhsa_user_sgpr_dispatch_id 0
		.amdhsa_user_sgpr_private_segment_size 0
		.amdhsa_wavefront_size32 1
		.amdhsa_uses_dynamic_stack 0
		.amdhsa_enable_private_segment 0
		.amdhsa_system_sgpr_workgroup_id_x 1
		.amdhsa_system_sgpr_workgroup_id_y 1
		.amdhsa_system_sgpr_workgroup_id_z 1
		.amdhsa_system_sgpr_workgroup_info 0
		.amdhsa_system_vgpr_workitem_id 0
		.amdhsa_next_free_vgpr 29
		.amdhsa_next_free_sgpr 42
		.amdhsa_reserve_vcc 1
		.amdhsa_float_round_mode_32 0
		.amdhsa_float_round_mode_16_64 0
		.amdhsa_float_denorm_mode_32 3
		.amdhsa_float_denorm_mode_16_64 3
		.amdhsa_dx10_clamp 1
		.amdhsa_ieee_mode 1
		.amdhsa_fp16_overflow 0
		.amdhsa_workgroup_processor_mode 1
		.amdhsa_memory_ordered 1
		.amdhsa_forward_progress 0
		.amdhsa_shared_vgpr_count 0
		.amdhsa_exception_fp_ieee_invalid_op 0
		.amdhsa_exception_fp_denorm_src 0
		.amdhsa_exception_fp_ieee_div_zero 0
		.amdhsa_exception_fp_ieee_overflow 0
		.amdhsa_exception_fp_ieee_underflow 0
		.amdhsa_exception_fp_ieee_inexact 0
		.amdhsa_exception_int_div_zero 0
	.end_amdhsa_kernel
	.section	.text._ZN9rocsolver6v33100L12bdsqr_rotateI19rocblas_complex_numIdEdPS3_S4_S4_EEviiiiT1_iilT2_iilT3_iiliPiPT0_ilS8_,"axG",@progbits,_ZN9rocsolver6v33100L12bdsqr_rotateI19rocblas_complex_numIdEdPS3_S4_S4_EEviiiiT1_iilT2_iilT3_iiliPiPT0_ilS8_,comdat
.Lfunc_end138:
	.size	_ZN9rocsolver6v33100L12bdsqr_rotateI19rocblas_complex_numIdEdPS3_S4_S4_EEviiiiT1_iilT2_iilT3_iiliPiPT0_ilS8_, .Lfunc_end138-_ZN9rocsolver6v33100L12bdsqr_rotateI19rocblas_complex_numIdEdPS3_S4_S4_EEviiiiT1_iilT2_iilT3_iiliPiPT0_ilS8_
                                        ; -- End function
	.section	.AMDGPU.csdata,"",@progbits
; Kernel info:
; codeLenInByte = 1956
; NumSgprs: 44
; NumVgprs: 29
; ScratchSize: 0
; MemoryBound: 0
; FloatMode: 240
; IeeeMode: 1
; LDSByteSize: 0 bytes/workgroup (compile time only)
; SGPRBlocks: 5
; VGPRBlocks: 3
; NumSGPRsForWavesPerEU: 44
; NumVGPRsForWavesPerEU: 29
; Occupancy: 16
; WaveLimiterHint : 1
; COMPUTE_PGM_RSRC2:SCRATCH_EN: 0
; COMPUTE_PGM_RSRC2:USER_SGPR: 13
; COMPUTE_PGM_RSRC2:TRAP_HANDLER: 0
; COMPUTE_PGM_RSRC2:TGID_X_EN: 1
; COMPUTE_PGM_RSRC2:TGID_Y_EN: 1
; COMPUTE_PGM_RSRC2:TGID_Z_EN: 1
; COMPUTE_PGM_RSRC2:TIDIG_COMP_CNT: 0
	.section	.text._ZN9rocsolver6v33100L22bdsqr_update_endpointsI19rocblas_complex_numIdEdEEviPT0_lPiS5_lS6_,"axG",@progbits,_ZN9rocsolver6v33100L22bdsqr_update_endpointsI19rocblas_complex_numIdEdEEviPT0_lPiS5_lS6_,comdat
	.globl	_ZN9rocsolver6v33100L22bdsqr_update_endpointsI19rocblas_complex_numIdEdEEviPT0_lPiS5_lS6_ ; -- Begin function _ZN9rocsolver6v33100L22bdsqr_update_endpointsI19rocblas_complex_numIdEdEEviPT0_lPiS5_lS6_
	.p2align	8
	.type	_ZN9rocsolver6v33100L22bdsqr_update_endpointsI19rocblas_complex_numIdEdEEviPT0_lPiS5_lS6_,@function
_ZN9rocsolver6v33100L22bdsqr_update_endpointsI19rocblas_complex_numIdEdEEviPT0_lPiS5_lS6_: ; @_ZN9rocsolver6v33100L22bdsqr_update_endpointsI19rocblas_complex_numIdEdEEviPT0_lPiS5_lS6_
; %bb.0:
	s_load_b128 s[16:19], s[0:1], 0x28
	s_mov_b32 s12, s15
	s_ashr_i32 s13, s15, 31
	s_delay_alu instid0(SALU_CYCLE_1)
	s_lshl_b64 s[2:3], s[12:13], 2
	s_waitcnt lgkmcnt(0)
	s_add_u32 s2, s18, s2
	s_addc_u32 s3, s19, s3
	s_load_b32 s2, s[2:3], 0x8
	s_waitcnt lgkmcnt(0)
	s_cmp_lg_u32 s2, 0
	s_cbranch_scc1 .LBB139_32
; %bb.1:
	s_load_b256 s[4:11], s[0:1], 0x8
	s_mul_i32 s2, s12, s17
	s_mul_hi_u32 s3, s12, s16
	s_delay_alu instid0(SALU_CYCLE_1) | instskip(SKIP_1) | instid1(SALU_CYCLE_1)
	s_add_i32 s2, s3, s2
	s_mul_i32 s3, s13, s16
	s_add_i32 s3, s2, s3
	s_mul_i32 s2, s12, s16
	s_delay_alu instid0(SALU_CYCLE_1)
	s_lshl_b64 s[2:3], s[2:3], 3
	s_waitcnt lgkmcnt(0)
	s_add_u32 s2, s10, s2
	s_addc_u32 s3, s11, s3
	s_load_b128 s[16:19], s[2:3], 0x8
	s_waitcnt lgkmcnt(0)
	v_cvt_i32_f64_e32 v9, s[18:19]
	s_delay_alu instid0(VALU_DEP_1)
	v_cmp_ge_i32_e32 vcc_lo, s14, v9
	s_cbranch_vccnz .LBB139_32
; %bb.2:
	v_cvt_f64_i32_e32 v[4:5], v9
	s_clause 0x1
	s_load_b32 s10, s[0:1], 0x0
	s_load_b32 s15, s[0:1], 0x3c
	s_mul_i32 s7, s12, s7
	s_mul_hi_u32 s11, s12, s6
	v_mov_b32_e32 v6, 0
	s_add_i32 s7, s11, s7
	s_mul_i32 s11, s13, s6
	s_mul_i32 s6, s12, s6
	s_add_i32 s7, s7, s11
	s_delay_alu instid0(SALU_CYCLE_1) | instskip(NEXT) | instid1(SALU_CYCLE_1)
	s_lshl_b64 s[0:1], s[6:7], 3
	s_add_u32 s18, s4, s0
	s_addc_u32 s19, s5, s1
	s_waitcnt lgkmcnt(0)
	s_mul_i32 s0, s12, s10
	s_delay_alu instid0(SALU_CYCLE_1) | instskip(NEXT) | instid1(SALU_CYCLE_1)
	s_lshl_b32 s0, s0, 1
	s_ashr_i32 s1, s0, 31
	s_delay_alu instid0(SALU_CYCLE_1) | instskip(NEXT) | instid1(SALU_CYCLE_1)
	s_lshl_b64 s[0:1], s[0:1], 2
	s_add_u32 s20, s8, s0
	s_addc_u32 s21, s9, s1
	s_add_u32 s22, s18, -8
	s_addc_u32 s23, s19, -1
	s_branch .LBB139_5
.LBB139_3:                              ;   in Loop: Header=BB139_5 Depth=1
	s_mov_b32 s6, s8
.LBB139_4:                              ;   in Loop: Header=BB139_5 Depth=1
	s_add_i32 s14, s15, s14
	v_dual_mov_b32 v0, s6 :: v_dual_mov_b32 v1, s9
	v_cmp_lt_i32_e32 vcc_lo, s14, v9
	global_store_b64 v6, v[0:1], s[4:5] offset:4
	s_cbranch_vccz .LBB139_32
.LBB139_5:                              ; =>This Loop Header: Depth=1
                                        ;     Child Loop BB139_10 Depth 2
                                        ;     Child Loop BB139_15 Depth 2
	;; [unrolled: 1-line block ×3, first 2 shown]
                                        ;       Child Loop BB139_27 Depth 3
	s_lshl_b32 s0, s14, 2
	s_delay_alu instid0(SALU_CYCLE_1) | instskip(NEXT) | instid1(SALU_CYCLE_1)
	s_ashr_i32 s1, s0, 31
	s_lshl_b64 s[0:1], s[0:1], 2
	s_delay_alu instid0(SALU_CYCLE_1)
	s_add_u32 s4, s20, s0
	s_addc_u32 s5, s21, s1
	global_load_b128 v[0:3], v6, s[4:5]
	s_waitcnt vmcnt(0)
	v_cmp_eq_u32_e64 s0, 0, v0
	v_readfirstlane_b32 s10, v1
	v_readfirstlane_b32 s8, v2
	s_delay_alu instid0(VALU_DEP_3)
	s_and_b32 vcc_lo, exec_lo, s0
	s_cbranch_vccnz .LBB139_7
; %bb.6:                                ;   in Loop: Header=BB139_5 Depth=1
	s_delay_alu instid0(VALU_DEP_1) | instskip(NEXT) | instid1(SALU_CYCLE_1)
	s_sub_i32 s1, s8, s10
	v_add_nc_u32_e32 v3, s1, v3
	global_store_b32 v6, v3, s[4:5] offset:12
.LBB139_7:                              ;   in Loop: Header=BB139_5 Depth=1
	s_delay_alu instid0(VALU_DEP_1)
	s_cmp_le_i32 s8, s10
	s_cbranch_scc1 .LBB139_17
; %bb.8:                                ;   in Loop: Header=BB139_5 Depth=1
	s_ashr_i32 s11, s10, 31
	s_delay_alu instid0(SALU_CYCLE_1) | instskip(NEXT) | instid1(SALU_CYCLE_1)
	s_lshl_b64 s[6:7], s[10:11], 3
	s_add_u32 s12, s18, s6
	s_addc_u32 s13, s19, s7
	s_branch .LBB139_10
	.p2align	6
.LBB139_9:                              ;   in Loop: Header=BB139_10 Depth=2
	v_mov_b32_e32 v7, v6
	s_add_i32 s10, s10, 1
	s_mov_b32 s6, s8
	global_store_b64 v6, v[6:7], s[12:13]
	s_add_u32 s12, s12, 8
	s_addc_u32 s13, s13, 0
	s_cmp_ge_i32 s10, s8
	s_cselect_b32 s1, -1, 0
	s_delay_alu instid0(SALU_CYCLE_1)
	s_and_not1_b32 vcc_lo, exec_lo, s1
	s_cbranch_vccz .LBB139_12
.LBB139_10:                             ;   Parent Loop BB139_5 Depth=1
                                        ; =>  This Inner Loop Header: Depth=2
	global_load_b64 v[0:1], v6, s[12:13]
	s_waitcnt vmcnt(0)
	v_cmp_nlt_f64_e64 s1, |v[0:1]|, s[16:17]
	s_delay_alu instid0(VALU_DEP_1)
	s_and_b32 vcc_lo, exec_lo, s1
	s_mov_b32 s1, -1
	s_cbranch_vccz .LBB139_9
; %bb.11:                               ;   in Loop: Header=BB139_10 Depth=2
	s_mov_b32 s6, s10
                                        ; implicit-def: $sgpr10
                                        ; implicit-def: $sgpr12_sgpr13
	s_and_not1_b32 vcc_lo, exec_lo, s1
	s_cbranch_vccnz .LBB139_10
.LBB139_12:                             ;   in Loop: Header=BB139_5 Depth=1
	s_cmp_le_i32 s8, s6
	s_cbranch_scc1 .LBB139_18
.LBB139_13:                             ;   in Loop: Header=BB139_5 Depth=1
	s_ashr_i32 s9, s8, 31
	s_delay_alu instid0(SALU_CYCLE_1) | instskip(NEXT) | instid1(SALU_CYCLE_1)
	s_lshl_b64 s[10:11], s[8:9], 3
	s_add_u32 s10, s22, s10
	s_addc_u32 s11, s23, s11
	s_branch .LBB139_15
	.p2align	6
.LBB139_14:                             ;   in Loop: Header=BB139_15 Depth=2
	v_mov_b32_e32 v7, v6
	s_add_i32 s8, s8, -1
	s_mov_b32 s9, s6
	global_store_b64 v6, v[6:7], s[10:11]
	s_add_u32 s10, s10, -8
	s_addc_u32 s11, s11, -1
	s_cmp_le_i32 s8, s6
	s_cselect_b32 s1, -1, 0
	s_delay_alu instid0(SALU_CYCLE_1)
	s_and_not1_b32 vcc_lo, exec_lo, s1
	s_cbranch_vccz .LBB139_19
.LBB139_15:                             ;   Parent Loop BB139_5 Depth=1
                                        ; =>  This Inner Loop Header: Depth=2
	global_load_b64 v[0:1], v6, s[10:11]
	s_waitcnt vmcnt(0)
	v_cmp_nlt_f64_e64 s1, |v[0:1]|, s[16:17]
	s_delay_alu instid0(VALU_DEP_1)
	s_and_b32 vcc_lo, exec_lo, s1
	s_mov_b32 s1, -1
	s_cbranch_vccz .LBB139_14
; %bb.16:                               ;   in Loop: Header=BB139_15 Depth=2
	s_mov_b32 s9, s8
                                        ; implicit-def: $sgpr8
                                        ; implicit-def: $sgpr10_sgpr11
	s_and_not1_b32 vcc_lo, exec_lo, s1
	s_cbranch_vccnz .LBB139_15
	s_branch .LBB139_19
.LBB139_17:                             ;   in Loop: Header=BB139_5 Depth=1
	s_mov_b32 s6, s10
	s_delay_alu instid0(SALU_CYCLE_1)
	s_cmp_le_i32 s8, s6
	s_cbranch_scc0 .LBB139_13
.LBB139_18:                             ;   in Loop: Header=BB139_5 Depth=1
	s_mov_b32 s9, s8
.LBB139_19:                             ;   in Loop: Header=BB139_5 Depth=1
	s_delay_alu instid0(SALU_CYCLE_1) | instskip(SKIP_2) | instid1(SALU_CYCLE_1)
	s_cmp_lt_i32 s6, s9
	s_mov_b32 s8, s6
	s_cselect_b32 s1, -1, 0
	s_and_b32 s0, s0, s1
	s_delay_alu instid0(SALU_CYCLE_1)
	s_and_not1_b32 vcc_lo, exec_lo, s0
	s_cbranch_vccnz .LBB139_4
.LBB139_20:                             ;   Parent Loop BB139_5 Depth=1
                                        ; =>  This Loop Header: Depth=2
                                        ;       Child Loop BB139_27 Depth 3
	s_ashr_i32 s7, s6, 31
	s_mov_b32 s10, -1
	s_lshl_b64 s[0:1], s[6:7], 3
	s_delay_alu instid0(SALU_CYCLE_1) | instskip(SKIP_4) | instid1(VALU_DEP_1)
	s_add_u32 s0, s18, s0
	s_addc_u32 s1, s19, s1
	global_load_b64 v[0:1], v6, s[0:1]
	s_waitcnt vmcnt(0)
	v_cmp_lt_f64_e64 s7, |v[0:1]|, s[16:17]
	s_and_b32 vcc_lo, exec_lo, s7
                                        ; implicit-def: $sgpr7
	s_cbranch_vccz .LBB139_23
; %bb.21:                               ;   in Loop: Header=BB139_20 Depth=2
	s_and_not1_b32 vcc_lo, exec_lo, s10
	s_cbranch_vccz .LBB139_24
.LBB139_22:                             ;   in Loop: Header=BB139_20 Depth=2
	s_cmp_lt_i32 s7, s9
	s_cbranch_scc1 .LBB139_31
	s_branch .LBB139_3
.LBB139_23:                             ;   in Loop: Header=BB139_20 Depth=2
	s_add_i32 s7, s6, 1
	s_cbranch_execnz .LBB139_22
.LBB139_24:                             ;   in Loop: Header=BB139_20 Depth=2
	v_mov_b32_e32 v7, v6
	s_cmp_ge_i32 s8, s6
	global_store_b64 v6, v[6:7], s[0:1]
	s_cbranch_scc1 .LBB139_30
; %bb.25:                               ;   in Loop: Header=BB139_20 Depth=2
	s_mov_b32 s0, exec_lo
                                        ; implicit-def: $vgpr0_vgpr1
	s_delay_alu instid0(SALU_CYCLE_1) | instskip(NEXT) | instid1(VALU_DEP_1)
	v_mbcnt_lo_u32_b32 v2, s0, 0
	v_cmp_eq_u32_e32 vcc_lo, 0, v2
	s_and_saveexec_b32 s1, vcc_lo
	s_cbranch_execz .LBB139_29
; %bb.26:                               ;   in Loop: Header=BB139_20 Depth=2
	global_load_b64 v[0:1], v6, s[2:3] offset:24
	s_bcnt1_i32_b32 s0, s0
	s_mov_b32 s7, 0
	v_cvt_f64_u32_e32 v[7:8], s0
.LBB139_27:                             ;   Parent Loop BB139_5 Depth=1
                                        ;     Parent Loop BB139_20 Depth=2
                                        ; =>    This Inner Loop Header: Depth=3
	s_waitcnt vmcnt(0)
	v_dual_mov_b32 v13, v1 :: v_dual_mov_b32 v12, v0
	s_delay_alu instid0(VALU_DEP_1) | instskip(SKIP_3) | instid1(VALU_DEP_1)
	v_add_f64 v[10:11], v[12:13], v[7:8]
	global_atomic_cmpswap_b64 v[0:1], v6, v[10:13], s[2:3] offset:24 glc
	s_waitcnt vmcnt(0)
	v_cmp_eq_u64_e64 s0, v[0:1], v[12:13]
	s_or_b32 s7, s0, s7
	s_delay_alu instid0(SALU_CYCLE_1)
	s_and_not1_b32 exec_lo, exec_lo, s7
	s_cbranch_execnz .LBB139_27
; %bb.28:                               ;   in Loop: Header=BB139_20 Depth=2
	s_or_b32 exec_lo, exec_lo, s7
.LBB139_29:                             ;   in Loop: Header=BB139_20 Depth=2
	s_delay_alu instid0(SALU_CYCLE_1) | instskip(SKIP_4) | instid1(VALU_DEP_2)
	s_or_b32 exec_lo, exec_lo, s1
	v_cvt_f64_u32_e32 v[7:8], v2
	v_readfirstlane_b32 s1, v1
	v_readfirstlane_b32 s0, v0
	v_mov_b32_e32 v2, s6
	v_add_f64 v[0:1], s[0:1], v[7:8]
	s_delay_alu instid0(VALU_DEP_1) | instskip(NEXT) | instid1(VALU_DEP_2)
	v_cndmask_b32_e64 v1, v1, s1, vcc_lo
	v_cndmask_b32_e64 v0, v0, s0, vcc_lo
	s_delay_alu instid0(VALU_DEP_1) | instskip(NEXT) | instid1(VALU_DEP_1)
	v_add_f64 v[0:1], v[0:1], v[4:5]
	v_cvt_i32_f64_e32 v0, v[0:1]
	s_delay_alu instid0(VALU_DEP_1) | instskip(NEXT) | instid1(VALU_DEP_1)
	v_lshlrev_b32_e32 v0, 2, v0
	v_ashrrev_i32_e32 v1, 31, v0
	s_delay_alu instid0(VALU_DEP_1) | instskip(SKIP_1) | instid1(VALU_DEP_2)
	v_lshlrev_b64 v[7:8], 2, v[0:1]
	v_mov_b32_e32 v1, s8
	v_add_co_u32 v7, vcc_lo, s20, v7
	s_delay_alu instid0(VALU_DEP_3)
	v_add_co_ci_u32_e32 v8, vcc_lo, s21, v8, vcc_lo
	global_store_b96 v[7:8], v[1:3], off offset:4
.LBB139_30:                             ;   in Loop: Header=BB139_20 Depth=2
	s_add_i32 s8, s6, 1
	s_delay_alu instid0(SALU_CYCLE_1) | instskip(NEXT) | instid1(SALU_CYCLE_1)
	s_mov_b32 s7, s8
	s_cmp_lt_i32 s7, s9
	s_cbranch_scc0 .LBB139_3
.LBB139_31:                             ;   in Loop: Header=BB139_20 Depth=2
	s_mov_b32 s6, s7
	s_branch .LBB139_20
.LBB139_32:
	s_nop 0
	s_sendmsg sendmsg(MSG_DEALLOC_VGPRS)
	s_endpgm
	.section	.rodata,"a",@progbits
	.p2align	6, 0x0
	.amdhsa_kernel _ZN9rocsolver6v33100L22bdsqr_update_endpointsI19rocblas_complex_numIdEdEEviPT0_lPiS5_lS6_
		.amdhsa_group_segment_fixed_size 0
		.amdhsa_private_segment_fixed_size 0
		.amdhsa_kernarg_size 312
		.amdhsa_user_sgpr_count 13
		.amdhsa_user_sgpr_dispatch_ptr 0
		.amdhsa_user_sgpr_queue_ptr 0
		.amdhsa_user_sgpr_kernarg_segment_ptr 1
		.amdhsa_user_sgpr_dispatch_id 0
		.amdhsa_user_sgpr_private_segment_size 0
		.amdhsa_wavefront_size32 1
		.amdhsa_uses_dynamic_stack 0
		.amdhsa_enable_private_segment 0
		.amdhsa_system_sgpr_workgroup_id_x 1
		.amdhsa_system_sgpr_workgroup_id_y 1
		.amdhsa_system_sgpr_workgroup_id_z 1
		.amdhsa_system_sgpr_workgroup_info 0
		.amdhsa_system_vgpr_workitem_id 0
		.amdhsa_next_free_vgpr 14
		.amdhsa_next_free_sgpr 24
		.amdhsa_reserve_vcc 1
		.amdhsa_float_round_mode_32 0
		.amdhsa_float_round_mode_16_64 0
		.amdhsa_float_denorm_mode_32 3
		.amdhsa_float_denorm_mode_16_64 3
		.amdhsa_dx10_clamp 1
		.amdhsa_ieee_mode 1
		.amdhsa_fp16_overflow 0
		.amdhsa_workgroup_processor_mode 1
		.amdhsa_memory_ordered 1
		.amdhsa_forward_progress 0
		.amdhsa_shared_vgpr_count 0
		.amdhsa_exception_fp_ieee_invalid_op 0
		.amdhsa_exception_fp_denorm_src 0
		.amdhsa_exception_fp_ieee_div_zero 0
		.amdhsa_exception_fp_ieee_overflow 0
		.amdhsa_exception_fp_ieee_underflow 0
		.amdhsa_exception_fp_ieee_inexact 0
		.amdhsa_exception_int_div_zero 0
	.end_amdhsa_kernel
	.section	.text._ZN9rocsolver6v33100L22bdsqr_update_endpointsI19rocblas_complex_numIdEdEEviPT0_lPiS5_lS6_,"axG",@progbits,_ZN9rocsolver6v33100L22bdsqr_update_endpointsI19rocblas_complex_numIdEdEEviPT0_lPiS5_lS6_,comdat
.Lfunc_end139:
	.size	_ZN9rocsolver6v33100L22bdsqr_update_endpointsI19rocblas_complex_numIdEdEEviPT0_lPiS5_lS6_, .Lfunc_end139-_ZN9rocsolver6v33100L22bdsqr_update_endpointsI19rocblas_complex_numIdEdEEviPT0_lPiS5_lS6_
                                        ; -- End function
	.section	.AMDGPU.csdata,"",@progbits
; Kernel info:
; codeLenInByte = 1064
; NumSgprs: 26
; NumVgprs: 14
; ScratchSize: 0
; MemoryBound: 0
; FloatMode: 240
; IeeeMode: 1
; LDSByteSize: 0 bytes/workgroup (compile time only)
; SGPRBlocks: 3
; VGPRBlocks: 1
; NumSGPRsForWavesPerEU: 26
; NumVGPRsForWavesPerEU: 14
; Occupancy: 16
; WaveLimiterHint : 1
; COMPUTE_PGM_RSRC2:SCRATCH_EN: 0
; COMPUTE_PGM_RSRC2:USER_SGPR: 13
; COMPUTE_PGM_RSRC2:TRAP_HANDLER: 0
; COMPUTE_PGM_RSRC2:TGID_X_EN: 1
; COMPUTE_PGM_RSRC2:TGID_Y_EN: 1
; COMPUTE_PGM_RSRC2:TGID_Z_EN: 1
; COMPUTE_PGM_RSRC2:TIDIG_COMP_CNT: 0
	.section	.text._ZN9rocsolver6v33100L19bdsqr_chk_completedI19rocblas_complex_numIdEdEEviiPiPT0_lS4_,"axG",@progbits,_ZN9rocsolver6v33100L19bdsqr_chk_completedI19rocblas_complex_numIdEdEEviiPiPT0_lS4_,comdat
	.globl	_ZN9rocsolver6v33100L19bdsqr_chk_completedI19rocblas_complex_numIdEdEEviiPiPT0_lS4_ ; -- Begin function _ZN9rocsolver6v33100L19bdsqr_chk_completedI19rocblas_complex_numIdEdEEviiPiPT0_lS4_
	.p2align	8
	.type	_ZN9rocsolver6v33100L19bdsqr_chk_completedI19rocblas_complex_numIdEdEEviiPiPT0_lS4_,@function
_ZN9rocsolver6v33100L19bdsqr_chk_completedI19rocblas_complex_numIdEdEEviiPiPT0_lS4_: ; @_ZN9rocsolver6v33100L19bdsqr_chk_completedI19rocblas_complex_numIdEdEEviiPiPT0_lS4_
; %bb.0:
	s_load_b256 s[4:11], s[0:1], 0x8
	s_mov_b32 s12, s15
	s_ashr_i32 s13, s15, 31
	s_delay_alu instid0(SALU_CYCLE_1)
	s_lshl_b64 s[2:3], s[12:13], 2
	s_waitcnt lgkmcnt(0)
	s_add_u32 s2, s10, s2
	s_addc_u32 s3, s11, s3
	s_load_b32 s14, s[2:3], 0x8
	s_waitcnt lgkmcnt(0)
	s_cmp_lg_u32 s14, 0
	s_cbranch_scc0 .LBB140_2
.LBB140_1:
	s_nop 0
	s_sendmsg sendmsg(MSG_DEALLOC_VGPRS)
	s_endpgm
.LBB140_2:
	s_mul_i32 s9, s12, s9
	s_mul_hi_u32 s14, s12, s8
	s_mul_i32 s13, s13, s8
	s_add_i32 s9, s14, s9
	s_mul_i32 s8, s12, s8
	s_add_i32 s9, s9, s13
	v_mov_b32_e32 v2, 0
	s_lshl_b64 s[8:9], s[8:9], 3
	s_delay_alu instid0(SALU_CYCLE_1)
	s_add_u32 s8, s6, s8
	s_addc_u32 s9, s7, s9
	s_load_b32 s7, s[10:11], 0x4
	s_load_b128 s[16:19], s[8:9], 0x10
	v_mov_b32_e32 v3, v2
	s_mov_b32 s6, 0
	s_waitcnt lgkmcnt(0)
	v_add_f64 v[0:1], s[16:17], s[18:19]
	s_delay_alu instid0(VALU_DEP_1) | instskip(NEXT) | instid1(VALU_DEP_1)
	v_cvt_i32_f64_e32 v4, v[0:1]
	v_cvt_f64_i32_e32 v[0:1], v4
	v_cmp_ge_i32_e32 vcc_lo, s7, v4
	global_store_b128 v2, v[0:3], s[8:9] offset:16
	s_cbranch_vccnz .LBB140_6
; %bb.3:
	v_mov_b32_e32 v5, s7
.LBB140_4:                              ; =>This Inner Loop Header: Depth=1
	global_atomic_cmpswap_b32 v5, v2, v[4:5], s[10:11] offset:4 glc
	s_waitcnt vmcnt(0)
	v_cmp_ge_i32_e32 vcc_lo, v5, v4
	s_or_b32 s6, vcc_lo, s6
	s_delay_alu instid0(SALU_CYCLE_1)
	s_and_not1_b32 exec_lo, exec_lo, s6
	s_cbranch_execnz .LBB140_4
; %bb.5:
	s_or_b32 exec_lo, exec_lo, s6
.LBB140_6:
	v_cmp_gt_i32_e32 vcc_lo, 1, v4
	s_cbranch_vccnz .LBB140_14
; %bb.7:
	s_load_b64 s[0:1], s[0:1], 0x0
	v_mov_b32_e32 v0, 0
	s_waitcnt lgkmcnt(0)
	s_mul_i32 s0, s12, s0
	s_delay_alu instid0(SALU_CYCLE_1) | instskip(NEXT) | instid1(SALU_CYCLE_1)
	s_lshl_b32 s6, s0, 1
	s_ashr_i32 s7, s6, 31
	s_delay_alu instid0(SALU_CYCLE_1) | instskip(NEXT) | instid1(SALU_CYCLE_1)
	s_lshl_b64 s[6:7], s[6:7], 2
	s_add_u32 s0, s6, s4
	s_addc_u32 s5, s7, s5
	s_add_u32 s4, s0, 12
	s_addc_u32 s5, s5, 0
	s_branch .LBB140_9
	.p2align	6
.LBB140_8:                              ;   in Loop: Header=BB140_9 Depth=1
	v_add_nc_u32_e32 v4, -1, v4
	s_add_u32 s4, s4, 16
	s_addc_u32 s5, s5, 0
	s_mov_b32 s0, 0
	s_delay_alu instid0(VALU_DEP_1) | instskip(NEXT) | instid1(VALU_DEP_1)
	v_cmp_eq_u32_e64 s6, 0, v4
	s_and_not1_b32 vcc_lo, exec_lo, s6
	s_cbranch_vccz .LBB140_13
.LBB140_9:                              ; =>This Inner Loop Header: Depth=1
	global_load_b64 v[1:2], v0, s[4:5] offset:-8
	s_mov_b32 s6, -1
                                        ; implicit-def: $sgpr0
	s_waitcnt vmcnt(0)
	v_cmp_ge_i32_e32 vcc_lo, v1, v2
	s_cbranch_vccnz .LBB140_11
; %bb.10:                               ;   in Loop: Header=BB140_9 Depth=1
	global_load_b32 v1, v0, s[4:5]
	s_mov_b32 s0, -1
	s_waitcnt vmcnt(0)
	v_cmp_le_i32_e64 s6, s1, v1
.LBB140_11:                             ;   in Loop: Header=BB140_9 Depth=1
	s_delay_alu instid0(VALU_DEP_1)
	s_and_not1_b32 vcc_lo, exec_lo, s6
	s_cbranch_vccz .LBB140_8
; %bb.12:
                                        ; implicit-def: $vgpr4
                                        ; implicit-def: $sgpr4_sgpr5
.LBB140_13:
	s_xor_b32 s0, s0, -1
	s_delay_alu instid0(SALU_CYCLE_1)
	s_and_b32 vcc_lo, exec_lo, s0
	s_cbranch_vccz .LBB140_1
	s_branch .LBB140_15
.LBB140_14:
	s_cbranch_execz .LBB140_1
.LBB140_15:
	s_mov_b32 s0, exec_lo
	v_mov_b32_e32 v0, 0
	v_mbcnt_lo_u32_b32 v1, s0, 0
	v_mov_b32_e32 v2, 1
	s_mov_b32 s1, exec_lo
	global_store_b32 v0, v2, s[2:3] offset:8
	v_cmpx_eq_u32_e32 0, v1
	s_cbranch_execz .LBB140_1
; %bb.16:
	s_bcnt1_i32_b32 s0, s0
	s_delay_alu instid0(SALU_CYCLE_1)
	v_mov_b32_e32 v1, s0
	global_atomic_add_u32 v0, v1, s[10:11]
	s_nop 0
	s_sendmsg sendmsg(MSG_DEALLOC_VGPRS)
	s_endpgm
	.section	.rodata,"a",@progbits
	.p2align	6, 0x0
	.amdhsa_kernel _ZN9rocsolver6v33100L19bdsqr_chk_completedI19rocblas_complex_numIdEdEEviiPiPT0_lS4_
		.amdhsa_group_segment_fixed_size 0
		.amdhsa_private_segment_fixed_size 0
		.amdhsa_kernarg_size 40
		.amdhsa_user_sgpr_count 14
		.amdhsa_user_sgpr_dispatch_ptr 0
		.amdhsa_user_sgpr_queue_ptr 0
		.amdhsa_user_sgpr_kernarg_segment_ptr 1
		.amdhsa_user_sgpr_dispatch_id 0
		.amdhsa_user_sgpr_private_segment_size 0
		.amdhsa_wavefront_size32 1
		.amdhsa_uses_dynamic_stack 0
		.amdhsa_enable_private_segment 0
		.amdhsa_system_sgpr_workgroup_id_x 1
		.amdhsa_system_sgpr_workgroup_id_y 1
		.amdhsa_system_sgpr_workgroup_id_z 0
		.amdhsa_system_sgpr_workgroup_info 0
		.amdhsa_system_vgpr_workitem_id 0
		.amdhsa_next_free_vgpr 6
		.amdhsa_next_free_sgpr 20
		.amdhsa_reserve_vcc 1
		.amdhsa_float_round_mode_32 0
		.amdhsa_float_round_mode_16_64 0
		.amdhsa_float_denorm_mode_32 3
		.amdhsa_float_denorm_mode_16_64 3
		.amdhsa_dx10_clamp 1
		.amdhsa_ieee_mode 1
		.amdhsa_fp16_overflow 0
		.amdhsa_workgroup_processor_mode 1
		.amdhsa_memory_ordered 1
		.amdhsa_forward_progress 0
		.amdhsa_shared_vgpr_count 0
		.amdhsa_exception_fp_ieee_invalid_op 0
		.amdhsa_exception_fp_denorm_src 0
		.amdhsa_exception_fp_ieee_div_zero 0
		.amdhsa_exception_fp_ieee_overflow 0
		.amdhsa_exception_fp_ieee_underflow 0
		.amdhsa_exception_fp_ieee_inexact 0
		.amdhsa_exception_int_div_zero 0
	.end_amdhsa_kernel
	.section	.text._ZN9rocsolver6v33100L19bdsqr_chk_completedI19rocblas_complex_numIdEdEEviiPiPT0_lS4_,"axG",@progbits,_ZN9rocsolver6v33100L19bdsqr_chk_completedI19rocblas_complex_numIdEdEEviiPiPT0_lS4_,comdat
.Lfunc_end140:
	.size	_ZN9rocsolver6v33100L19bdsqr_chk_completedI19rocblas_complex_numIdEdEEviiPiPT0_lS4_, .Lfunc_end140-_ZN9rocsolver6v33100L19bdsqr_chk_completedI19rocblas_complex_numIdEdEEviiPiPT0_lS4_
                                        ; -- End function
	.section	.AMDGPU.csdata,"",@progbits
; Kernel info:
; codeLenInByte = 476
; NumSgprs: 22
; NumVgprs: 6
; ScratchSize: 0
; MemoryBound: 0
; FloatMode: 240
; IeeeMode: 1
; LDSByteSize: 0 bytes/workgroup (compile time only)
; SGPRBlocks: 2
; VGPRBlocks: 0
; NumSGPRsForWavesPerEU: 22
; NumVGPRsForWavesPerEU: 6
; Occupancy: 16
; WaveLimiterHint : 0
; COMPUTE_PGM_RSRC2:SCRATCH_EN: 0
; COMPUTE_PGM_RSRC2:USER_SGPR: 14
; COMPUTE_PGM_RSRC2:TRAP_HANDLER: 0
; COMPUTE_PGM_RSRC2:TGID_X_EN: 1
; COMPUTE_PGM_RSRC2:TGID_Y_EN: 1
; COMPUTE_PGM_RSRC2:TGID_Z_EN: 0
; COMPUTE_PGM_RSRC2:TIDIG_COMP_CNT: 0
	.section	.text._ZN9rocsolver6v33100L14bdsqr_finalizeI19rocblas_complex_numIdEdPS3_S4_S4_EEviiiiPT0_lS6_lT1_iilT2_iilT3_iilPiSA_SA_,"axG",@progbits,_ZN9rocsolver6v33100L14bdsqr_finalizeI19rocblas_complex_numIdEdPS3_S4_S4_EEviiiiPT0_lS6_lT1_iilT2_iilT3_iilPiSA_SA_,comdat
	.globl	_ZN9rocsolver6v33100L14bdsqr_finalizeI19rocblas_complex_numIdEdPS3_S4_S4_EEviiiiPT0_lS6_lT1_iilT2_iilT3_iilPiSA_SA_ ; -- Begin function _ZN9rocsolver6v33100L14bdsqr_finalizeI19rocblas_complex_numIdEdPS3_S4_S4_EEviiiiPT0_lS6_lT1_iilT2_iilT3_iilPiSA_SA_
	.p2align	8
	.type	_ZN9rocsolver6v33100L14bdsqr_finalizeI19rocblas_complex_numIdEdPS3_S4_S4_EEviiiiPT0_lS6_lT1_iilT2_iilT3_iilPiSA_SA_,@function
_ZN9rocsolver6v33100L14bdsqr_finalizeI19rocblas_complex_numIdEdPS3_S4_S4_EEviiiiPT0_lS6_lT1_iilT2_iilT3_iilPiSA_SA_: ; @_ZN9rocsolver6v33100L14bdsqr_finalizeI19rocblas_complex_numIdEdPS3_S4_S4_EEviiiiPT0_lS6_lT1_iilT2_iilT3_iilPiSA_SA_
; %bb.0:
	s_load_b256 s[36:43], s[2:3], 0x70
	s_mov_b32 s8, s15
	s_ashr_i32 s9, s15, 31
	s_mov_b32 s32, 48
	s_lshl_b64 s[22:23], s[8:9], 2
	s_waitcnt lgkmcnt(0)
	s_add_u32 s4, s42, s22
	s_addc_u32 s5, s43, s23
	s_load_b32 s4, s[4:5], 0x8
	s_waitcnt lgkmcnt(0)
	s_cmp_gt_i32 s4, 1
	s_cbranch_scc1 .LBB141_260
; %bb.1:
	s_clause 0x2
	s_load_b64 s[10:11], s[2:3], 0x9c
	s_load_b256 s[44:51], s[2:3], 0x30
	s_load_b256 s[52:59], s[2:3], 0x10
	s_mov_b64 s[28:29], 0
	s_mov_b64 s[34:35], 0
	s_waitcnt lgkmcnt(0)
	s_and_b32 s11, s11, 0xffff
	s_cmp_eq_u64 s[44:45], 0
	s_cbranch_scc1 .LBB141_3
; %bb.2:
	s_mul_i32 s4, s8, s49
	s_mul_hi_u32 s5, s8, s48
	s_mul_i32 s6, s9, s48
	s_add_i32 s4, s5, s4
	s_ashr_i32 s7, s46, 31
	s_add_i32 s5, s4, s6
	s_mul_i32 s4, s8, s48
	s_mov_b32 s6, s46
	s_lshl_b64 s[4:5], s[4:5], 4
	s_delay_alu instid0(SALU_CYCLE_1) | instskip(SKIP_2) | instid1(SALU_CYCLE_1)
	s_add_u32 s12, s44, s4
	s_addc_u32 s13, s45, s5
	s_lshl_b64 s[4:5], s[6:7], 4
	s_add_u32 s34, s12, s4
	s_addc_u32 s35, s13, s5
.LBB141_3:
	s_clause 0x1
	s_load_b64 s[42:43], s[2:3], 0x50
	s_load_b128 s[4:7], s[2:3], 0x58
	s_cmp_eq_u64 s[50:51], 0
	s_cbranch_scc1 .LBB141_5
; %bb.4:
	s_waitcnt lgkmcnt(0)
	s_mul_i32 s5, s8, s5
	s_mul_hi_u32 s12, s8, s4
	s_mul_i32 s13, s9, s4
	s_add_i32 s5, s12, s5
	s_mul_i32 s4, s8, s4
	s_add_i32 s5, s5, s13
	s_ashr_i32 s13, s42, 31
	s_lshl_b64 s[4:5], s[4:5], 4
	s_mov_b32 s12, s42
	s_add_u32 s14, s50, s4
	s_addc_u32 s15, s51, s5
	s_lshl_b64 s[4:5], s[12:13], 4
	s_delay_alu instid0(SALU_CYCLE_1)
	s_add_u32 s28, s14, s4
	s_addc_u32 s29, s15, s5
.LBB141_5:
	s_load_b64 s[48:49], s[2:3], 0x68
	s_waitcnt lgkmcnt(0)
	s_cmp_eq_u64 s[6:7], 0
	s_mov_b64 s[44:45], 0
	s_cbranch_scc1 .LBB141_7
; %bb.6:
	s_mul_i32 s4, s8, s37
	s_mul_hi_u32 s5, s8, s36
	s_mul_i32 s12, s9, s36
	s_add_i32 s4, s5, s4
	s_ashr_i32 s13, s48, 31
	s_add_i32 s5, s4, s12
	s_mul_i32 s4, s8, s36
	s_mov_b32 s12, s48
	s_lshl_b64 s[4:5], s[4:5], 4
	s_delay_alu instid0(SALU_CYCLE_1) | instskip(SKIP_2) | instid1(SALU_CYCLE_1)
	s_add_u32 s6, s6, s4
	s_addc_u32 s7, s7, s5
	s_lshl_b64 s[4:5], s[12:13], 4
	s_add_u32 s44, s6, s4
	s_addc_u32 s45, s7, s5
.LBB141_7:
	s_mul_i32 s4, s8, s55
	s_mul_hi_u32 s5, s8, s54
	s_mul_i32 s6, s9, s54
	s_add_i32 s5, s5, s4
	s_mul_i32 s4, s8, s54
	s_add_i32 s5, s5, s6
	v_bfe_u32 v43, v0, 20, 10
	s_lshl_b64 s[50:51], s[4:5], 3
	s_load_b128 s[24:27], s[2:3], 0x0
	s_add_u32 s36, s52, s50
	s_addc_u32 s37, s53, s51
	s_lshr_b32 s4, s10, 16
	s_and_b32 s21, s10, 0xffff
	v_bfe_u32 v44, v0, 10, 10
	s_mul_i32 s46, s4, s21
	v_and_b32_e32 v45, 0x3ff, v0
	v_mul_lo_u32 v1, s46, v43
	s_and_b32 s5, s11, 0xffff
	v_mul_u32_u24_e32 v0, s21, v44
	s_mul_i32 s46, s46, s5
	s_delay_alu instid0(VALU_DEP_1) | instskip(SKIP_2) | instid1(VALU_DEP_1)
	v_add3_u32 v41, v0, v45, v1
	s_waitcnt lgkmcnt(0)
	s_cmp_lt_i32 s24, 1
	v_cmp_eq_u32_e64 s4, 0, v41
	s_cbranch_scc1 .LBB141_22
; %bb.8:
	s_mul_i32 s5, s8, s59
	s_mul_hi_u32 s6, s8, s58
	s_mul_i32 s7, s9, s58
	s_add_i32 s5, s6, s5
	s_mul_i32 s6, s8, s58
	s_add_i32 s7, s5, s7
	v_cmp_gt_u32_e64 s5, s25, v41
	s_lshl_b64 s[6:7], s[6:7], 3
	v_mov_b32_e32 v0, 0
	s_add_u32 s9, s56, s6
	s_addc_u32 s12, s57, s7
	s_add_i32 s13, s24, -1
	s_mov_b32 s7, 0
	s_cmp_lg_u32 s25, 0
	s_mov_b32 s16, s47
	s_cselect_b32 s14, -1, 0
	s_ashr_i32 s15, s47, 31
	s_mov_b32 s6, s7
	s_mov_b32 s42, s7
	s_branch .LBB141_11
.LBB141_9:                              ;   in Loop: Header=BB141_11 Depth=1
	s_or_b32 exec_lo, exec_lo, s17
.LBB141_10:                             ;   in Loop: Header=BB141_11 Depth=1
	s_add_i32 s6, s6, 1
	s_delay_alu instid0(SALU_CYCLE_1)
	s_cmp_eq_u32 s6, s24
	s_cbranch_scc1 .LBB141_23
.LBB141_11:                             ; =>This Loop Header: Depth=1
                                        ;     Child Loop BB141_18 Depth 2
	s_cmp_ge_i32 s6, s13
	s_cbranch_scc1 .LBB141_14
; %bb.12:                               ;   in Loop: Header=BB141_11 Depth=1
	s_lshl_b64 s[10:11], s[6:7], 3
	s_delay_alu instid0(SALU_CYCLE_1)
	s_add_u32 s10, s9, s10
	s_addc_u32 s11, s12, s11
	global_load_b64 v[1:2], v0, s[10:11]
	s_waitcnt vmcnt(0)
	v_cmp_eq_f64_e32 vcc_lo, 0, v[1:2]
	s_cbranch_vccnz .LBB141_14
; %bb.13:                               ;   in Loop: Header=BB141_11 Depth=1
	s_add_i32 s42, s42, 1
.LBB141_14:                             ;   in Loop: Header=BB141_11 Depth=1
	s_lshl_b64 s[10:11], s[6:7], 3
	s_delay_alu instid0(SALU_CYCLE_1)
	s_add_u32 s10, s36, s10
	s_addc_u32 s11, s37, s11
	global_load_b64 v[1:2], v0, s[10:11]
	s_waitcnt vmcnt(0)
	v_cmp_ngt_f64_e32 vcc_lo, 0, v[1:2]
	s_cbranch_vccnz .LBB141_10
; %bb.15:                               ;   in Loop: Header=BB141_11 Depth=1
	s_and_not1_b32 vcc_lo, exec_lo, s14
	s_cbranch_vccnz .LBB141_20
; %bb.16:                               ;   in Loop: Header=BB141_11 Depth=1
	s_and_saveexec_b32 s17, s5
	s_cbranch_execz .LBB141_19
; %bb.17:                               ;   in Loop: Header=BB141_11 Depth=1
	v_mov_b32_e32 v1, v41
	s_mov_b32 s18, 0
	.p2align	6
.LBB141_18:                             ;   Parent Loop BB141_11 Depth=1
                                        ; =>  This Inner Loop Header: Depth=2
	s_delay_alu instid0(VALU_DEP_1) | instskip(NEXT) | instid1(VALU_DEP_1)
	v_mad_u64_u32 v[2:3], null, v1, s16, s[6:7]
	v_mad_u64_u32 v[4:5], null, v1, s15, v[3:4]
	v_add_nc_u32_e32 v1, s46, v1
	s_delay_alu instid0(VALU_DEP_2) | instskip(NEXT) | instid1(VALU_DEP_1)
	v_mov_b32_e32 v3, v4
	v_lshlrev_b64 v[2:3], 4, v[2:3]
	s_delay_alu instid0(VALU_DEP_1) | instskip(NEXT) | instid1(VALU_DEP_2)
	v_add_co_u32 v6, vcc_lo, s34, v2
	v_add_co_ci_u32_e32 v7, vcc_lo, s35, v3, vcc_lo
	v_cmp_le_u32_e32 vcc_lo, s25, v1
	flat_load_b128 v[2:5], v[6:7]
	s_or_b32 s18, vcc_lo, s18
	s_waitcnt vmcnt(0) lgkmcnt(0)
	v_xor_b32_e32 v3, 0x80000000, v3
	v_xor_b32_e32 v5, 0x80000000, v5
	flat_store_b128 v[6:7], v[2:5]
	s_and_not1_b32 exec_lo, exec_lo, s18
	s_cbranch_execnz .LBB141_18
.LBB141_19:                             ;   in Loop: Header=BB141_11 Depth=1
	s_or_b32 exec_lo, exec_lo, s17
	s_waitcnt lgkmcnt(0)
	s_waitcnt_vscnt null, 0x0
	s_barrier
	buffer_gl0_inv
.LBB141_20:                             ;   in Loop: Header=BB141_11 Depth=1
	s_and_saveexec_b32 s17, s4
	s_cbranch_execz .LBB141_9
; %bb.21:                               ;   in Loop: Header=BB141_11 Depth=1
	global_load_b64 v[1:2], v0, s[10:11]
	s_waitcnt vmcnt(0)
	v_xor_b32_e32 v2, 0x80000000, v2
	global_store_b64 v0, v[1:2], s[10:11]
	s_branch .LBB141_9
.LBB141_22:
	s_mov_b32 s42, 0
.LBB141_23:
	s_delay_alu instid0(SALU_CYCLE_1)
	s_cmp_lt_i32 s42, 1
	s_mov_b32 s4, -1
	s_cbranch_scc0 .LBB141_257
; %bb.24:
	s_load_b64 s[0:1], s[0:1], 0x4
	s_mul_i32 s4, s8, s24
	s_mov_b32 s54, 0
	s_lshl_b32 s4, s4, 1
	s_waitcnt lgkmcnt(0)
	s_waitcnt_vscnt null, 0x0
	s_ashr_i32 s5, s4, 31
	s_barrier
	s_lshl_b64 s[4:5], s[4:5], 2
	buffer_gl0_inv
	s_add_u32 s4, s40, s4
	s_addc_u32 s5, s41, s5
	s_cmp_lg_u64 s[40:41], 0
	s_cselect_b32 s41, s5, 0
	s_cselect_b32 s40, s4, 0
	s_lshr_b32 s0, s0, 16
	v_mul_u32_u24_e32 v1, s1, v44
	s_mul_i32 s0, s0, s1
	s_cmp_lg_u64 s[40:41], 0
	v_mul_lo_u32 v0, s0, v45
	s_delay_alu instid0(VALU_DEP_1)
	v_add3_u32 v42, v0, v1, v43
	s_cbranch_scc0 .LBB141_38
; %bb.25:
	s_or_b32 s0, s26, s25
	s_delay_alu instid0(SALU_CYCLE_1) | instskip(SKIP_4) | instid1(SALU_CYCLE_1)
	s_or_b32 s0, s0, s27
	s_cmp_gt_i32 s24, 0
	s_cselect_b32 s57, -1, 0
	s_cmp_lg_u64 s[52:53], 0
	s_cselect_b32 s1, -1, 0
	s_and_b32 s48, s57, s1
	s_cmp_eq_u32 s0, 0
	s_cbranch_scc1 .LBB141_39
; %bb.26:
	s_mov_b32 s58, -1
	s_mov_b32 s56, 0
	s_and_b32 vcc_lo, exec_lo, s48
	s_cbranch_vccz .LBB141_117
; %bb.27:
	s_mov_b32 s0, exec_lo
	s_barrier
	buffer_gl0_inv
	v_cmpx_gt_u32_e64 s24, v41
	s_cbranch_execz .LBB141_30
; %bb.28:
	v_dual_mov_b32 v1, 0 :: v_dual_mov_b32 v0, v41
	s_mov_b32 s1, 0
.LBB141_29:                             ; =>This Inner Loop Header: Depth=1
	s_delay_alu instid0(VALU_DEP_1) | instskip(NEXT) | instid1(VALU_DEP_1)
	v_lshlrev_b64 v[2:3], 2, v[0:1]
	v_add_co_u32 v2, vcc_lo, s40, v2
	s_delay_alu instid0(VALU_DEP_2) | instskip(SKIP_2) | instid1(VALU_DEP_1)
	v_add_co_ci_u32_e32 v3, vcc_lo, s41, v3, vcc_lo
	global_store_b32 v[2:3], v0, off
	v_add_nc_u32_e32 v0, s46, v0
	v_cmp_le_u32_e32 vcc_lo, s24, v0
	s_or_b32 s1, vcc_lo, s1
	s_delay_alu instid0(SALU_CYCLE_1)
	s_and_not1_b32 exec_lo, exec_lo, s1
	s_cbranch_execnz .LBB141_29
.LBB141_30:
	s_or_b32 exec_lo, exec_lo, s0
	v_or3_b32 v0, v44, v43, v45
	s_mov_b32 s20, exec_lo
	s_waitcnt_vscnt null, 0x0
	s_barrier
	buffer_gl0_inv
	v_cmpx_eq_u32_e32 0, v0
	s_cbranch_execz .LBB141_101
; %bb.31:
	s_cmpk_lt_i32 s24, 0x2be
	s_cbranch_scc1 .LBB141_40
; %bb.32:
	v_dual_mov_b32 v4, 0 :: v_dual_mov_b32 v5, 0x1000
	s_add_u32 s0, s40, 0xaf4
	s_mov_b64 s[4:5], 0x2bd
	s_addc_u32 s1, s41, 0
	s_mov_b32 s7, 0
	s_mov_b64 s[8:9], s[36:37]
	s_branch .LBB141_34
.LBB141_33:                             ;   in Loop: Header=BB141_34 Depth=1
	s_lshl_b64 s[10:11], s[16:17], 3
	s_delay_alu instid0(SALU_CYCLE_1) | instskip(SKIP_2) | instid1(SALU_CYCLE_1)
	s_add_u32 s10, s36, s10
	s_addc_u32 s11, s37, s11
	s_lshl_b64 s[12:13], s[16:17], 2
	s_add_u32 s12, s40, s12
	s_addc_u32 s13, s41, s13
	s_add_u32 s4, s4, 1
	s_addc_u32 s5, s5, 0
	;; [unrolled: 2-line block ×4, first 2 shown]
	s_cmp_eq_u32 s4, s24
	s_clause 0x1
	global_store_b64 v4, v[0:1], s[10:11]
	global_store_b32 v4, v6, s[12:13]
	s_cbranch_scc1 .LBB141_40
.LBB141_34:                             ; =>This Loop Header: Depth=1
                                        ;     Child Loop BB141_36 Depth 2
	s_mov_b32 s6, s4
	s_mov_b64 s[14:15], s[0:1]
	s_lshl_b64 s[10:11], s[6:7], 3
	s_delay_alu instid0(SALU_CYCLE_1) | instskip(SKIP_2) | instid1(SALU_CYCLE_1)
	s_add_u32 s10, s36, s10
	s_addc_u32 s11, s37, s11
	s_lshl_b64 s[12:13], s[6:7], 2
	s_add_u32 s12, s40, s12
	s_addc_u32 s13, s41, s13
	s_clause 0x1
	global_load_b64 v[0:1], v4, s[10:11]
	global_load_b32 v6, v4, s[12:13]
	s_mov_b64 s[12:13], s[8:9]
	s_mov_b64 s[10:11], s[4:5]
	s_branch .LBB141_36
	.p2align	6
.LBB141_35:                             ;   in Loop: Header=BB141_36 Depth=2
	global_load_b32 v7, v4, s[14:15] offset:-2804
	s_add_u32 s18, s14, 0xfffff50c
	s_addc_u32 s19, s15, -1
	s_add_u32 s16, s10, 0xfffffd43
	s_addc_u32 s17, s11, -1
	global_store_b64 v5, v[2:3], s[12:13] offset:1512
	s_add_u32 s12, s12, 0xffffea18
	s_addc_u32 s13, s13, -1
	s_cmpk_lt_i32 s10, 0x57a
	s_mov_b64 s[10:11], s[16:17]
	s_cselect_b32 s6, -1, 0
	s_waitcnt vmcnt(0)
	global_store_b32 v4, v7, s[14:15]
	s_mov_b64 s[14:15], s[18:19]
	s_and_not1_b32 vcc_lo, exec_lo, s6
	s_cbranch_vccz .LBB141_33
.LBB141_36:                             ;   Parent Loop BB141_34 Depth=1
                                        ; =>  This Inner Loop Header: Depth=2
	global_load_b64 v[2:3], v4, s[12:13]
	s_mov_b32 s6, -1
	s_waitcnt vmcnt(0)
	v_cmp_nlt_f64_e32 vcc_lo, v[2:3], v[0:1]
	s_cbranch_vccz .LBB141_35
; %bb.37:                               ;   in Loop: Header=BB141_36 Depth=2
	s_mov_b64 s[16:17], s[10:11]
                                        ; implicit-def: $sgpr12_sgpr13
                                        ; implicit-def: $sgpr14_sgpr15
	s_and_not1_b32 vcc_lo, exec_lo, s6
	s_cbranch_vccnz .LBB141_36
	s_branch .LBB141_33
.LBB141_38:
	s_branch .LBB141_233
.LBB141_39:
	s_mov_b32 s56, 0
	s_cbranch_execnz .LBB141_142
	s_branch .LBB141_228
.LBB141_40:
	s_cmpk_lt_i32 s24, 0x12e
	s_cbranch_scc1 .LBB141_49
; %bb.41:
	v_mov_b32_e32 v4, 0
	s_add_u32 s0, s40, 0x4b4
	s_mov_b64 s[4:5], 0x12d
	s_addc_u32 s1, s41, 0
	s_mov_b32 s7, 0
	s_mov_b64 s[8:9], s[36:37]
	s_branch .LBB141_43
.LBB141_42:                             ;   in Loop: Header=BB141_43 Depth=1
	s_lshl_b64 s[12:13], s[10:11], 3
	s_delay_alu instid0(SALU_CYCLE_1) | instskip(SKIP_2) | instid1(SALU_CYCLE_1)
	s_add_u32 s12, s36, s12
	s_addc_u32 s13, s37, s13
	s_lshl_b64 s[10:11], s[10:11], 2
	s_add_u32 s10, s40, s10
	s_addc_u32 s11, s41, s11
	s_add_u32 s4, s4, 1
	s_addc_u32 s5, s5, 0
	;; [unrolled: 2-line block ×4, first 2 shown]
	s_cmp_lg_u32 s4, s24
	s_clause 0x1
	global_store_b64 v4, v[0:1], s[12:13]
	global_store_b32 v4, v5, s[10:11]
	s_cbranch_scc0 .LBB141_49
.LBB141_43:                             ; =>This Loop Header: Depth=1
                                        ;     Child Loop BB141_45 Depth 2
	s_mov_b32 s6, s4
	s_mov_b64 s[14:15], s[0:1]
	s_lshl_b64 s[10:11], s[6:7], 3
	s_delay_alu instid0(SALU_CYCLE_1) | instskip(SKIP_2) | instid1(SALU_CYCLE_1)
	s_add_u32 s10, s36, s10
	s_addc_u32 s11, s37, s11
	s_lshl_b64 s[12:13], s[6:7], 2
	s_add_u32 s12, s40, s12
	s_addc_u32 s13, s41, s13
	s_clause 0x1
	global_load_b64 v[0:1], v4, s[10:11]
	global_load_b32 v5, v4, s[12:13]
	s_mov_b64 s[12:13], s[8:9]
	s_mov_b64 s[10:11], s[4:5]
	s_branch .LBB141_45
	.p2align	6
.LBB141_44:                             ;   in Loop: Header=BB141_45 Depth=2
	global_load_b32 v6, v4, s[14:15] offset:-1204
	s_add_u32 s30, s14, 0xfffffb4c
	s_addc_u32 s31, s15, -1
	s_add_u32 s16, s10, 0xfffffed3
	s_addc_u32 s17, s11, -1
	global_store_b64 v4, v[2:3], s[12:13] offset:2408
	s_add_u32 s12, s12, 0xfffff698
	s_addc_u32 s13, s13, -1
	s_cmpk_lt_i32 s10, 0x25a
	s_mov_b32 s6, 0
	s_mov_b64 s[10:11], s[16:17]
	s_cselect_b32 s18, -1, 0
	s_waitcnt vmcnt(0)
	global_store_b32 v4, v6, s[14:15]
	s_mov_b64 s[14:15], s[30:31]
	s_and_not1_b32 vcc_lo, exec_lo, s18
	s_cbranch_vccz .LBB141_47
.LBB141_45:                             ;   Parent Loop BB141_43 Depth=1
                                        ; =>  This Inner Loop Header: Depth=2
	global_load_b64 v[2:3], v4, s[12:13]
	s_mov_b32 s6, -1
	s_waitcnt vmcnt(0)
	v_cmp_nlt_f64_e32 vcc_lo, v[2:3], v[0:1]
	s_cbranch_vccz .LBB141_44
; %bb.46:                               ;   in Loop: Header=BB141_43 Depth=1
                                        ; implicit-def: $sgpr14_sgpr15
                                        ; implicit-def: $sgpr12_sgpr13
                                        ; implicit-def: $sgpr16_sgpr17
.LBB141_47:                             ;   in Loop: Header=BB141_43 Depth=1
	s_and_not1_b32 vcc_lo, exec_lo, s6
	s_cbranch_vccz .LBB141_42
; %bb.48:                               ;   in Loop: Header=BB141_43 Depth=1
	s_bfe_i64 s[10:11], s[16:17], 0x200000
	s_branch .LBB141_42
.LBB141_49:
	s_cmpk_lt_i32 s24, 0x85
	s_cbranch_scc1 .LBB141_58
; %bb.50:
	v_mov_b32_e32 v4, 0
	s_add_u32 s0, s40, 0x210
	s_mov_b64 s[4:5], 0x84
	s_addc_u32 s1, s41, 0
	s_mov_b32 s7, 0
	s_mov_b64 s[8:9], s[36:37]
	s_branch .LBB141_52
.LBB141_51:                             ;   in Loop: Header=BB141_52 Depth=1
	s_lshl_b64 s[12:13], s[10:11], 3
	s_delay_alu instid0(SALU_CYCLE_1) | instskip(SKIP_2) | instid1(SALU_CYCLE_1)
	s_add_u32 s12, s36, s12
	s_addc_u32 s13, s37, s13
	s_lshl_b64 s[10:11], s[10:11], 2
	s_add_u32 s10, s40, s10
	s_addc_u32 s11, s41, s11
	s_add_u32 s4, s4, 1
	s_addc_u32 s5, s5, 0
	;; [unrolled: 2-line block ×4, first 2 shown]
	s_cmp_lg_u32 s4, s24
	s_clause 0x1
	global_store_b64 v4, v[0:1], s[12:13]
	global_store_b32 v4, v5, s[10:11]
	s_cbranch_scc0 .LBB141_58
.LBB141_52:                             ; =>This Loop Header: Depth=1
                                        ;     Child Loop BB141_54 Depth 2
	s_mov_b32 s6, s4
	s_mov_b64 s[14:15], s[0:1]
	s_lshl_b64 s[10:11], s[6:7], 3
	s_delay_alu instid0(SALU_CYCLE_1) | instskip(SKIP_2) | instid1(SALU_CYCLE_1)
	s_add_u32 s10, s36, s10
	s_addc_u32 s11, s37, s11
	s_lshl_b64 s[12:13], s[6:7], 2
	s_add_u32 s12, s40, s12
	s_addc_u32 s13, s41, s13
	s_clause 0x1
	global_load_b64 v[0:1], v4, s[10:11]
	global_load_b32 v5, v4, s[12:13]
	s_mov_b64 s[12:13], s[8:9]
	s_mov_b64 s[10:11], s[4:5]
	s_branch .LBB141_54
	.p2align	6
.LBB141_53:                             ;   in Loop: Header=BB141_54 Depth=2
	global_load_b32 v6, v4, s[14:15] offset:-528
	s_add_u32 s30, s14, 0xfffffdf0
	s_addc_u32 s31, s15, -1
	s_add_u32 s16, s10, 0xffffff7c
	s_addc_u32 s17, s11, -1
	global_store_b64 v4, v[2:3], s[12:13] offset:1056
	s_add_u32 s12, s12, 0xfffffbe0
	s_addc_u32 s13, s13, -1
	s_cmpk_lt_i32 s10, 0x108
	s_mov_b32 s6, 0
	s_mov_b64 s[10:11], s[16:17]
	s_cselect_b32 s18, -1, 0
	s_waitcnt vmcnt(0)
	global_store_b32 v4, v6, s[14:15]
	s_mov_b64 s[14:15], s[30:31]
	s_and_not1_b32 vcc_lo, exec_lo, s18
	s_cbranch_vccz .LBB141_56
.LBB141_54:                             ;   Parent Loop BB141_52 Depth=1
                                        ; =>  This Inner Loop Header: Depth=2
	global_load_b64 v[2:3], v4, s[12:13]
	s_mov_b32 s6, -1
	s_waitcnt vmcnt(0)
	v_cmp_nlt_f64_e32 vcc_lo, v[2:3], v[0:1]
	s_cbranch_vccz .LBB141_53
; %bb.55:                               ;   in Loop: Header=BB141_52 Depth=1
                                        ; implicit-def: $sgpr14_sgpr15
                                        ; implicit-def: $sgpr12_sgpr13
                                        ; implicit-def: $sgpr16_sgpr17
.LBB141_56:                             ;   in Loop: Header=BB141_52 Depth=1
	s_and_not1_b32 vcc_lo, exec_lo, s6
	s_cbranch_vccz .LBB141_51
; %bb.57:                               ;   in Loop: Header=BB141_52 Depth=1
	s_bfe_i64 s[10:11], s[16:17], 0x200000
	s_branch .LBB141_51
.LBB141_58:
	s_cmp_lt_i32 s24, 58
	s_cbranch_scc1 .LBB141_67
; %bb.59:
	v_mov_b32_e32 v4, 0
	s_add_u32 s0, s40, 0xe4
	s_addc_u32 s1, s41, 0
	s_mov_b64 s[4:5], 57
	s_mov_b32 s7, 0
	s_mov_b64 s[8:9], s[36:37]
	s_branch .LBB141_61
.LBB141_60:                             ;   in Loop: Header=BB141_61 Depth=1
	s_lshl_b64 s[12:13], s[10:11], 3
	s_delay_alu instid0(SALU_CYCLE_1) | instskip(SKIP_2) | instid1(SALU_CYCLE_1)
	s_add_u32 s12, s36, s12
	s_addc_u32 s13, s37, s13
	s_lshl_b64 s[10:11], s[10:11], 2
	s_add_u32 s10, s40, s10
	s_addc_u32 s11, s41, s11
	s_add_u32 s4, s4, 1
	s_addc_u32 s5, s5, 0
	;; [unrolled: 2-line block ×4, first 2 shown]
	s_cmp_lg_u32 s4, s24
	s_clause 0x1
	global_store_b64 v4, v[0:1], s[12:13]
	global_store_b32 v4, v5, s[10:11]
	s_cbranch_scc0 .LBB141_67
.LBB141_61:                             ; =>This Loop Header: Depth=1
                                        ;     Child Loop BB141_63 Depth 2
	s_mov_b32 s6, s4
	s_mov_b64 s[14:15], s[0:1]
	s_lshl_b64 s[10:11], s[6:7], 3
	s_delay_alu instid0(SALU_CYCLE_1) | instskip(SKIP_2) | instid1(SALU_CYCLE_1)
	s_add_u32 s10, s36, s10
	s_addc_u32 s11, s37, s11
	s_lshl_b64 s[12:13], s[6:7], 2
	s_add_u32 s12, s40, s12
	s_addc_u32 s13, s41, s13
	s_clause 0x1
	global_load_b64 v[0:1], v4, s[10:11]
	global_load_b32 v5, v4, s[12:13]
	s_mov_b64 s[12:13], s[8:9]
	s_mov_b64 s[10:11], s[4:5]
	s_branch .LBB141_63
	.p2align	6
.LBB141_62:                             ;   in Loop: Header=BB141_63 Depth=2
	global_load_b32 v6, v4, s[14:15] offset:-228
	s_add_u32 s30, s14, 0xffffff1c
	s_addc_u32 s31, s15, -1
	s_add_u32 s16, s10, 0xffffffc7
	s_addc_u32 s17, s11, -1
	global_store_b64 v4, v[2:3], s[12:13] offset:456
	s_add_u32 s12, s12, 0xfffffe38
	s_addc_u32 s13, s13, -1
	s_cmpk_lt_i32 s10, 0x72
	s_mov_b32 s6, 0
	s_mov_b64 s[10:11], s[16:17]
	s_cselect_b32 s18, -1, 0
	s_waitcnt vmcnt(0)
	global_store_b32 v4, v6, s[14:15]
	s_mov_b64 s[14:15], s[30:31]
	s_and_not1_b32 vcc_lo, exec_lo, s18
	s_cbranch_vccz .LBB141_65
.LBB141_63:                             ;   Parent Loop BB141_61 Depth=1
                                        ; =>  This Inner Loop Header: Depth=2
	global_load_b64 v[2:3], v4, s[12:13]
	s_mov_b32 s6, -1
	s_waitcnt vmcnt(0)
	v_cmp_nlt_f64_e32 vcc_lo, v[2:3], v[0:1]
	s_cbranch_vccz .LBB141_62
; %bb.64:                               ;   in Loop: Header=BB141_61 Depth=1
                                        ; implicit-def: $sgpr14_sgpr15
                                        ; implicit-def: $sgpr12_sgpr13
                                        ; implicit-def: $sgpr16_sgpr17
.LBB141_65:                             ;   in Loop: Header=BB141_61 Depth=1
	s_and_not1_b32 vcc_lo, exec_lo, s6
	s_cbranch_vccz .LBB141_60
; %bb.66:                               ;   in Loop: Header=BB141_61 Depth=1
	s_bfe_i64 s[10:11], s[16:17], 0x200000
	s_branch .LBB141_60
.LBB141_67:
	s_cmp_lt_i32 s24, 24
	s_cbranch_scc1 .LBB141_76
; %bb.68:
	v_mov_b32_e32 v4, 0
	s_add_u32 s0, s40, 0x5c
	s_addc_u32 s1, s41, 0
	s_mov_b64 s[4:5], 23
	s_mov_b32 s7, 0
	s_mov_b64 s[8:9], s[36:37]
	s_branch .LBB141_70
.LBB141_69:                             ;   in Loop: Header=BB141_70 Depth=1
	s_lshl_b64 s[12:13], s[10:11], 3
	s_delay_alu instid0(SALU_CYCLE_1) | instskip(SKIP_2) | instid1(SALU_CYCLE_1)
	s_add_u32 s12, s36, s12
	s_addc_u32 s13, s37, s13
	s_lshl_b64 s[10:11], s[10:11], 2
	s_add_u32 s10, s40, s10
	s_addc_u32 s11, s41, s11
	s_add_u32 s4, s4, 1
	s_addc_u32 s5, s5, 0
	;; [unrolled: 2-line block ×4, first 2 shown]
	s_cmp_lg_u32 s4, s24
	s_clause 0x1
	global_store_b64 v4, v[0:1], s[12:13]
	global_store_b32 v4, v5, s[10:11]
	s_cbranch_scc0 .LBB141_76
.LBB141_70:                             ; =>This Loop Header: Depth=1
                                        ;     Child Loop BB141_72 Depth 2
	s_mov_b32 s6, s4
	s_mov_b64 s[14:15], s[0:1]
	s_lshl_b64 s[10:11], s[6:7], 3
	s_delay_alu instid0(SALU_CYCLE_1) | instskip(SKIP_2) | instid1(SALU_CYCLE_1)
	s_add_u32 s10, s36, s10
	s_addc_u32 s11, s37, s11
	s_lshl_b64 s[12:13], s[6:7], 2
	s_add_u32 s12, s40, s12
	s_addc_u32 s13, s41, s13
	s_clause 0x1
	global_load_b64 v[0:1], v4, s[10:11]
	global_load_b32 v5, v4, s[12:13]
	s_mov_b64 s[12:13], s[8:9]
	s_mov_b64 s[10:11], s[4:5]
	s_branch .LBB141_72
	.p2align	6
.LBB141_71:                             ;   in Loop: Header=BB141_72 Depth=2
	global_load_b32 v6, v4, s[14:15] offset:-92
	s_add_u32 s30, s14, 0xffffffa4
	s_addc_u32 s31, s15, -1
	s_add_u32 s16, s10, 0xffffffe9
	s_addc_u32 s17, s11, -1
	global_store_b64 v4, v[2:3], s[12:13] offset:184
	s_add_u32 s12, s12, 0xffffff48
	s_addc_u32 s13, s13, -1
	s_cmp_lt_i32 s10, 46
	s_mov_b32 s6, 0
	s_mov_b64 s[10:11], s[16:17]
	s_cselect_b32 s18, -1, 0
	s_waitcnt vmcnt(0)
	global_store_b32 v4, v6, s[14:15]
	s_mov_b64 s[14:15], s[30:31]
	s_and_not1_b32 vcc_lo, exec_lo, s18
	s_cbranch_vccz .LBB141_74
.LBB141_72:                             ;   Parent Loop BB141_70 Depth=1
                                        ; =>  This Inner Loop Header: Depth=2
	global_load_b64 v[2:3], v4, s[12:13]
	s_mov_b32 s6, -1
	s_waitcnt vmcnt(0)
	v_cmp_nlt_f64_e32 vcc_lo, v[2:3], v[0:1]
	s_cbranch_vccz .LBB141_71
; %bb.73:                               ;   in Loop: Header=BB141_70 Depth=1
                                        ; implicit-def: $sgpr14_sgpr15
                                        ; implicit-def: $sgpr12_sgpr13
                                        ; implicit-def: $sgpr16_sgpr17
.LBB141_74:                             ;   in Loop: Header=BB141_70 Depth=1
	s_and_not1_b32 vcc_lo, exec_lo, s6
	s_cbranch_vccz .LBB141_69
; %bb.75:                               ;   in Loop: Header=BB141_70 Depth=1
	s_bfe_i64 s[10:11], s[16:17], 0x200000
	s_branch .LBB141_69
.LBB141_76:
	s_cmp_lt_i32 s24, 11
	s_cbranch_scc1 .LBB141_85
; %bb.77:
	v_mov_b32_e32 v4, 0
	s_add_u32 s0, s40, 40
	s_addc_u32 s1, s41, 0
	s_mov_b64 s[4:5], 10
	s_mov_b32 s7, 0
	s_mov_b64 s[8:9], s[36:37]
	s_branch .LBB141_79
.LBB141_78:                             ;   in Loop: Header=BB141_79 Depth=1
	s_lshl_b64 s[12:13], s[10:11], 3
	s_delay_alu instid0(SALU_CYCLE_1) | instskip(SKIP_2) | instid1(SALU_CYCLE_1)
	s_add_u32 s12, s36, s12
	s_addc_u32 s13, s37, s13
	s_lshl_b64 s[10:11], s[10:11], 2
	s_add_u32 s10, s40, s10
	s_addc_u32 s11, s41, s11
	s_add_u32 s4, s4, 1
	s_addc_u32 s5, s5, 0
	;; [unrolled: 2-line block ×4, first 2 shown]
	s_cmp_lg_u32 s4, s24
	s_clause 0x1
	global_store_b64 v4, v[0:1], s[12:13]
	global_store_b32 v4, v5, s[10:11]
	s_cbranch_scc0 .LBB141_85
.LBB141_79:                             ; =>This Loop Header: Depth=1
                                        ;     Child Loop BB141_81 Depth 2
	s_mov_b32 s6, s4
	s_mov_b64 s[14:15], s[0:1]
	s_lshl_b64 s[10:11], s[6:7], 3
	s_delay_alu instid0(SALU_CYCLE_1) | instskip(SKIP_2) | instid1(SALU_CYCLE_1)
	s_add_u32 s10, s36, s10
	s_addc_u32 s11, s37, s11
	s_lshl_b64 s[12:13], s[6:7], 2
	s_add_u32 s12, s40, s12
	s_addc_u32 s13, s41, s13
	s_clause 0x1
	global_load_b64 v[0:1], v4, s[10:11]
	global_load_b32 v5, v4, s[12:13]
	s_mov_b64 s[12:13], s[8:9]
	s_mov_b64 s[10:11], s[4:5]
	s_branch .LBB141_81
	.p2align	6
.LBB141_80:                             ;   in Loop: Header=BB141_81 Depth=2
	global_load_b32 v6, v4, s[14:15] offset:-40
	s_add_u32 s30, s14, 0xffffffd8
	s_addc_u32 s31, s15, -1
	s_add_u32 s16, s10, -10
	s_addc_u32 s17, s11, -1
	global_store_b64 v4, v[2:3], s[12:13] offset:80
	s_add_u32 s12, s12, 0xffffffb0
	s_addc_u32 s13, s13, -1
	s_cmp_lt_i32 s10, 20
	s_mov_b32 s6, 0
	s_mov_b64 s[10:11], s[16:17]
	s_cselect_b32 s18, -1, 0
	s_waitcnt vmcnt(0)
	global_store_b32 v4, v6, s[14:15]
	s_mov_b64 s[14:15], s[30:31]
	s_and_not1_b32 vcc_lo, exec_lo, s18
	s_cbranch_vccz .LBB141_83
.LBB141_81:                             ;   Parent Loop BB141_79 Depth=1
                                        ; =>  This Inner Loop Header: Depth=2
	global_load_b64 v[2:3], v4, s[12:13]
	s_mov_b32 s6, -1
	s_waitcnt vmcnt(0)
	v_cmp_nlt_f64_e32 vcc_lo, v[2:3], v[0:1]
	s_cbranch_vccz .LBB141_80
; %bb.82:                               ;   in Loop: Header=BB141_79 Depth=1
                                        ; implicit-def: $sgpr14_sgpr15
                                        ; implicit-def: $sgpr12_sgpr13
                                        ; implicit-def: $sgpr16_sgpr17
.LBB141_83:                             ;   in Loop: Header=BB141_79 Depth=1
	s_and_not1_b32 vcc_lo, exec_lo, s6
	s_cbranch_vccz .LBB141_78
; %bb.84:                               ;   in Loop: Header=BB141_79 Depth=1
	s_bfe_i64 s[10:11], s[16:17], 0x200000
	s_branch .LBB141_78
.LBB141_85:
	s_cmp_lt_i32 s24, 5
	s_cbranch_scc1 .LBB141_94
; %bb.86:
	s_add_u32 s0, s40, 16
	s_addc_u32 s1, s41, 0
	s_add_u32 s4, s50, s52
	v_mov_b32_e32 v4, 0
	s_addc_u32 s5, s51, s53
	s_add_u32 s4, s4, 32
	s_addc_u32 s5, s5, 0
	s_mov_b64 s[6:7], 4
	s_mov_b32 s9, 0
	s_branch .LBB141_88
.LBB141_87:                             ;   in Loop: Header=BB141_88 Depth=1
	s_lshl_b64 s[12:13], s[10:11], 3
	s_delay_alu instid0(SALU_CYCLE_1) | instskip(SKIP_2) | instid1(SALU_CYCLE_1)
	s_add_u32 s12, s36, s12
	s_addc_u32 s13, s37, s13
	s_lshl_b64 s[10:11], s[10:11], 2
	s_add_u32 s10, s40, s10
	s_addc_u32 s11, s41, s11
	s_add_u32 s6, s6, 1
	s_addc_u32 s7, s7, 0
	s_add_u32 s0, s0, 4
	s_addc_u32 s1, s1, 0
	s_add_u32 s4, s4, 8
	s_addc_u32 s5, s5, 0
	s_cmp_lg_u32 s6, s24
	s_clause 0x1
	global_store_b64 v4, v[0:1], s[12:13]
	global_store_b32 v4, v5, s[10:11]
	s_cbranch_scc0 .LBB141_94
.LBB141_88:                             ; =>This Loop Header: Depth=1
                                        ;     Child Loop BB141_90 Depth 2
	s_mov_b32 s8, s6
	s_mov_b64 s[14:15], s[4:5]
	s_lshl_b64 s[10:11], s[8:9], 3
	s_delay_alu instid0(SALU_CYCLE_1) | instskip(SKIP_2) | instid1(SALU_CYCLE_1)
	s_add_u32 s10, s36, s10
	s_addc_u32 s11, s37, s11
	s_lshl_b64 s[12:13], s[8:9], 2
	s_add_u32 s12, s40, s12
	s_addc_u32 s13, s41, s13
	s_clause 0x1
	global_load_b64 v[0:1], v4, s[10:11]
	global_load_b32 v5, v4, s[12:13]
	s_mov_b64 s[12:13], s[0:1]
	s_mov_b64 s[10:11], s[6:7]
	s_branch .LBB141_90
	.p2align	6
.LBB141_89:                             ;   in Loop: Header=BB141_90 Depth=2
	global_load_b32 v6, v4, s[12:13] offset:-16
	s_add_u32 s54, s12, -16
	s_addc_u32 s55, s13, -1
	s_add_u32 s16, s10, -4
	s_addc_u32 s17, s11, -1
	s_cmp_lt_i32 s10, 8
	s_mov_b32 s8, 0
	s_mov_b64 s[10:11], s[16:17]
	s_cselect_b32 s30, -1, 0
	global_store_b64 v4, v[2:3], s[14:15]
	s_waitcnt vmcnt(0)
	global_store_b32 v4, v6, s[12:13]
	s_mov_b64 s[12:13], s[54:55]
	s_mov_b64 s[14:15], s[18:19]
	s_and_not1_b32 vcc_lo, exec_lo, s30
	s_cbranch_vccz .LBB141_92
.LBB141_90:                             ;   Parent Loop BB141_88 Depth=1
                                        ; =>  This Inner Loop Header: Depth=2
	global_load_b64 v[2:3], v4, s[14:15] offset:-32
	s_add_u32 s18, s14, 0xffffffe0
	s_addc_u32 s19, s15, -1
	s_mov_b32 s8, -1
	s_waitcnt vmcnt(0)
	v_cmp_nlt_f64_e32 vcc_lo, v[2:3], v[0:1]
	s_cbranch_vccz .LBB141_89
; %bb.91:                               ;   in Loop: Header=BB141_88 Depth=1
                                        ; implicit-def: $sgpr12_sgpr13
                                        ; implicit-def: $sgpr14_sgpr15
                                        ; implicit-def: $sgpr16_sgpr17
.LBB141_92:                             ;   in Loop: Header=BB141_88 Depth=1
	s_and_not1_b32 vcc_lo, exec_lo, s8
	s_cbranch_vccz .LBB141_87
; %bb.93:                               ;   in Loop: Header=BB141_88 Depth=1
	s_bfe_i64 s[10:11], s[16:17], 0x200000
	s_branch .LBB141_87
.LBB141_94:
	s_cmp_lt_i32 s24, 2
	s_cbranch_scc1 .LBB141_101
; %bb.95:
	s_add_u32 s0, s40, 4
	s_addc_u32 s1, s41, 0
	s_add_u32 s4, s50, s52
	v_mov_b32_e32 v4, 0
	s_addc_u32 s5, s51, s53
	s_add_u32 s4, s4, 8
	s_addc_u32 s5, s5, 0
	s_mov_b64 s[6:7], 1
	s_mov_b32 s9, 0
	s_branch .LBB141_97
.LBB141_96:                             ;   in Loop: Header=BB141_97 Depth=1
	s_lshl_b64 s[10:11], s[16:17], 3
	s_delay_alu instid0(SALU_CYCLE_1) | instskip(SKIP_2) | instid1(SALU_CYCLE_1)
	s_add_u32 s10, s36, s10
	s_addc_u32 s11, s37, s11
	s_lshl_b64 s[12:13], s[16:17], 2
	s_add_u32 s12, s40, s12
	s_addc_u32 s13, s41, s13
	s_add_u32 s6, s6, 1
	s_addc_u32 s7, s7, 0
	;; [unrolled: 2-line block ×4, first 2 shown]
	s_cmp_eq_u32 s6, s24
	s_clause 0x1
	global_store_b64 v4, v[0:1], s[10:11]
	global_store_b32 v4, v5, s[12:13]
	s_cbranch_scc1 .LBB141_101
.LBB141_97:                             ; =>This Loop Header: Depth=1
                                        ;     Child Loop BB141_99 Depth 2
	s_mov_b32 s8, s6
	s_mov_b64 s[14:15], s[4:5]
	s_lshl_b64 s[10:11], s[8:9], 3
	s_delay_alu instid0(SALU_CYCLE_1) | instskip(SKIP_2) | instid1(SALU_CYCLE_1)
	s_add_u32 s10, s36, s10
	s_addc_u32 s11, s37, s11
	s_lshl_b64 s[12:13], s[8:9], 2
	s_add_u32 s12, s40, s12
	s_addc_u32 s13, s41, s13
	s_clause 0x1
	global_load_b64 v[0:1], v4, s[10:11]
	global_load_b32 v5, v4, s[12:13]
	s_mov_b64 s[12:13], s[0:1]
	s_mov_b64 s[10:11], s[6:7]
	s_branch .LBB141_99
	.p2align	6
.LBB141_98:                             ;   in Loop: Header=BB141_99 Depth=2
	global_load_b32 v6, v4, s[12:13] offset:-4
	s_add_u32 s30, s12, -4
	s_addc_u32 s31, s13, -1
	s_add_u32 s54, s10, -1
	s_addc_u32 s55, s11, -1
	s_cmp_lt_i32 s10, 2
	s_mov_b64 s[16:17], 0
	s_mov_b64 s[10:11], s[54:55]
	s_cselect_b32 s8, -1, 0
	global_store_b64 v4, v[2:3], s[14:15]
	s_waitcnt vmcnt(0)
	global_store_b32 v4, v6, s[12:13]
	s_mov_b64 s[12:13], s[30:31]
	s_mov_b64 s[14:15], s[18:19]
	s_and_not1_b32 vcc_lo, exec_lo, s8
	s_cbranch_vccz .LBB141_96
.LBB141_99:                             ;   Parent Loop BB141_97 Depth=1
                                        ; =>  This Inner Loop Header: Depth=2
	global_load_b64 v[2:3], v4, s[14:15] offset:-8
	s_add_u32 s18, s14, -8
	s_addc_u32 s19, s15, -1
	s_mov_b32 s8, -1
	s_waitcnt vmcnt(0)
	v_cmp_nlt_f64_e32 vcc_lo, v[2:3], v[0:1]
	s_cbranch_vccz .LBB141_98
; %bb.100:                              ;   in Loop: Header=BB141_99 Depth=2
	s_mov_b64 s[16:17], s[10:11]
                                        ; implicit-def: $sgpr12_sgpr13
                                        ; implicit-def: $sgpr14_sgpr15
	s_and_not1_b32 vcc_lo, exec_lo, s8
	s_cbranch_vccnz .LBB141_99
	s_branch .LBB141_96
.LBB141_101:
	s_or_b32 exec_lo, exec_lo, s20
	s_cmp_lt_i32 s24, 2
	s_mov_b32 s58, 0
	s_cselect_b32 s5, -1, 0
	s_waitcnt_vscnt null, 0x0
	s_and_b32 vcc_lo, exec_lo, s5
	s_barrier
	buffer_gl0_inv
	s_cbranch_vccnz .LBB141_109
; %bb.102:
	s_add_i32 s4, s24, -1
	s_mov_b32 s5, -1
	s_mov_b32 s0, 0
	s_mov_b32 s1, exec_lo
	v_cmpx_gt_u32_e64 s4, v41
	s_cbranch_execz .LBB141_111
; %bb.103:
	v_dual_mov_b32 v1, 0 :: v_dual_mov_b32 v0, v41
	s_add_u32 s5, s36, 8
	s_addc_u32 s8, s37, 0
	s_mov_b32 s6, 0
                                        ; implicit-def: $sgpr7
	s_set_inst_prefetch_distance 0x1
	s_branch .LBB141_105
	.p2align	6
.LBB141_104:                            ;   in Loop: Header=BB141_105 Depth=1
	s_or_b32 exec_lo, exec_lo, s11
	s_xor_b32 s0, s0, -1
	s_and_b32 s9, exec_lo, s10
	s_delay_alu instid0(SALU_CYCLE_1) | instskip(SKIP_2) | instid1(SALU_CYCLE_1)
	s_or_b32 s6, s9, s6
	s_and_not1_b32 s7, s7, exec_lo
	s_and_b32 s0, s0, exec_lo
	s_or_b32 s7, s7, s0
	s_and_not1_b32 exec_lo, exec_lo, s6
	s_cbranch_execz .LBB141_110
.LBB141_105:                            ; =>This Inner Loop Header: Depth=1
	v_lshlrev_b64 v[2:3], 3, v[0:1]
	s_mov_b32 s10, exec_lo
                                        ; implicit-def: $sgpr0
	s_delay_alu instid0(VALU_DEP_1) | instskip(NEXT) | instid1(VALU_DEP_2)
	v_add_co_u32 v2, vcc_lo, s36, v2
	v_add_co_ci_u32_e32 v3, vcc_lo, s37, v3, vcc_lo
	global_load_b64 v[2:3], v[2:3], off
	s_waitcnt vmcnt(0)
	v_cmp_u_f64_e64 s9, v[2:3], v[2:3]
	v_cmpx_o_f64_e32 v[2:3], v[2:3]
	s_cbranch_execz .LBB141_107
; %bb.106:                              ;   in Loop: Header=BB141_105 Depth=1
	v_ashrrev_i32_e32 v5, 31, v0
	v_mov_b32_e32 v4, v0
	s_delay_alu instid0(VALU_DEP_4) | instskip(NEXT) | instid1(VALU_DEP_1)
	s_and_not1_b32 s9, s9, exec_lo
	v_lshlrev_b64 v[4:5], 3, v[4:5]
	s_delay_alu instid0(VALU_DEP_1) | instskip(NEXT) | instid1(VALU_DEP_2)
	v_add_co_u32 v4, vcc_lo, s5, v4
	v_add_co_ci_u32_e32 v5, vcc_lo, s8, v5, vcc_lo
	global_load_b64 v[4:5], v[4:5], off
	s_waitcnt vmcnt(0)
	v_cmp_u_f64_e32 vcc_lo, v[4:5], v[4:5]
	v_cmp_ge_f64_e64 s0, v[2:3], v[4:5]
	s_delay_alu instid0(VALU_DEP_1) | instskip(NEXT) | instid1(SALU_CYCLE_1)
	s_or_b32 s0, vcc_lo, s0
	s_and_b32 s11, s0, exec_lo
	s_mov_b32 s0, -1
	s_or_b32 s9, s9, s11
.LBB141_107:                            ;   in Loop: Header=BB141_105 Depth=1
	s_or_b32 exec_lo, exec_lo, s10
	s_mov_b32 s10, -1
	s_delay_alu instid0(VALU_DEP_2)
	s_and_saveexec_b32 s11, s9
	s_cbranch_execz .LBB141_104
; %bb.108:                              ;   in Loop: Header=BB141_105 Depth=1
	v_add_nc_u32_e32 v0, s46, v0
	s_and_not1_b32 s0, s0, exec_lo
	s_delay_alu instid0(VALU_DEP_1)
	v_cmp_le_u32_e32 vcc_lo, s4, v0
	s_or_not1_b32 s10, vcc_lo, exec_lo
	s_branch .LBB141_104
.LBB141_109:
	s_mov_b32 s0, 0
	s_branch .LBB141_112
.LBB141_110:
	s_set_inst_prefetch_distance 0x2
	s_or_b32 exec_lo, exec_lo, s6
	s_delay_alu instid0(SALU_CYCLE_1)
	s_mov_b32 s0, exec_lo
	s_or_not1_b32 s5, s7, exec_lo
.LBB141_111:
	s_or_b32 exec_lo, exec_lo, s1
.LBB141_112:
	s_and_saveexec_b32 s1, s5
	s_cbranch_execz .LBB141_114
; %bb.113:
	s_mov_b32 s58, exec_lo
	s_barrier
	s_and_not1_b32 s0, s0, exec_lo
	buffer_gl0_inv
.LBB141_114:
	s_or_b32 exec_lo, exec_lo, s1
	s_mov_b32 s54, 0
	s_and_saveexec_b32 s59, s0
	s_cbranch_execz .LBB141_116
; %bb.115:
	s_add_u32 s8, s2, 0x90
	s_addc_u32 s9, s3, 0
	s_getpc_b64 s[0:1]
	s_add_u32 s0, s0, __PRETTY_FUNCTION__._ZN9rocsolver6v33100L21shell_sort_descendingIdiEEvT0_PT_PS2_@rel32@lo+4
	s_addc_u32 s1, s1, __PRETTY_FUNCTION__._ZN9rocsolver6v33100L21shell_sort_descendingIdiEEvT0_PT_PS2_@rel32@hi+12
	s_delay_alu instid0(SALU_CYCLE_1)
	v_dual_mov_b32 v0, s0 :: v_dual_mov_b32 v1, s1
	s_getpc_b64 s[4:5]
	s_add_u32 s4, s4, __assert_fail@rel32@lo+4
	s_addc_u32 s5, s5, __assert_fail@rel32@hi+12
	s_mov_b64 s[54:55], s[2:3]
	s_swappc_b64 s[30:31], s[4:5]
	s_mov_b64 s[2:3], s[54:55]
	s_mov_b32 s54, exec_lo
.LBB141_116:
	s_or_b32 exec_lo, exec_lo, s59
.LBB141_117:
	s_and_saveexec_b32 s18, s58
	s_cbranch_execz .LBB141_141
; %bb.118:
	s_and_not1_b32 vcc_lo, exec_lo, s57
	s_waitcnt_vscnt null, 0x0
	s_barrier
	buffer_gl0_inv
	s_cbranch_vccnz .LBB141_140
; %bb.119:
	v_dual_mov_b32 v1, 0 :: v_dual_lshlrev_b32 v2, 4, v42
	s_cmp_gt_i32 s25, 0
	v_cmp_eq_u32_e64 s0, 0, v41
	s_cselect_b32 s19, -1, 0
	s_ashr_i32 s20, s47, 31
	s_cmp_gt_i32 s26, 0
	v_add_nc_u32_e32 v3, 0x8000, v2
	v_add_nc_u32_e32 v4, 0x4000, v2
	v_cmp_gt_u32_e64 s1, s25, v41
	v_cmp_gt_u32_e64 s4, s26, v41
	;; [unrolled: 1-line block ×3, first 2 shown]
	s_mov_b32 s7, 0
	s_cselect_b32 s31, -1, 0
	s_cmp_gt_i32 s27, 0
	s_mov_b32 s30, s47
	s_mov_b32 s33, s43
	s_cselect_b32 s55, -1, 0
	s_ashr_i32 s56, s49, 31
	s_mov_b32 s57, s49
	s_mov_b32 s6, s7
	s_branch .LBB141_121
.LBB141_120:                            ;   in Loop: Header=BB141_121 Depth=1
	s_add_i32 s6, s6, 1
	s_delay_alu instid0(SALU_CYCLE_1)
	s_cmp_eq_u32 s6, s24
	s_cbranch_scc1 .LBB141_140
.LBB141_121:                            ; =>This Loop Header: Depth=1
                                        ;     Child Loop BB141_124 Depth 2
                                        ;       Child Loop BB141_129 Depth 3
                                        ;       Child Loop BB141_134 Depth 3
	;; [unrolled: 1-line block ×3, first 2 shown]
	s_lshl_b64 s[8:9], s[6:7], 2
	s_delay_alu instid0(SALU_CYCLE_1)
	s_add_u32 s8, s40, s8
	s_addc_u32 s9, s41, s9
	global_load_b32 v0, v1, s[8:9]
	s_waitcnt vmcnt(0)
	v_cmp_eq_u32_e32 vcc_lo, s6, v0
	v_readfirstlane_b32 s10, v0
	s_cbranch_vccz .LBB141_124
	s_branch .LBB141_120
.LBB141_122:                            ;   in Loop: Header=BB141_124 Depth=2
	s_set_inst_prefetch_distance 0x2
	s_or_b32 exec_lo, exec_lo, s14
	s_waitcnt lgkmcnt(0)
	s_waitcnt_vscnt null, 0x0
	s_barrier
	buffer_gl0_inv
.LBB141_123:                            ;   in Loop: Header=BB141_124 Depth=2
	global_load_b32 v0, v1, s[8:9]
	s_waitcnt vmcnt(0)
	v_cmp_ne_u32_e32 vcc_lo, s6, v0
	v_readfirstlane_b32 s10, v0
	s_cbranch_vccz .LBB141_120
.LBB141_124:                            ;   Parent Loop BB141_121 Depth=1
                                        ; =>  This Loop Header: Depth=2
                                        ;       Child Loop BB141_129 Depth 3
                                        ;       Child Loop BB141_134 Depth 3
	;; [unrolled: 1-line block ×3, first 2 shown]
	s_delay_alu instid0(VALU_DEP_1) | instskip(NEXT) | instid1(SALU_CYCLE_1)
	s_ashr_i32 s11, s10, 31
	s_lshl_b64 s[12:13], s[10:11], 2
	s_delay_alu instid0(SALU_CYCLE_1)
	s_add_u32 s14, s40, s12
	s_addc_u32 s15, s41, s13
	global_load_b32 v0, v1, s[14:15]
	s_waitcnt vmcnt(0)
	s_barrier
	buffer_gl0_inv
	v_readfirstlane_b32 s12, v0
	s_and_saveexec_b32 s13, s0
; %bb.125:                              ;   in Loop: Header=BB141_124 Depth=2
	s_delay_alu instid0(VALU_DEP_1)
	v_dual_mov_b32 v0, s10 :: v_dual_mov_b32 v5, s12
	s_clause 0x1
	global_store_b32 v1, v0, s[14:15]
	global_store_b32 v1, v5, s[8:9]
; %bb.126:                              ;   in Loop: Header=BB141_124 Depth=2
	s_or_b32 exec_lo, exec_lo, s13
	s_delay_alu instid0(SALU_CYCLE_1)
	s_and_not1_b32 vcc_lo, exec_lo, s19
	s_waitcnt_vscnt null, 0x0
	s_barrier
	buffer_gl0_inv
	s_cbranch_vccnz .LBB141_131
; %bb.127:                              ;   in Loop: Header=BB141_124 Depth=2
	s_and_saveexec_b32 s58, s1
	s_cbranch_execz .LBB141_130
; %bb.128:                              ;   in Loop: Header=BB141_124 Depth=2
	v_mov_b32_e32 v0, v41
	s_ashr_i32 s13, s12, 31
	s_mov_b32 s59, 0
	s_lshl_b64 s[14:15], s[10:11], 4
	s_lshl_b64 s[16:17], s[12:13], 4
	s_set_inst_prefetch_distance 0x1
	.p2align	6
.LBB141_129:                            ;   Parent Loop BB141_121 Depth=1
                                        ;     Parent Loop BB141_124 Depth=2
                                        ; =>    This Inner Loop Header: Depth=3
	v_mad_u64_u32 v[5:6], null, v0, s30, 0
	s_delay_alu instid0(VALU_DEP_1) | instskip(SKIP_1) | instid1(VALU_DEP_2)
	v_mad_u64_u32 v[7:8], null, v0, s20, v[6:7]
	v_add_nc_u32_e32 v0, s46, v0
	v_mov_b32_e32 v6, v7
	s_delay_alu instid0(VALU_DEP_1) | instskip(NEXT) | instid1(VALU_DEP_1)
	v_lshlrev_b64 v[5:6], 4, v[5:6]
	v_add_co_u32 v11, vcc_lo, s34, v5
	s_delay_alu instid0(VALU_DEP_2) | instskip(NEXT) | instid1(VALU_DEP_2)
	v_add_co_ci_u32_e32 v12, vcc_lo, s35, v6, vcc_lo
	v_add_co_u32 v9, vcc_lo, v11, s14
	s_delay_alu instid0(VALU_DEP_2)
	v_add_co_ci_u32_e32 v10, vcc_lo, s15, v12, vcc_lo
	v_add_co_u32 v11, vcc_lo, v11, s16
	v_add_co_ci_u32_e32 v12, vcc_lo, s17, v12, vcc_lo
	flat_load_b128 v[5:8], v[9:10]
	v_cmp_le_u32_e32 vcc_lo, s25, v0
	s_or_b32 s59, vcc_lo, s59
	s_waitcnt vmcnt(0) lgkmcnt(0)
	ds_store_2addr_b64 v2, v[5:6], v[7:8] offset1:1
	flat_load_b128 v[5:8], v[11:12]
	s_waitcnt vmcnt(0) lgkmcnt(0)
	flat_store_b128 v[9:10], v[5:8]
	ds_load_2addr_b64 v[5:8], v2 offset1:1
	s_waitcnt lgkmcnt(0)
	flat_store_b128 v[11:12], v[5:8]
	s_and_not1_b32 exec_lo, exec_lo, s59
	s_cbranch_execnz .LBB141_129
.LBB141_130:                            ;   in Loop: Header=BB141_124 Depth=2
	s_set_inst_prefetch_distance 0x2
	s_or_b32 exec_lo, exec_lo, s58
	s_waitcnt lgkmcnt(0)
	s_waitcnt_vscnt null, 0x0
	s_barrier
	buffer_gl0_inv
.LBB141_131:                            ;   in Loop: Header=BB141_124 Depth=2
	s_and_not1_b32 vcc_lo, exec_lo, s31
	s_cbranch_vccnz .LBB141_136
; %bb.132:                              ;   in Loop: Header=BB141_124 Depth=2
	s_and_saveexec_b32 s13, s4
	s_cbranch_execz .LBB141_135
; %bb.133:                              ;   in Loop: Header=BB141_124 Depth=2
	s_mul_hi_i32 s15, s10, s33
	s_mul_i32 s14, s10, s33
	s_mul_hi_i32 s17, s12, s33
	s_lshl_b64 s[14:15], s[14:15], 4
	s_mul_i32 s16, s12, s33
	s_add_u32 s14, s28, s14
	s_addc_u32 s15, s29, s15
	s_lshl_b64 s[16:17], s[16:17], 4
	v_mov_b32_e32 v0, v41
	s_add_u32 s16, s28, s16
	s_addc_u32 s17, s29, s17
	s_mov_b32 s58, 0
	.p2align	6
.LBB141_134:                            ;   Parent Loop BB141_121 Depth=1
                                        ;     Parent Loop BB141_124 Depth=2
                                        ; =>    This Inner Loop Header: Depth=3
	s_delay_alu instid0(VALU_DEP_1) | instskip(SKIP_1) | instid1(VALU_DEP_2)
	v_lshlrev_b64 v[9:10], 4, v[0:1]
	v_add_nc_u32_e32 v0, s46, v0
	v_add_co_u32 v11, vcc_lo, s14, v9
	s_delay_alu instid0(VALU_DEP_3)
	v_add_co_ci_u32_e32 v12, vcc_lo, s15, v10, vcc_lo
	v_add_co_u32 v9, vcc_lo, s16, v9
	v_add_co_ci_u32_e32 v10, vcc_lo, s17, v10, vcc_lo
	flat_load_b128 v[5:8], v[11:12]
	v_cmp_le_u32_e32 vcc_lo, s26, v0
	s_or_b32 s58, vcc_lo, s58
	s_waitcnt vmcnt(0) lgkmcnt(0)
	ds_store_2addr_b64 v4, v[5:6], v[7:8] offset1:1
	flat_load_b128 v[5:8], v[9:10]
	s_waitcnt vmcnt(0) lgkmcnt(0)
	flat_store_b128 v[11:12], v[5:8]
	ds_load_2addr_b64 v[5:8], v4 offset1:1
	s_waitcnt lgkmcnt(0)
	flat_store_b128 v[9:10], v[5:8]
	s_and_not1_b32 exec_lo, exec_lo, s58
	s_cbranch_execnz .LBB141_134
.LBB141_135:                            ;   in Loop: Header=BB141_124 Depth=2
	s_or_b32 exec_lo, exec_lo, s13
	s_waitcnt lgkmcnt(0)
	s_waitcnt_vscnt null, 0x0
	s_barrier
	buffer_gl0_inv
.LBB141_136:                            ;   in Loop: Header=BB141_124 Depth=2
	s_and_not1_b32 vcc_lo, exec_lo, s55
	s_cbranch_vccnz .LBB141_123
; %bb.137:                              ;   in Loop: Header=BB141_124 Depth=2
	s_and_saveexec_b32 s14, s5
	s_cbranch_execz .LBB141_122
; %bb.138:                              ;   in Loop: Header=BB141_124 Depth=2
	v_mov_b32_e32 v0, v41
	s_ashr_i32 s13, s12, 31
	s_mov_b32 s15, 0
	s_lshl_b64 s[10:11], s[10:11], 4
	s_lshl_b64 s[12:13], s[12:13], 4
	s_set_inst_prefetch_distance 0x1
	.p2align	6
.LBB141_139:                            ;   Parent Loop BB141_121 Depth=1
                                        ;     Parent Loop BB141_124 Depth=2
                                        ; =>    This Inner Loop Header: Depth=3
	v_mad_u64_u32 v[5:6], null, v0, s57, 0
	s_delay_alu instid0(VALU_DEP_1) | instskip(SKIP_1) | instid1(VALU_DEP_2)
	v_mad_u64_u32 v[7:8], null, v0, s56, v[6:7]
	v_add_nc_u32_e32 v0, s46, v0
	v_mov_b32_e32 v6, v7
	s_delay_alu instid0(VALU_DEP_1) | instskip(NEXT) | instid1(VALU_DEP_1)
	v_lshlrev_b64 v[5:6], 4, v[5:6]
	v_add_co_u32 v11, vcc_lo, s44, v5
	s_delay_alu instid0(VALU_DEP_2) | instskip(NEXT) | instid1(VALU_DEP_2)
	v_add_co_ci_u32_e32 v12, vcc_lo, s45, v6, vcc_lo
	v_add_co_u32 v9, vcc_lo, v11, s10
	s_delay_alu instid0(VALU_DEP_2)
	v_add_co_ci_u32_e32 v10, vcc_lo, s11, v12, vcc_lo
	v_add_co_u32 v11, vcc_lo, v11, s12
	v_add_co_ci_u32_e32 v12, vcc_lo, s13, v12, vcc_lo
	flat_load_b128 v[5:8], v[9:10]
	v_cmp_le_u32_e32 vcc_lo, s27, v0
	s_or_b32 s15, vcc_lo, s15
	s_waitcnt vmcnt(0) lgkmcnt(0)
	ds_store_2addr_b64 v3, v[5:6], v[7:8] offset1:1
	flat_load_b128 v[5:8], v[11:12]
	s_waitcnt vmcnt(0) lgkmcnt(0)
	flat_store_b128 v[9:10], v[5:8]
	ds_load_2addr_b64 v[5:8], v3 offset1:1
	s_waitcnt lgkmcnt(0)
	flat_store_b128 v[11:12], v[5:8]
	s_and_not1_b32 exec_lo, exec_lo, s15
	s_cbranch_execnz .LBB141_139
	s_branch .LBB141_122
.LBB141_140:
	s_mov_b32 s56, exec_lo
.LBB141_141:
	s_or_b32 exec_lo, exec_lo, s18
	s_branch .LBB141_228
.LBB141_142:
	s_and_b32 vcc_lo, exec_lo, s48
	s_mov_b32 s56, -1
	s_cbranch_vccz .LBB141_228
; %bb.143:
	v_or3_b32 v0, v44, v43, v45
	s_mov_b32 s16, exec_lo
	s_waitcnt_vscnt null, 0x0
	s_barrier
	buffer_gl0_inv
	s_barrier
	buffer_gl0_inv
	v_cmpx_eq_u32_e32 0, v0
	s_cbranch_execz .LBB141_212
; %bb.144:
	s_cmpk_lt_u32 s24, 0x2be
	s_cbranch_scc1 .LBB141_151
; %bb.145:
	v_dual_mov_b32 v4, 0 :: v_dual_mov_b32 v5, 0x1000
	s_mov_b64 s[0:1], 0x2bd
	s_mov_b32 s5, 0
	s_mov_b64 s[6:7], s[36:37]
	s_set_inst_prefetch_distance 0x1
	s_branch .LBB141_147
	.p2align	6
.LBB141_146:                            ;   in Loop: Header=BB141_147 Depth=1
	s_lshl_b64 s[8:9], s[12:13], 3
	s_delay_alu instid0(SALU_CYCLE_1)
	s_add_u32 s8, s36, s8
	s_addc_u32 s9, s37, s9
	s_add_u32 s0, s0, 1
	s_addc_u32 s1, s1, 0
	;; [unrolled: 2-line block ×3, first 2 shown]
	s_cmp_eq_u32 s0, s24
	global_store_b64 v4, v[0:1], s[8:9]
	s_cbranch_scc1 .LBB141_151
.LBB141_147:                            ; =>This Loop Header: Depth=1
                                        ;     Child Loop BB141_149 Depth 2
	s_mov_b32 s4, s0
	s_mov_b64 s[10:11], s[6:7]
	s_lshl_b64 s[8:9], s[4:5], 3
	s_delay_alu instid0(SALU_CYCLE_1)
	s_add_u32 s8, s36, s8
	s_addc_u32 s9, s37, s9
	global_load_b64 v[0:1], v4, s[8:9]
	s_mov_b64 s[8:9], s[0:1]
	s_branch .LBB141_149
	.p2align	6
.LBB141_148:                            ;   in Loop: Header=BB141_149 Depth=2
	s_add_u32 s12, s8, 0xfffffd43
	s_addc_u32 s13, s9, -1
	global_store_b64 v5, v[2:3], s[10:11] offset:1512
	s_add_u32 s10, s10, 0xffffea18
	s_addc_u32 s11, s11, -1
	s_cmpk_lt_i32 s8, 0x57a
	s_mov_b64 s[8:9], s[12:13]
	s_cselect_b32 s4, -1, 0
	s_delay_alu instid0(SALU_CYCLE_1)
	s_and_not1_b32 vcc_lo, exec_lo, s4
	s_cbranch_vccz .LBB141_146
.LBB141_149:                            ;   Parent Loop BB141_147 Depth=1
                                        ; =>  This Inner Loop Header: Depth=2
	global_load_b64 v[2:3], v4, s[10:11]
	s_mov_b32 s4, -1
	s_waitcnt vmcnt(0)
	v_cmp_nlt_f64_e32 vcc_lo, v[2:3], v[0:1]
	s_cbranch_vccz .LBB141_148
; %bb.150:                              ;   in Loop: Header=BB141_149 Depth=2
	s_mov_b64 s[12:13], s[8:9]
                                        ; implicit-def: $sgpr10_sgpr11
	s_and_not1_b32 vcc_lo, exec_lo, s4
	s_cbranch_vccnz .LBB141_149
	s_branch .LBB141_146
.LBB141_151:
	s_set_inst_prefetch_distance 0x2
	s_cmpk_lt_i32 s24, 0x12e
	s_cbranch_scc1 .LBB141_160
; %bb.152:
	v_mov_b32_e32 v4, 0
	s_mov_b64 s[0:1], 0x12d
	s_mov_b32 s5, 0
	s_mov_b64 s[6:7], s[36:37]
	s_set_inst_prefetch_distance 0x1
	s_branch .LBB141_154
	.p2align	6
.LBB141_153:                            ;   in Loop: Header=BB141_154 Depth=1
	s_lshl_b64 s[8:9], s[8:9], 3
	s_delay_alu instid0(SALU_CYCLE_1)
	s_add_u32 s8, s36, s8
	s_addc_u32 s9, s37, s9
	s_add_u32 s0, s0, 1
	s_addc_u32 s1, s1, 0
	s_add_u32 s6, s6, 8
	s_addc_u32 s7, s7, 0
	s_cmp_lg_u32 s0, s24
	global_store_b64 v4, v[0:1], s[8:9]
	s_cbranch_scc0 .LBB141_160
.LBB141_154:                            ; =>This Loop Header: Depth=1
                                        ;     Child Loop BB141_156 Depth 2
	s_mov_b32 s4, s0
	s_mov_b64 s[10:11], s[6:7]
	s_lshl_b64 s[8:9], s[4:5], 3
	s_delay_alu instid0(SALU_CYCLE_1)
	s_add_u32 s8, s36, s8
	s_addc_u32 s9, s37, s9
	global_load_b64 v[0:1], v4, s[8:9]
	s_mov_b64 s[8:9], s[0:1]
	s_branch .LBB141_156
	.p2align	6
.LBB141_155:                            ;   in Loop: Header=BB141_156 Depth=2
	s_add_u32 s12, s8, 0xfffffed3
	s_addc_u32 s13, s9, -1
	global_store_b64 v4, v[2:3], s[10:11] offset:2408
	s_add_u32 s10, s10, 0xfffff698
	s_addc_u32 s11, s11, -1
	s_cmpk_lt_i32 s8, 0x25a
	s_mov_b32 s4, 0
	s_cselect_b32 s14, -1, 0
	s_mov_b64 s[8:9], s[12:13]
	s_and_not1_b32 vcc_lo, exec_lo, s14
	s_cbranch_vccz .LBB141_158
.LBB141_156:                            ;   Parent Loop BB141_154 Depth=1
                                        ; =>  This Inner Loop Header: Depth=2
	global_load_b64 v[2:3], v4, s[10:11]
	s_mov_b32 s4, -1
	s_waitcnt vmcnt(0)
	v_cmp_nlt_f64_e32 vcc_lo, v[2:3], v[0:1]
	s_cbranch_vccz .LBB141_155
; %bb.157:                              ;   in Loop: Header=BB141_154 Depth=1
                                        ; implicit-def: $sgpr10_sgpr11
                                        ; implicit-def: $sgpr12_sgpr13
.LBB141_158:                            ;   in Loop: Header=BB141_154 Depth=1
	s_and_not1_b32 vcc_lo, exec_lo, s4
	s_cbranch_vccz .LBB141_153
; %bb.159:                              ;   in Loop: Header=BB141_154 Depth=1
	s_bfe_i64 s[8:9], s[12:13], 0x200000
	s_branch .LBB141_153
.LBB141_160:
	s_set_inst_prefetch_distance 0x2
	s_cmpk_lt_i32 s24, 0x85
	s_cbranch_scc1 .LBB141_169
; %bb.161:
	v_mov_b32_e32 v4, 0
	s_mov_b64 s[0:1], 0x84
	s_mov_b32 s5, 0
	s_mov_b64 s[6:7], s[36:37]
	s_set_inst_prefetch_distance 0x1
	s_branch .LBB141_163
	.p2align	6
.LBB141_162:                            ;   in Loop: Header=BB141_163 Depth=1
	s_lshl_b64 s[8:9], s[8:9], 3
	s_delay_alu instid0(SALU_CYCLE_1)
	s_add_u32 s8, s36, s8
	s_addc_u32 s9, s37, s9
	s_add_u32 s0, s0, 1
	s_addc_u32 s1, s1, 0
	;; [unrolled: 2-line block ×3, first 2 shown]
	s_cmp_lg_u32 s0, s24
	global_store_b64 v4, v[0:1], s[8:9]
	s_cbranch_scc0 .LBB141_169
.LBB141_163:                            ; =>This Loop Header: Depth=1
                                        ;     Child Loop BB141_165 Depth 2
	s_mov_b32 s4, s0
	s_mov_b64 s[10:11], s[6:7]
	s_lshl_b64 s[8:9], s[4:5], 3
	s_delay_alu instid0(SALU_CYCLE_1)
	s_add_u32 s8, s36, s8
	s_addc_u32 s9, s37, s9
	global_load_b64 v[0:1], v4, s[8:9]
	s_mov_b64 s[8:9], s[0:1]
	s_branch .LBB141_165
	.p2align	6
.LBB141_164:                            ;   in Loop: Header=BB141_165 Depth=2
	s_add_u32 s12, s8, 0xffffff7c
	s_addc_u32 s13, s9, -1
	global_store_b64 v4, v[2:3], s[10:11] offset:1056
	s_add_u32 s10, s10, 0xfffffbe0
	s_addc_u32 s11, s11, -1
	s_cmpk_lt_i32 s8, 0x108
	s_mov_b32 s4, 0
	s_cselect_b32 s14, -1, 0
	s_mov_b64 s[8:9], s[12:13]
	s_and_not1_b32 vcc_lo, exec_lo, s14
	s_cbranch_vccz .LBB141_167
.LBB141_165:                            ;   Parent Loop BB141_163 Depth=1
                                        ; =>  This Inner Loop Header: Depth=2
	global_load_b64 v[2:3], v4, s[10:11]
	s_mov_b32 s4, -1
	s_waitcnt vmcnt(0)
	v_cmp_nlt_f64_e32 vcc_lo, v[2:3], v[0:1]
	s_cbranch_vccz .LBB141_164
; %bb.166:                              ;   in Loop: Header=BB141_163 Depth=1
                                        ; implicit-def: $sgpr10_sgpr11
                                        ; implicit-def: $sgpr12_sgpr13
.LBB141_167:                            ;   in Loop: Header=BB141_163 Depth=1
	s_and_not1_b32 vcc_lo, exec_lo, s4
	s_cbranch_vccz .LBB141_162
; %bb.168:                              ;   in Loop: Header=BB141_163 Depth=1
	s_bfe_i64 s[8:9], s[12:13], 0x200000
	s_branch .LBB141_162
.LBB141_169:
	s_set_inst_prefetch_distance 0x2
	s_cmp_lt_i32 s24, 58
	s_cbranch_scc1 .LBB141_178
; %bb.170:
	v_mov_b32_e32 v4, 0
	s_mov_b64 s[0:1], 57
	s_mov_b32 s5, 0
	s_mov_b64 s[6:7], s[36:37]
	s_set_inst_prefetch_distance 0x1
	s_branch .LBB141_172
	.p2align	6
.LBB141_171:                            ;   in Loop: Header=BB141_172 Depth=1
	s_lshl_b64 s[8:9], s[8:9], 3
	s_delay_alu instid0(SALU_CYCLE_1)
	s_add_u32 s8, s36, s8
	s_addc_u32 s9, s37, s9
	s_add_u32 s0, s0, 1
	s_addc_u32 s1, s1, 0
	;; [unrolled: 2-line block ×3, first 2 shown]
	s_cmp_lg_u32 s0, s24
	global_store_b64 v4, v[0:1], s[8:9]
	s_cbranch_scc0 .LBB141_178
.LBB141_172:                            ; =>This Loop Header: Depth=1
                                        ;     Child Loop BB141_174 Depth 2
	s_mov_b32 s4, s0
	s_mov_b64 s[10:11], s[6:7]
	s_lshl_b64 s[8:9], s[4:5], 3
	s_delay_alu instid0(SALU_CYCLE_1)
	s_add_u32 s8, s36, s8
	s_addc_u32 s9, s37, s9
	global_load_b64 v[0:1], v4, s[8:9]
	s_mov_b64 s[8:9], s[0:1]
	s_branch .LBB141_174
	.p2align	6
.LBB141_173:                            ;   in Loop: Header=BB141_174 Depth=2
	s_add_u32 s12, s8, 0xffffffc7
	s_addc_u32 s13, s9, -1
	global_store_b64 v4, v[2:3], s[10:11] offset:456
	s_add_u32 s10, s10, 0xfffffe38
	s_addc_u32 s11, s11, -1
	s_cmpk_lt_i32 s8, 0x72
	s_mov_b32 s4, 0
	s_cselect_b32 s14, -1, 0
	s_mov_b64 s[8:9], s[12:13]
	s_and_not1_b32 vcc_lo, exec_lo, s14
	s_cbranch_vccz .LBB141_176
.LBB141_174:                            ;   Parent Loop BB141_172 Depth=1
                                        ; =>  This Inner Loop Header: Depth=2
	global_load_b64 v[2:3], v4, s[10:11]
	s_mov_b32 s4, -1
	s_waitcnt vmcnt(0)
	v_cmp_nlt_f64_e32 vcc_lo, v[2:3], v[0:1]
	s_cbranch_vccz .LBB141_173
; %bb.175:                              ;   in Loop: Header=BB141_172 Depth=1
                                        ; implicit-def: $sgpr10_sgpr11
                                        ; implicit-def: $sgpr12_sgpr13
.LBB141_176:                            ;   in Loop: Header=BB141_172 Depth=1
	s_and_not1_b32 vcc_lo, exec_lo, s4
	s_cbranch_vccz .LBB141_171
; %bb.177:                              ;   in Loop: Header=BB141_172 Depth=1
	s_bfe_i64 s[8:9], s[12:13], 0x200000
	s_branch .LBB141_171
.LBB141_178:
	s_set_inst_prefetch_distance 0x2
	s_cmp_lt_i32 s24, 24
	s_cbranch_scc1 .LBB141_187
; %bb.179:
	v_mov_b32_e32 v4, 0
	s_mov_b64 s[0:1], 23
	s_mov_b32 s5, 0
	s_mov_b64 s[6:7], s[36:37]
	s_set_inst_prefetch_distance 0x1
	s_branch .LBB141_181
	.p2align	6
.LBB141_180:                            ;   in Loop: Header=BB141_181 Depth=1
	s_lshl_b64 s[8:9], s[8:9], 3
	s_delay_alu instid0(SALU_CYCLE_1)
	s_add_u32 s8, s36, s8
	s_addc_u32 s9, s37, s9
	s_add_u32 s0, s0, 1
	s_addc_u32 s1, s1, 0
	;; [unrolled: 2-line block ×3, first 2 shown]
	s_cmp_lg_u32 s0, s24
	global_store_b64 v4, v[0:1], s[8:9]
	s_cbranch_scc0 .LBB141_187
.LBB141_181:                            ; =>This Loop Header: Depth=1
                                        ;     Child Loop BB141_183 Depth 2
	s_mov_b32 s4, s0
	s_mov_b64 s[10:11], s[6:7]
	s_lshl_b64 s[8:9], s[4:5], 3
	s_delay_alu instid0(SALU_CYCLE_1)
	s_add_u32 s8, s36, s8
	s_addc_u32 s9, s37, s9
	global_load_b64 v[0:1], v4, s[8:9]
	s_mov_b64 s[8:9], s[0:1]
	s_branch .LBB141_183
	.p2align	6
.LBB141_182:                            ;   in Loop: Header=BB141_183 Depth=2
	s_add_u32 s12, s8, 0xffffffe9
	s_addc_u32 s13, s9, -1
	global_store_b64 v4, v[2:3], s[10:11] offset:184
	s_add_u32 s10, s10, 0xffffff48
	s_addc_u32 s11, s11, -1
	s_cmp_lt_i32 s8, 46
	s_mov_b32 s4, 0
	s_cselect_b32 s14, -1, 0
	s_mov_b64 s[8:9], s[12:13]
	s_and_not1_b32 vcc_lo, exec_lo, s14
	s_cbranch_vccz .LBB141_185
.LBB141_183:                            ;   Parent Loop BB141_181 Depth=1
                                        ; =>  This Inner Loop Header: Depth=2
	global_load_b64 v[2:3], v4, s[10:11]
	s_mov_b32 s4, -1
	s_waitcnt vmcnt(0)
	v_cmp_nlt_f64_e32 vcc_lo, v[2:3], v[0:1]
	s_cbranch_vccz .LBB141_182
; %bb.184:                              ;   in Loop: Header=BB141_181 Depth=1
                                        ; implicit-def: $sgpr10_sgpr11
                                        ; implicit-def: $sgpr12_sgpr13
.LBB141_185:                            ;   in Loop: Header=BB141_181 Depth=1
	s_and_not1_b32 vcc_lo, exec_lo, s4
	s_cbranch_vccz .LBB141_180
; %bb.186:                              ;   in Loop: Header=BB141_181 Depth=1
	s_bfe_i64 s[8:9], s[12:13], 0x200000
	s_branch .LBB141_180
.LBB141_187:
	s_set_inst_prefetch_distance 0x2
	s_cmp_lt_i32 s24, 11
	s_cbranch_scc1 .LBB141_196
; %bb.188:
	v_mov_b32_e32 v4, 0
	s_mov_b64 s[0:1], 10
	s_mov_b32 s5, 0
	s_mov_b64 s[6:7], s[36:37]
	s_set_inst_prefetch_distance 0x1
	s_branch .LBB141_190
	.p2align	6
.LBB141_189:                            ;   in Loop: Header=BB141_190 Depth=1
	s_lshl_b64 s[8:9], s[8:9], 3
	s_delay_alu instid0(SALU_CYCLE_1)
	s_add_u32 s8, s36, s8
	s_addc_u32 s9, s37, s9
	s_add_u32 s0, s0, 1
	s_addc_u32 s1, s1, 0
	;; [unrolled: 2-line block ×3, first 2 shown]
	s_cmp_lg_u32 s0, s24
	global_store_b64 v4, v[0:1], s[8:9]
	s_cbranch_scc0 .LBB141_196
.LBB141_190:                            ; =>This Loop Header: Depth=1
                                        ;     Child Loop BB141_192 Depth 2
	s_mov_b32 s4, s0
	s_mov_b64 s[10:11], s[6:7]
	s_lshl_b64 s[8:9], s[4:5], 3
	s_delay_alu instid0(SALU_CYCLE_1)
	s_add_u32 s8, s36, s8
	s_addc_u32 s9, s37, s9
	global_load_b64 v[0:1], v4, s[8:9]
	s_mov_b64 s[8:9], s[0:1]
	s_branch .LBB141_192
	.p2align	6
.LBB141_191:                            ;   in Loop: Header=BB141_192 Depth=2
	s_add_u32 s12, s8, -10
	s_addc_u32 s13, s9, -1
	global_store_b64 v4, v[2:3], s[10:11] offset:80
	s_add_u32 s10, s10, 0xffffffb0
	s_addc_u32 s11, s11, -1
	s_cmp_lt_i32 s8, 20
	s_mov_b32 s4, 0
	s_cselect_b32 s14, -1, 0
	s_mov_b64 s[8:9], s[12:13]
	s_and_not1_b32 vcc_lo, exec_lo, s14
	s_cbranch_vccz .LBB141_194
.LBB141_192:                            ;   Parent Loop BB141_190 Depth=1
                                        ; =>  This Inner Loop Header: Depth=2
	global_load_b64 v[2:3], v4, s[10:11]
	s_mov_b32 s4, -1
	s_waitcnt vmcnt(0)
	v_cmp_nlt_f64_e32 vcc_lo, v[2:3], v[0:1]
	s_cbranch_vccz .LBB141_191
; %bb.193:                              ;   in Loop: Header=BB141_190 Depth=1
                                        ; implicit-def: $sgpr10_sgpr11
                                        ; implicit-def: $sgpr12_sgpr13
.LBB141_194:                            ;   in Loop: Header=BB141_190 Depth=1
	s_and_not1_b32 vcc_lo, exec_lo, s4
	s_cbranch_vccz .LBB141_189
; %bb.195:                              ;   in Loop: Header=BB141_190 Depth=1
	s_bfe_i64 s[8:9], s[12:13], 0x200000
	s_branch .LBB141_189
.LBB141_196:
	s_set_inst_prefetch_distance 0x2
	s_cmp_lt_i32 s24, 5
	s_cbranch_scc1 .LBB141_205
; %bb.197:
	s_add_u32 s0, s50, s52
	v_mov_b32_e32 v4, 0
	s_addc_u32 s1, s51, s53
	s_add_u32 s0, s0, 32
	s_addc_u32 s1, s1, 0
	s_mov_b64 s[4:5], 4
	s_mov_b32 s7, 0
	s_set_inst_prefetch_distance 0x1
	s_branch .LBB141_199
	.p2align	6
.LBB141_198:                            ;   in Loop: Header=BB141_199 Depth=1
	s_lshl_b64 s[8:9], s[8:9], 3
	s_delay_alu instid0(SALU_CYCLE_1)
	s_add_u32 s8, s36, s8
	s_addc_u32 s9, s37, s9
	s_add_u32 s4, s4, 1
	s_addc_u32 s5, s5, 0
	;; [unrolled: 2-line block ×3, first 2 shown]
	s_cmp_lg_u32 s4, s24
	global_store_b64 v4, v[0:1], s[8:9]
	s_cbranch_scc0 .LBB141_205
.LBB141_199:                            ; =>This Loop Header: Depth=1
                                        ;     Child Loop BB141_201 Depth 2
	s_mov_b32 s6, s4
	s_mov_b64 s[10:11], s[0:1]
	s_lshl_b64 s[8:9], s[6:7], 3
	s_delay_alu instid0(SALU_CYCLE_1)
	s_add_u32 s8, s36, s8
	s_addc_u32 s9, s37, s9
	global_load_b64 v[0:1], v4, s[8:9]
	s_mov_b64 s[8:9], s[4:5]
	s_branch .LBB141_201
	.p2align	6
.LBB141_200:                            ;   in Loop: Header=BB141_201 Depth=2
	s_add_u32 s12, s8, -4
	s_addc_u32 s13, s9, -1
	s_cmp_lt_i32 s8, 8
	global_store_b64 v4, v[2:3], s[10:11]
	s_mov_b32 s6, 0
	s_cselect_b32 s17, -1, 0
	s_mov_b64 s[8:9], s[12:13]
	s_mov_b64 s[10:11], s[14:15]
	s_and_not1_b32 vcc_lo, exec_lo, s17
	s_cbranch_vccz .LBB141_203
.LBB141_201:                            ;   Parent Loop BB141_199 Depth=1
                                        ; =>  This Inner Loop Header: Depth=2
	global_load_b64 v[2:3], v4, s[10:11] offset:-32
	s_add_u32 s14, s10, 0xffffffe0
	s_addc_u32 s15, s11, -1
	s_mov_b32 s6, -1
	s_waitcnt vmcnt(0)
	v_cmp_nlt_f64_e32 vcc_lo, v[2:3], v[0:1]
	s_cbranch_vccz .LBB141_200
; %bb.202:                              ;   in Loop: Header=BB141_199 Depth=1
                                        ; implicit-def: $sgpr10_sgpr11
                                        ; implicit-def: $sgpr12_sgpr13
.LBB141_203:                            ;   in Loop: Header=BB141_199 Depth=1
	s_and_not1_b32 vcc_lo, exec_lo, s6
	s_cbranch_vccz .LBB141_198
; %bb.204:                              ;   in Loop: Header=BB141_199 Depth=1
	s_bfe_i64 s[8:9], s[12:13], 0x200000
	s_branch .LBB141_198
.LBB141_205:
	s_set_inst_prefetch_distance 0x2
	s_cmp_lt_i32 s24, 2
	s_cbranch_scc1 .LBB141_212
; %bb.206:
	s_add_u32 s0, s50, s52
	v_mov_b32_e32 v4, 0
	s_addc_u32 s1, s51, s53
	s_add_u32 s0, s0, 8
	s_addc_u32 s1, s1, 0
	s_mov_b64 s[4:5], 1
	s_mov_b32 s7, 0
	s_set_inst_prefetch_distance 0x1
	s_branch .LBB141_208
	.p2align	6
.LBB141_207:                            ;   in Loop: Header=BB141_208 Depth=1
	s_lshl_b64 s[8:9], s[12:13], 3
	s_delay_alu instid0(SALU_CYCLE_1)
	s_add_u32 s8, s36, s8
	s_addc_u32 s9, s37, s9
	s_add_u32 s4, s4, 1
	s_addc_u32 s5, s5, 0
	;; [unrolled: 2-line block ×3, first 2 shown]
	s_cmp_eq_u32 s4, s24
	global_store_b64 v4, v[0:1], s[8:9]
	s_cbranch_scc1 .LBB141_212
.LBB141_208:                            ; =>This Loop Header: Depth=1
                                        ;     Child Loop BB141_210 Depth 2
	s_mov_b32 s6, s4
	s_mov_b64 s[10:11], s[0:1]
	s_lshl_b64 s[8:9], s[6:7], 3
	s_delay_alu instid0(SALU_CYCLE_1)
	s_add_u32 s8, s36, s8
	s_addc_u32 s9, s37, s9
	global_load_b64 v[0:1], v4, s[8:9]
	s_mov_b64 s[8:9], s[4:5]
	s_branch .LBB141_210
	.p2align	6
.LBB141_209:                            ;   in Loop: Header=BB141_210 Depth=2
	global_store_b64 v4, v[2:3], s[10:11]
	s_add_u32 s10, s8, -1
	s_addc_u32 s11, s9, -1
	s_cmp_lt_i32 s8, 2
	s_mov_b64 s[12:13], 0
	s_cselect_b32 s6, -1, 0
	s_mov_b64 s[8:9], s[10:11]
	s_mov_b64 s[10:11], s[14:15]
	s_and_not1_b32 vcc_lo, exec_lo, s6
	s_cbranch_vccz .LBB141_207
.LBB141_210:                            ;   Parent Loop BB141_208 Depth=1
                                        ; =>  This Inner Loop Header: Depth=2
	global_load_b64 v[2:3], v4, s[10:11] offset:-8
	s_add_u32 s14, s10, -8
	s_addc_u32 s15, s11, -1
	s_mov_b32 s6, -1
	s_waitcnt vmcnt(0)
	v_cmp_nlt_f64_e32 vcc_lo, v[2:3], v[0:1]
	s_cbranch_vccz .LBB141_209
; %bb.211:                              ;   in Loop: Header=BB141_210 Depth=2
	s_mov_b64 s[12:13], s[8:9]
                                        ; implicit-def: $sgpr10_sgpr11
	s_and_not1_b32 vcc_lo, exec_lo, s6
	s_cbranch_vccnz .LBB141_210
	s_branch .LBB141_207
.LBB141_212:
	s_set_inst_prefetch_distance 0x2
	s_or_b32 exec_lo, exec_lo, s16
	s_cmp_lt_i32 s24, 2
	s_mov_b32 s56, 0
	s_cselect_b32 s5, -1, 0
	s_waitcnt_vscnt null, 0x0
	s_and_b32 vcc_lo, exec_lo, s5
	s_barrier
	buffer_gl0_inv
	s_cbranch_vccnz .LBB141_220
; %bb.213:
	s_add_i32 s4, s24, -1
	s_mov_b32 s5, -1
	s_mov_b32 s0, 0
	s_mov_b32 s1, exec_lo
	v_cmpx_gt_u32_e64 s4, v41
	s_cbranch_execz .LBB141_222
; %bb.214:
	v_dual_mov_b32 v1, 0 :: v_dual_mov_b32 v0, v41
	s_add_u32 s5, s36, 8
	s_addc_u32 s8, s37, 0
	s_mov_b32 s6, 0
                                        ; implicit-def: $sgpr7
	s_set_inst_prefetch_distance 0x1
	s_branch .LBB141_216
	.p2align	6
.LBB141_215:                            ;   in Loop: Header=BB141_216 Depth=1
	s_or_b32 exec_lo, exec_lo, s11
	s_xor_b32 s0, s0, -1
	s_and_b32 s9, exec_lo, s10
	s_delay_alu instid0(SALU_CYCLE_1) | instskip(SKIP_2) | instid1(SALU_CYCLE_1)
	s_or_b32 s6, s9, s6
	s_and_not1_b32 s7, s7, exec_lo
	s_and_b32 s0, s0, exec_lo
	s_or_b32 s7, s7, s0
	s_and_not1_b32 exec_lo, exec_lo, s6
	s_cbranch_execz .LBB141_221
.LBB141_216:                            ; =>This Inner Loop Header: Depth=1
	v_lshlrev_b64 v[2:3], 3, v[0:1]
	s_mov_b32 s10, exec_lo
                                        ; implicit-def: $sgpr0
	s_delay_alu instid0(VALU_DEP_1) | instskip(NEXT) | instid1(VALU_DEP_2)
	v_add_co_u32 v2, vcc_lo, s36, v2
	v_add_co_ci_u32_e32 v3, vcc_lo, s37, v3, vcc_lo
	global_load_b64 v[2:3], v[2:3], off
	s_waitcnt vmcnt(0)
	v_cmp_u_f64_e64 s9, v[2:3], v[2:3]
	v_cmpx_o_f64_e32 v[2:3], v[2:3]
	s_cbranch_execz .LBB141_218
; %bb.217:                              ;   in Loop: Header=BB141_216 Depth=1
	v_ashrrev_i32_e32 v5, 31, v0
	v_mov_b32_e32 v4, v0
	s_delay_alu instid0(VALU_DEP_4) | instskip(NEXT) | instid1(VALU_DEP_1)
	s_and_not1_b32 s9, s9, exec_lo
	v_lshlrev_b64 v[4:5], 3, v[4:5]
	s_delay_alu instid0(VALU_DEP_1) | instskip(NEXT) | instid1(VALU_DEP_2)
	v_add_co_u32 v4, vcc_lo, s5, v4
	v_add_co_ci_u32_e32 v5, vcc_lo, s8, v5, vcc_lo
	global_load_b64 v[4:5], v[4:5], off
	s_waitcnt vmcnt(0)
	v_cmp_u_f64_e32 vcc_lo, v[4:5], v[4:5]
	v_cmp_ge_f64_e64 s0, v[2:3], v[4:5]
	s_delay_alu instid0(VALU_DEP_1) | instskip(NEXT) | instid1(SALU_CYCLE_1)
	s_or_b32 s0, vcc_lo, s0
	s_and_b32 s11, s0, exec_lo
	s_mov_b32 s0, -1
	s_or_b32 s9, s9, s11
.LBB141_218:                            ;   in Loop: Header=BB141_216 Depth=1
	s_or_b32 exec_lo, exec_lo, s10
	s_mov_b32 s10, -1
	s_delay_alu instid0(VALU_DEP_2)
	s_and_saveexec_b32 s11, s9
	s_cbranch_execz .LBB141_215
; %bb.219:                              ;   in Loop: Header=BB141_216 Depth=1
	v_add_nc_u32_e32 v0, s46, v0
	s_and_not1_b32 s0, s0, exec_lo
	s_delay_alu instid0(VALU_DEP_1)
	v_cmp_le_u32_e32 vcc_lo, s4, v0
	s_or_not1_b32 s10, vcc_lo, exec_lo
	s_branch .LBB141_215
.LBB141_220:
	s_mov_b32 s0, 0
	s_branch .LBB141_223
.LBB141_221:
	s_set_inst_prefetch_distance 0x2
	s_or_b32 exec_lo, exec_lo, s6
	s_delay_alu instid0(SALU_CYCLE_1)
	s_mov_b32 s0, exec_lo
	s_or_not1_b32 s5, s7, exec_lo
.LBB141_222:
	s_or_b32 exec_lo, exec_lo, s1
.LBB141_223:
	s_and_saveexec_b32 s1, s5
	s_cbranch_execz .LBB141_225
; %bb.224:
	s_mov_b32 s56, exec_lo
	s_barrier
	s_and_not1_b32 s0, s0, exec_lo
	buffer_gl0_inv
.LBB141_225:
	s_or_b32 exec_lo, exec_lo, s1
	s_and_saveexec_b32 s40, s0
	s_cbranch_execz .LBB141_227
; %bb.226:
	s_add_u32 s8, s2, 0x90
	s_addc_u32 s9, s3, 0
	s_getpc_b64 s[0:1]
	s_add_u32 s0, s0, __PRETTY_FUNCTION__._ZN9rocsolver6v33100L21shell_sort_descendingIdiEEvT0_PT_PS2_@rel32@lo+4
	s_addc_u32 s1, s1, __PRETTY_FUNCTION__._ZN9rocsolver6v33100L21shell_sort_descendingIdiEEvT0_PT_PS2_@rel32@hi+12
	s_delay_alu instid0(SALU_CYCLE_1) | instskip(SKIP_3) | instid1(SALU_CYCLE_1)
	v_dual_mov_b32 v0, s0 :: v_dual_mov_b32 v1, s1
	s_getpc_b64 s[2:3]
	s_add_u32 s2, s2, __assert_fail@rel32@lo+4
	s_addc_u32 s3, s3, __assert_fail@rel32@hi+12
	s_swappc_b64 s[30:31], s[2:3]
	s_or_b32 s54, s54, exec_lo
.LBB141_227:
	s_or_b32 exec_lo, exec_lo, s40
.LBB141_228:
	s_and_saveexec_b32 s0, s54
; %bb.229:
	; divergent unreachable
; %bb.230:
	s_delay_alu instid0(SALU_CYCLE_1)
	s_or_b32 exec_lo, exec_lo, s0
	s_and_saveexec_b32 s0, s56
	s_cbranch_execz .LBB141_232
; %bb.231:
	s_waitcnt_vscnt null, 0x0
	s_barrier
	buffer_gl0_inv
.LBB141_232:
	s_or_b32 exec_lo, exec_lo, s0
	s_cbranch_execnz .LBB141_256
.LBB141_233:
	s_cmp_lt_i32 s24, 2
	s_cbranch_scc1 .LBB141_256
; %bb.234:
	s_cmp_lg_u32 s25, 0
	v_mul_lo_u32 v3, s47, v41
	s_cselect_b32 s14, -1, 0
	s_cmp_lg_u32 s26, 0
	v_mul_lo_u32 v4, s49, v41
	s_cselect_b32 s15, -1, 0
	s_cmp_lg_u32 s27, 0
	v_lshl_add_u32 v2, v42, 4, 0xc000
	s_cselect_b32 s16, -1, 0
	s_add_i32 s17, s24, -2
	v_cmp_eq_u32_e64 s0, 0, v41
	v_cmp_gt_i32_e64 s1, s25, v41
	v_cmp_gt_i32_e64 s2, s26, v41
	;; [unrolled: 1-line block ×3, first 2 shown]
	s_add_u32 s4, s50, s52
	v_mov_b32_e32 v5, 0
	s_addc_u32 s7, s51, s53
	s_add_u32 s6, s4, 8
	s_mov_b32 s5, 0
	s_addc_u32 s7, s7, 0
	s_mul_i32 s18, s47, s21
	s_mul_i32 s19, s49, s21
	s_mov_b32 s20, 0
	s_mov_b32 s30, 0
	s_branch .LBB141_237
.LBB141_235:                            ;   in Loop: Header=BB141_237 Depth=1
	s_set_inst_prefetch_distance 0x2
	s_or_b32 exec_lo, exec_lo, s9
	s_waitcnt lgkmcnt(0)
	s_waitcnt_vscnt null, 0x0
	s_barrier
	buffer_gl0_inv
.LBB141_236:                            ;   in Loop: Header=BB141_237 Depth=1
	s_add_u32 s6, s6, 8
	s_addc_u32 s7, s7, 0
	s_add_i32 s20, s20, s43
	s_cmp_eq_u32 s4, s17
	s_cbranch_scc1 .LBB141_256
.LBB141_237:                            ; =>This Loop Header: Depth=1
                                        ;     Child Loop BB141_238 Depth 2
                                        ;     Child Loop BB141_245 Depth 2
	;; [unrolled: 1-line block ×4, first 2 shown]
	s_mov_b32 s4, s30
	s_mov_b64 s[12:13], s[6:7]
	s_lshl_b64 s[8:9], s[4:5], 3
	s_delay_alu instid0(SALU_CYCLE_1)
	s_add_u32 s10, s36, s8
	s_addc_u32 s11, s37, s9
	s_add_i32 s30, s30, 1
	global_load_b64 v[0:1], v5, s[10:11]
	s_mov_b32 s9, s30
	s_mov_b32 s8, s4
.LBB141_238:                            ;   Parent Loop BB141_237 Depth=1
                                        ; =>  This Inner Loop Header: Depth=2
	global_load_b64 v[6:7], v5, s[12:13]
	s_waitcnt vmcnt(0)
	v_cmp_gt_f64_e32 vcc_lo, v[6:7], v[0:1]
	s_and_b32 s31, vcc_lo, exec_lo
	v_dual_cndmask_b32 v1, v1, v7 :: v_dual_cndmask_b32 v0, v0, v6
	s_cselect_b32 s8, s9, s8
	s_add_i32 s9, s9, 1
	s_add_u32 s12, s12, 8
	s_addc_u32 s13, s13, 0
	s_cmp_lt_i32 s9, s24
	s_cbranch_scc1 .LBB141_238
; %bb.239:                              ;   in Loop: Header=BB141_237 Depth=1
	s_cmp_eq_u32 s8, s4
	s_waitcnt_vscnt null, 0x0
	s_barrier
	buffer_gl0_inv
	s_cbranch_scc1 .LBB141_236
; %bb.240:                              ;   in Loop: Header=BB141_237 Depth=1
	s_and_saveexec_b32 s12, s0
	s_cbranch_execz .LBB141_242
; %bb.241:                              ;   in Loop: Header=BB141_237 Depth=1
	global_load_b64 v[6:7], v5, s[10:11]
	s_ashr_i32 s9, s8, 31
	s_delay_alu instid0(SALU_CYCLE_1) | instskip(NEXT) | instid1(SALU_CYCLE_1)
	s_lshl_b64 s[40:41], s[8:9], 3
	s_add_u32 s40, s36, s40
	s_addc_u32 s41, s37, s41
	s_waitcnt vmcnt(0)
	s_clause 0x1
	global_store_b64 v5, v[6:7], s[40:41]
	global_store_b64 v5, v[0:1], s[10:11]
.LBB141_242:                            ;   in Loop: Header=BB141_237 Depth=1
	s_or_b32 exec_lo, exec_lo, s12
	s_delay_alu instid0(SALU_CYCLE_1)
	s_and_not1_b32 vcc_lo, exec_lo, s14
	s_cbranch_vccnz .LBB141_247
; %bb.243:                              ;   in Loop: Header=BB141_237 Depth=1
	s_and_saveexec_b32 s9, s1
	s_cbranch_execz .LBB141_246
; %bb.244:                              ;   in Loop: Header=BB141_237 Depth=1
	v_dual_mov_b32 v0, v3 :: v_dual_mov_b32 v1, v41
	s_mov_b32 s10, 0
	.p2align	6
.LBB141_245:                            ;   Parent Loop BB141_237 Depth=1
                                        ; =>  This Inner Loop Header: Depth=2
	s_delay_alu instid0(VALU_DEP_1) | instskip(SKIP_1) | instid1(VALU_DEP_3)
	v_add_nc_u32_e32 v6, s4, v0
	v_add_nc_u32_e32 v8, s8, v0
	;; [unrolled: 1-line block ×4, first 2 shown]
	s_delay_alu instid0(VALU_DEP_4) | instskip(NEXT) | instid1(VALU_DEP_4)
	v_ashrrev_i32_e32 v7, 31, v6
	v_ashrrev_i32_e32 v9, 31, v8
	s_delay_alu instid0(VALU_DEP_2) | instskip(NEXT) | instid1(VALU_DEP_2)
	v_lshlrev_b64 v[6:7], 4, v[6:7]
	v_lshlrev_b64 v[8:9], 4, v[8:9]
	s_delay_alu instid0(VALU_DEP_2) | instskip(NEXT) | instid1(VALU_DEP_3)
	v_add_co_u32 v14, vcc_lo, s34, v6
	v_add_co_ci_u32_e32 v15, vcc_lo, s35, v7, vcc_lo
	s_delay_alu instid0(VALU_DEP_3) | instskip(NEXT) | instid1(VALU_DEP_4)
	v_add_co_u32 v16, vcc_lo, s34, v8
	v_add_co_ci_u32_e32 v17, vcc_lo, s35, v9, vcc_lo
	v_cmp_le_i32_e32 vcc_lo, s25, v1
	s_clause 0x1
	flat_load_b128 v[6:9], v[14:15]
	flat_load_b128 v[10:13], v[16:17]
	s_waitcnt vmcnt(1) lgkmcnt(1)
	flat_store_b128 v[16:17], v[6:9]
	s_waitcnt vmcnt(0) lgkmcnt(1)
	flat_store_b128 v[14:15], v[10:13]
	s_or_b32 s10, vcc_lo, s10
	s_delay_alu instid0(SALU_CYCLE_1)
	s_and_not1_b32 exec_lo, exec_lo, s10
	s_cbranch_execnz .LBB141_245
.LBB141_246:                            ;   in Loop: Header=BB141_237 Depth=1
	s_or_b32 exec_lo, exec_lo, s9
	s_waitcnt lgkmcnt(0)
	s_waitcnt_vscnt null, 0x0
	s_barrier
	buffer_gl0_inv
.LBB141_247:                            ;   in Loop: Header=BB141_237 Depth=1
	s_and_not1_b32 vcc_lo, exec_lo, s15
	s_cbranch_vccnz .LBB141_252
; %bb.248:                              ;   in Loop: Header=BB141_237 Depth=1
	s_and_saveexec_b32 s9, s2
	s_cbranch_execz .LBB141_251
; %bb.249:                              ;   in Loop: Header=BB141_237 Depth=1
	v_mov_b32_e32 v0, v41
	s_mul_i32 s10, s8, s43
	s_mov_b32 s11, 0
	.p2align	6
.LBB141_250:                            ;   Parent Loop BB141_237 Depth=1
                                        ; =>  This Inner Loop Header: Depth=2
	s_delay_alu instid0(VALU_DEP_1) | instskip(SKIP_2) | instid1(VALU_DEP_3)
	v_add_nc_u32_e32 v6, s20, v0
	v_add_nc_u32_e32 v8, s10, v0
	;; [unrolled: 1-line block ×3, first 2 shown]
	v_ashrrev_i32_e32 v7, 31, v6
	s_delay_alu instid0(VALU_DEP_3) | instskip(NEXT) | instid1(VALU_DEP_2)
	v_ashrrev_i32_e32 v9, 31, v8
	v_lshlrev_b64 v[6:7], 4, v[6:7]
	s_delay_alu instid0(VALU_DEP_2) | instskip(NEXT) | instid1(VALU_DEP_2)
	v_lshlrev_b64 v[8:9], 4, v[8:9]
	v_add_co_u32 v14, vcc_lo, s28, v6
	s_delay_alu instid0(VALU_DEP_3) | instskip(NEXT) | instid1(VALU_DEP_3)
	v_add_co_ci_u32_e32 v15, vcc_lo, s29, v7, vcc_lo
	v_add_co_u32 v16, vcc_lo, s28, v8
	s_delay_alu instid0(VALU_DEP_4)
	v_add_co_ci_u32_e32 v17, vcc_lo, s29, v9, vcc_lo
	v_cmp_le_i32_e32 vcc_lo, s26, v0
	s_clause 0x1
	flat_load_b128 v[6:9], v[14:15]
	flat_load_b128 v[10:13], v[16:17]
	s_waitcnt vmcnt(1) lgkmcnt(1)
	flat_store_b128 v[16:17], v[6:9]
	s_waitcnt vmcnt(0) lgkmcnt(1)
	flat_store_b128 v[14:15], v[10:13]
	s_or_b32 s11, vcc_lo, s11
	s_delay_alu instid0(SALU_CYCLE_1)
	s_and_not1_b32 exec_lo, exec_lo, s11
	s_cbranch_execnz .LBB141_250
.LBB141_251:                            ;   in Loop: Header=BB141_237 Depth=1
	s_or_b32 exec_lo, exec_lo, s9
	s_waitcnt lgkmcnt(0)
	s_waitcnt_vscnt null, 0x0
	s_barrier
	buffer_gl0_inv
.LBB141_252:                            ;   in Loop: Header=BB141_237 Depth=1
	s_and_not1_b32 vcc_lo, exec_lo, s16
	s_cbranch_vccnz .LBB141_236
; %bb.253:                              ;   in Loop: Header=BB141_237 Depth=1
	s_and_saveexec_b32 s9, s3
	s_cbranch_execz .LBB141_235
; %bb.254:                              ;   in Loop: Header=BB141_237 Depth=1
	v_dual_mov_b32 v0, v4 :: v_dual_mov_b32 v1, v41
	s_mov_b32 s10, 0
	s_set_inst_prefetch_distance 0x1
	.p2align	6
.LBB141_255:                            ;   Parent Loop BB141_237 Depth=1
                                        ; =>  This Inner Loop Header: Depth=2
	s_delay_alu instid0(VALU_DEP_1) | instskip(SKIP_3) | instid1(VALU_DEP_4)
	v_add_nc_u32_e32 v6, s8, v0
	v_add_nc_u32_e32 v12, s4, v0
	;; [unrolled: 1-line block ×4, first 2 shown]
	v_ashrrev_i32_e32 v7, 31, v6
	s_delay_alu instid0(VALU_DEP_4) | instskip(NEXT) | instid1(VALU_DEP_2)
	v_ashrrev_i32_e32 v13, 31, v12
	v_lshlrev_b64 v[6:7], 4, v[6:7]
	s_delay_alu instid0(VALU_DEP_2) | instskip(NEXT) | instid1(VALU_DEP_2)
	v_lshlrev_b64 v[12:13], 4, v[12:13]
	v_add_co_u32 v10, vcc_lo, s44, v6
	s_delay_alu instid0(VALU_DEP_3) | instskip(NEXT) | instid1(VALU_DEP_3)
	v_add_co_ci_u32_e32 v11, vcc_lo, s45, v7, vcc_lo
	v_add_co_u32 v12, vcc_lo, s44, v12
	s_delay_alu instid0(VALU_DEP_4)
	v_add_co_ci_u32_e32 v13, vcc_lo, s45, v13, vcc_lo
	flat_load_b128 v[6:9], v[10:11]
	v_cmp_le_i32_e32 vcc_lo, s27, v1
	s_or_b32 s10, vcc_lo, s10
	s_waitcnt vmcnt(0) lgkmcnt(0)
	ds_store_2addr_b64 v2, v[6:7], v[8:9] offset1:1
	flat_load_b128 v[6:9], v[12:13]
	s_waitcnt vmcnt(0) lgkmcnt(0)
	flat_store_b128 v[10:11], v[6:9]
	ds_load_2addr_b64 v[6:9], v2 offset1:1
	s_waitcnt lgkmcnt(0)
	flat_store_b128 v[12:13], v[6:9]
	s_and_not1_b32 exec_lo, exec_lo, s10
	s_cbranch_execnz .LBB141_255
	s_branch .LBB141_235
.LBB141_256:
	s_mov_b32 s4, 0
.LBB141_257:
	s_delay_alu instid0(SALU_CYCLE_1)
	s_and_not1_b32 vcc_lo, exec_lo, s4
	s_cbranch_vccnz .LBB141_260
; %bb.258:
	s_mov_b32 s0, exec_lo
	v_cmpx_eq_u32_e32 0, v41
	s_cbranch_execz .LBB141_260
; %bb.259:
	v_dual_mov_b32 v0, 0 :: v_dual_mov_b32 v1, s42
	s_add_u32 s0, s38, s22
	s_addc_u32 s1, s39, s23
	global_store_b32 v0, v1, s[0:1]
.LBB141_260:
	s_endpgm
	.section	.rodata,"a",@progbits
	.p2align	6, 0x0
	.amdhsa_kernel _ZN9rocsolver6v33100L14bdsqr_finalizeI19rocblas_complex_numIdEdPS3_S4_S4_EEviiiiPT0_lS6_lT1_iilT2_iilT3_iilPiSA_SA_
		.amdhsa_group_segment_fixed_size 65536
		.amdhsa_private_segment_fixed_size 112
		.amdhsa_kernarg_size 400
		.amdhsa_user_sgpr_count 14
		.amdhsa_user_sgpr_dispatch_ptr 1
		.amdhsa_user_sgpr_queue_ptr 0
		.amdhsa_user_sgpr_kernarg_segment_ptr 1
		.amdhsa_user_sgpr_dispatch_id 0
		.amdhsa_user_sgpr_private_segment_size 0
		.amdhsa_wavefront_size32 1
		.amdhsa_uses_dynamic_stack 0
		.amdhsa_enable_private_segment 1
		.amdhsa_system_sgpr_workgroup_id_x 1
		.amdhsa_system_sgpr_workgroup_id_y 1
		.amdhsa_system_sgpr_workgroup_id_z 0
		.amdhsa_system_sgpr_workgroup_info 0
		.amdhsa_system_vgpr_workitem_id 2
		.amdhsa_next_free_vgpr 46
		.amdhsa_next_free_sgpr 60
		.amdhsa_reserve_vcc 1
		.amdhsa_float_round_mode_32 0
		.amdhsa_float_round_mode_16_64 0
		.amdhsa_float_denorm_mode_32 3
		.amdhsa_float_denorm_mode_16_64 3
		.amdhsa_dx10_clamp 1
		.amdhsa_ieee_mode 1
		.amdhsa_fp16_overflow 0
		.amdhsa_workgroup_processor_mode 1
		.amdhsa_memory_ordered 1
		.amdhsa_forward_progress 0
		.amdhsa_shared_vgpr_count 0
		.amdhsa_exception_fp_ieee_invalid_op 0
		.amdhsa_exception_fp_denorm_src 0
		.amdhsa_exception_fp_ieee_div_zero 0
		.amdhsa_exception_fp_ieee_overflow 0
		.amdhsa_exception_fp_ieee_underflow 0
		.amdhsa_exception_fp_ieee_inexact 0
		.amdhsa_exception_int_div_zero 0
	.end_amdhsa_kernel
	.section	.text._ZN9rocsolver6v33100L14bdsqr_finalizeI19rocblas_complex_numIdEdPS3_S4_S4_EEviiiiPT0_lS6_lT1_iilT2_iilT3_iilPiSA_SA_,"axG",@progbits,_ZN9rocsolver6v33100L14bdsqr_finalizeI19rocblas_complex_numIdEdPS3_S4_S4_EEviiiiPT0_lS6_lT1_iilT2_iilT3_iilPiSA_SA_,comdat
.Lfunc_end141:
	.size	_ZN9rocsolver6v33100L14bdsqr_finalizeI19rocblas_complex_numIdEdPS3_S4_S4_EEviiiiPT0_lS6_lT1_iilT2_iilT3_iilPiSA_SA_, .Lfunc_end141-_ZN9rocsolver6v33100L14bdsqr_finalizeI19rocblas_complex_numIdEdPS3_S4_S4_EEviiiiPT0_lS6_lT1_iilT2_iilT3_iilPiSA_SA_
                                        ; -- End function
	.section	.AMDGPU.csdata,"",@progbits
; Kernel info:
; codeLenInByte = 8724
; NumSgprs: 62
; NumVgprs: 46
; ScratchSize: 112
; MemoryBound: 0
; FloatMode: 240
; IeeeMode: 1
; LDSByteSize: 65536 bytes/workgroup (compile time only)
; SGPRBlocks: 7
; VGPRBlocks: 5
; NumSGPRsForWavesPerEU: 62
; NumVGPRsForWavesPerEU: 46
; Occupancy: 16
; WaveLimiterHint : 1
; COMPUTE_PGM_RSRC2:SCRATCH_EN: 1
; COMPUTE_PGM_RSRC2:USER_SGPR: 14
; COMPUTE_PGM_RSRC2:TRAP_HANDLER: 0
; COMPUTE_PGM_RSRC2:TGID_X_EN: 1
; COMPUTE_PGM_RSRC2:TGID_Y_EN: 1
; COMPUTE_PGM_RSRC2:TGID_Z_EN: 0
; COMPUTE_PGM_RSRC2:TIDIG_COMP_CNT: 2
	.section	.text._ZN9rocsolver6v33100L8copy_matI19rocblas_complex_numIdEPS3_S4_NS0_7no_maskEEEviiT0_iilT1_iilT2_13rocblas_fill_17rocblas_diagonal_,"axG",@progbits,_ZN9rocsolver6v33100L8copy_matI19rocblas_complex_numIdEPS3_S4_NS0_7no_maskEEEviiT0_iilT1_iilT2_13rocblas_fill_17rocblas_diagonal_,comdat
	.globl	_ZN9rocsolver6v33100L8copy_matI19rocblas_complex_numIdEPS3_S4_NS0_7no_maskEEEviiT0_iilT1_iilT2_13rocblas_fill_17rocblas_diagonal_ ; -- Begin function _ZN9rocsolver6v33100L8copy_matI19rocblas_complex_numIdEPS3_S4_NS0_7no_maskEEEviiT0_iilT1_iilT2_13rocblas_fill_17rocblas_diagonal_
	.p2align	8
	.type	_ZN9rocsolver6v33100L8copy_matI19rocblas_complex_numIdEPS3_S4_NS0_7no_maskEEEviiT0_iilT1_iilT2_13rocblas_fill_17rocblas_diagonal_,@function
_ZN9rocsolver6v33100L8copy_matI19rocblas_complex_numIdEPS3_S4_NS0_7no_maskEEEviiT0_iilT1_iilT2_13rocblas_fill_17rocblas_diagonal_: ; @_ZN9rocsolver6v33100L8copy_matI19rocblas_complex_numIdEPS3_S4_NS0_7no_maskEEEviiT0_iilT1_iilT2_13rocblas_fill_17rocblas_diagonal_
; %bb.0:
	s_clause 0x1
	s_load_b32 s4, s[0:1], 0x54
	s_load_b64 s[2:3], s[0:1], 0x0
	v_and_b32_e32 v2, 0x3ff, v0
	v_bfe_u32 v3, v0, 10, 10
	s_waitcnt lgkmcnt(0)
	s_lshr_b32 s5, s4, 16
	s_and_b32 s4, s4, 0xffff
	s_delay_alu instid0(VALU_DEP_1) | instid1(SALU_CYCLE_1)
	v_mad_u64_u32 v[0:1], null, s13, s4, v[2:3]
	v_mad_u64_u32 v[1:2], null, s14, s5, v[3:4]
	s_delay_alu instid0(VALU_DEP_2) | instskip(NEXT) | instid1(VALU_DEP_2)
	v_cmp_gt_u32_e32 vcc_lo, s2, v0
	v_cmp_gt_u32_e64 s2, s3, v1
	s_delay_alu instid0(VALU_DEP_1) | instskip(NEXT) | instid1(SALU_CYCLE_1)
	s_and_b32 s2, s2, vcc_lo
	s_and_saveexec_b32 s3, s2
	s_cbranch_execz .LBB142_14
; %bb.1:
	s_load_b64 s[4:5], s[0:1], 0x3c
	s_waitcnt lgkmcnt(0)
	s_cmpk_lt_i32 s4, 0x7a
	s_cbranch_scc1 .LBB142_4
; %bb.2:
	s_cmpk_gt_i32 s4, 0x7a
	s_cbranch_scc0 .LBB142_5
; %bb.3:
	s_cmpk_lg_i32 s4, 0x7b
	s_mov_b32 s3, -1
	s_cselect_b32 s6, -1, 0
	s_cbranch_execz .LBB142_6
	s_branch .LBB142_7
.LBB142_4:
	s_mov_b32 s6, 0
	s_mov_b32 s3, 0
	s_cbranch_execnz .LBB142_8
	s_branch .LBB142_10
.LBB142_5:
	s_mov_b32 s3, 0
	s_mov_b32 s6, 0
.LBB142_6:
	v_cmp_gt_u32_e32 vcc_lo, v0, v1
	v_cmp_le_u32_e64 s2, v0, v1
	s_and_not1_b32 s3, s3, exec_lo
	s_and_not1_b32 s6, s6, exec_lo
	s_and_b32 s7, vcc_lo, exec_lo
	s_delay_alu instid0(VALU_DEP_1)
	s_and_b32 s2, s2, exec_lo
	s_or_b32 s3, s3, s7
	s_or_b32 s6, s6, s2
.LBB142_7:
	s_branch .LBB142_10
.LBB142_8:
	s_cmpk_eq_i32 s4, 0x79
	s_mov_b32 s6, -1
	s_cbranch_scc0 .LBB142_10
; %bb.9:
	v_cmp_gt_u32_e32 vcc_lo, v1, v0
	v_cmp_le_u32_e64 s2, v1, v0
	s_and_not1_b32 s3, s3, exec_lo
	s_and_b32 s4, vcc_lo, exec_lo
	s_delay_alu instid0(VALU_DEP_1)
	s_or_not1_b32 s6, s2, exec_lo
	s_or_b32 s3, s3, s4
.LBB142_10:
	s_and_saveexec_b32 s2, s6
; %bb.11:
	v_cmp_eq_u32_e32 vcc_lo, v0, v1
	s_cmpk_eq_i32 s5, 0x83
	s_cselect_b32 s4, -1, 0
	s_and_not1_b32 s3, s3, exec_lo
	s_and_b32 s4, s4, vcc_lo
	s_delay_alu instid0(SALU_CYCLE_1) | instskip(NEXT) | instid1(SALU_CYCLE_1)
	s_and_b32 s4, s4, exec_lo
	s_or_b32 s3, s3, s4
; %bb.12:
	s_or_b32 exec_lo, exec_lo, s2
	s_delay_alu instid0(SALU_CYCLE_1)
	s_and_b32 exec_lo, exec_lo, s3
	s_cbranch_execz .LBB142_14
; %bb.13:
	s_load_b256 s[4:11], s[0:1], 0x8
	s_waitcnt lgkmcnt(0)
	v_mad_u64_u32 v[5:6], null, v1, s7, v[0:1]
	s_mul_i32 s2, s15, s9
	s_mul_hi_u32 s9, s15, s8
	v_mov_b32_e32 v6, 0
	s_mul_i32 s8, s15, s8
	s_add_i32 s9, s9, s2
	s_ashr_i32 s3, s6, 31
	s_lshl_b64 s[8:9], s[8:9], 4
	s_mov_b32 s2, s6
	v_lshlrev_b64 v[2:3], 4, v[5:6]
	s_add_u32 s4, s4, s8
	s_addc_u32 s5, s5, s9
	s_lshl_b64 s[2:3], s[2:3], 4
	s_delay_alu instid0(SALU_CYCLE_1)
	s_add_u32 s2, s4, s2
	s_addc_u32 s3, s5, s3
	v_add_co_u32 v2, vcc_lo, s2, v2
	v_add_co_ci_u32_e32 v3, vcc_lo, s3, v3, vcc_lo
	s_load_b128 s[0:3], s[0:1], 0x28
	global_load_b128 v[2:5], v[2:3], off
	s_waitcnt lgkmcnt(0)
	v_mad_u64_u32 v[7:8], null, v1, s1, v[0:1]
	s_mul_i32 s3, s15, s3
	s_mul_hi_u32 s4, s15, s2
	v_mov_b32_e32 v8, v6
	s_add_i32 s3, s4, s3
	s_mul_i32 s2, s15, s2
	s_ashr_i32 s5, s0, 31
	s_lshl_b64 s[2:3], s[2:3], 4
	s_mov_b32 s4, s0
	v_lshlrev_b64 v[0:1], 4, v[7:8]
	s_add_u32 s2, s10, s2
	s_addc_u32 s3, s11, s3
	s_lshl_b64 s[0:1], s[4:5], 4
	s_delay_alu instid0(SALU_CYCLE_1)
	s_add_u32 s0, s2, s0
	s_addc_u32 s1, s3, s1
	v_add_co_u32 v0, vcc_lo, s0, v0
	v_add_co_ci_u32_e32 v1, vcc_lo, s1, v1, vcc_lo
	s_waitcnt vmcnt(0)
	global_store_b128 v[0:1], v[2:5], off
.LBB142_14:
	s_nop 0
	s_sendmsg sendmsg(MSG_DEALLOC_VGPRS)
	s_endpgm
	.section	.rodata,"a",@progbits
	.p2align	6, 0x0
	.amdhsa_kernel _ZN9rocsolver6v33100L8copy_matI19rocblas_complex_numIdEPS3_S4_NS0_7no_maskEEEviiT0_iilT1_iilT2_13rocblas_fill_17rocblas_diagonal_
		.amdhsa_group_segment_fixed_size 0
		.amdhsa_private_segment_fixed_size 0
		.amdhsa_kernarg_size 328
		.amdhsa_user_sgpr_count 13
		.amdhsa_user_sgpr_dispatch_ptr 0
		.amdhsa_user_sgpr_queue_ptr 0
		.amdhsa_user_sgpr_kernarg_segment_ptr 1
		.amdhsa_user_sgpr_dispatch_id 0
		.amdhsa_user_sgpr_private_segment_size 0
		.amdhsa_wavefront_size32 1
		.amdhsa_uses_dynamic_stack 0
		.amdhsa_enable_private_segment 0
		.amdhsa_system_sgpr_workgroup_id_x 1
		.amdhsa_system_sgpr_workgroup_id_y 1
		.amdhsa_system_sgpr_workgroup_id_z 1
		.amdhsa_system_sgpr_workgroup_info 0
		.amdhsa_system_vgpr_workitem_id 1
		.amdhsa_next_free_vgpr 9
		.amdhsa_next_free_sgpr 16
		.amdhsa_reserve_vcc 1
		.amdhsa_float_round_mode_32 0
		.amdhsa_float_round_mode_16_64 0
		.amdhsa_float_denorm_mode_32 3
		.amdhsa_float_denorm_mode_16_64 3
		.amdhsa_dx10_clamp 1
		.amdhsa_ieee_mode 1
		.amdhsa_fp16_overflow 0
		.amdhsa_workgroup_processor_mode 1
		.amdhsa_memory_ordered 1
		.amdhsa_forward_progress 0
		.amdhsa_shared_vgpr_count 0
		.amdhsa_exception_fp_ieee_invalid_op 0
		.amdhsa_exception_fp_denorm_src 0
		.amdhsa_exception_fp_ieee_div_zero 0
		.amdhsa_exception_fp_ieee_overflow 0
		.amdhsa_exception_fp_ieee_underflow 0
		.amdhsa_exception_fp_ieee_inexact 0
		.amdhsa_exception_int_div_zero 0
	.end_amdhsa_kernel
	.section	.text._ZN9rocsolver6v33100L8copy_matI19rocblas_complex_numIdEPS3_S4_NS0_7no_maskEEEviiT0_iilT1_iilT2_13rocblas_fill_17rocblas_diagonal_,"axG",@progbits,_ZN9rocsolver6v33100L8copy_matI19rocblas_complex_numIdEPS3_S4_NS0_7no_maskEEEviiT0_iilT1_iilT2_13rocblas_fill_17rocblas_diagonal_,comdat
.Lfunc_end142:
	.size	_ZN9rocsolver6v33100L8copy_matI19rocblas_complex_numIdEPS3_S4_NS0_7no_maskEEEviiT0_iilT1_iilT2_13rocblas_fill_17rocblas_diagonal_, .Lfunc_end142-_ZN9rocsolver6v33100L8copy_matI19rocblas_complex_numIdEPS3_S4_NS0_7no_maskEEEviiT0_iilT1_iilT2_13rocblas_fill_17rocblas_diagonal_
                                        ; -- End function
	.section	.AMDGPU.csdata,"",@progbits
; Kernel info:
; codeLenInByte = 540
; NumSgprs: 18
; NumVgprs: 9
; ScratchSize: 0
; MemoryBound: 0
; FloatMode: 240
; IeeeMode: 1
; LDSByteSize: 0 bytes/workgroup (compile time only)
; SGPRBlocks: 2
; VGPRBlocks: 1
; NumSGPRsForWavesPerEU: 18
; NumVGPRsForWavesPerEU: 9
; Occupancy: 16
; WaveLimiterHint : 0
; COMPUTE_PGM_RSRC2:SCRATCH_EN: 0
; COMPUTE_PGM_RSRC2:USER_SGPR: 13
; COMPUTE_PGM_RSRC2:TRAP_HANDLER: 0
; COMPUTE_PGM_RSRC2:TGID_X_EN: 1
; COMPUTE_PGM_RSRC2:TGID_Y_EN: 1
; COMPUTE_PGM_RSRC2:TGID_Z_EN: 1
; COMPUTE_PGM_RSRC2:TIDIG_COMP_CNT: 1
	.text
	.p2alignl 7, 3214868480
	.fill 96, 4, 3214868480
	.type	__const.__assert_fail.fmt,@object ; @__const.__assert_fail.fmt
	.section	.rodata.str1.16,"aMS",@progbits,1
	.p2align	4, 0x0
__const.__assert_fail.fmt:
	.asciz	"%s:%u: %s: Device-side assertion `%s' failed.\n"
	.size	__const.__assert_fail.fmt, 47

	.type	.str.3,@object                  ; @.str.3
	.section	.rodata.str1.1,"aMS",@progbits,1
.str.3:
	.asciz	"std::isnan(a[k]) || std::isnan(a[k + 1]) || a[k] >= a[k + 1]"
	.size	.str.3, 61

	.type	.str.4,@object                  ; @.str.4
.str.4:
	.asciz	"/root/src/amdgpu-assembly/repos/ROCm__rocSOLVER/library/src/include/lib_device_helpers.hpp"
	.size	.str.4, 91

	.type	__PRETTY_FUNCTION__._ZN9rocsolver6v33100L21shell_sort_descendingIfiEEvT0_PT_PS2_,@object ; @__PRETTY_FUNCTION__._ZN9rocsolver6v33100L21shell_sort_descendingIfiEEvT0_PT_PS2_
__PRETTY_FUNCTION__._ZN9rocsolver6v33100L21shell_sort_descendingIfiEEvT0_PT_PS2_:
	.asciz	"void rocsolver::shell_sort_descending(const I, S *, I *) [S = float, I = int]"
	.size	__PRETTY_FUNCTION__._ZN9rocsolver6v33100L21shell_sort_descendingIfiEEvT0_PT_PS2_, 78

	.type	__PRETTY_FUNCTION__._ZN9rocsolver6v33100L21shell_sort_descendingIdiEEvT0_PT_PS2_,@object ; @__PRETTY_FUNCTION__._ZN9rocsolver6v33100L21shell_sort_descendingIdiEEvT0_PT_PS2_
__PRETTY_FUNCTION__._ZN9rocsolver6v33100L21shell_sort_descendingIdiEEvT0_PT_PS2_:
	.asciz	"void rocsolver::shell_sort_descending(const I, S *, I *) [S = double, I = int]"
	.size	__PRETTY_FUNCTION__._ZN9rocsolver6v33100L21shell_sort_descendingIdiEEvT0_PT_PS2_, 79

	.type	__hip_cuid_8395aa6ae131df39,@object ; @__hip_cuid_8395aa6ae131df39
	.section	.bss,"aw",@nobits
	.globl	__hip_cuid_8395aa6ae131df39
__hip_cuid_8395aa6ae131df39:
	.byte	0                               ; 0x0
	.size	__hip_cuid_8395aa6ae131df39, 1

	.ident	"AMD clang version 19.0.0git (https://github.com/RadeonOpenCompute/llvm-project roc-6.4.0 25133 c7fe45cf4b819c5991fe208aaa96edf142730f1d)"
	.section	".note.GNU-stack","",@progbits
	.addrsig
	.addrsig_sym __hip_cuid_8395aa6ae131df39
	.amdgpu_metadata
---
amdhsa.kernels:
  - .args:
      - .address_space:  global
        .offset:         0
        .size:           8
        .value_kind:     global_buffer
      - .offset:         8
        .size:           4
        .value_kind:     by_value
      - .offset:         12
        .size:           4
        .value_kind:     by_value
    .group_segment_fixed_size: 0
    .kernarg_segment_align: 8
    .kernarg_segment_size: 16
    .language:       OpenCL C
    .language_version:
      - 2
      - 0
    .max_flat_workgroup_size: 32
    .name:           _ZN9rocsolver6v33100L6iota_nIfEEvPT_jS2_
    .private_segment_fixed_size: 0
    .sgpr_count:     6
    .sgpr_spill_count: 0
    .symbol:         _ZN9rocsolver6v33100L6iota_nIfEEvPT_jS2_.kd
    .uniform_work_group_size: 1
    .uses_dynamic_stack: false
    .vgpr_count:     2
    .vgpr_spill_count: 0
    .wavefront_size: 32
    .workgroup_processor_mode: 1
  - .args:
      - .offset:         0
        .size:           4
        .value_kind:     by_value
      - .offset:         4
        .size:           4
        .value_kind:     by_value
      - .address_space:  global
        .offset:         8
        .size:           8
        .value_kind:     global_buffer
      - .offset:         16
        .size:           8
        .value_kind:     by_value
      - .offset:         24
        .size:           4
        .value_kind:     by_value
      - .offset:         32
        .size:           8
        .value_kind:     by_value
      - .address_space:  global
        .offset:         40
        .size:           8
        .value_kind:     global_buffer
      - .offset:         48
        .size:           8
        .value_kind:     by_value
      - .address_space:  global
        .offset:         56
        .size:           8
        .value_kind:     global_buffer
      - .offset:         64
        .size:           8
        .value_kind:     by_value
    .group_segment_fixed_size: 0
    .kernarg_segment_align: 8
    .kernarg_segment_size: 72
    .language:       OpenCL C
    .language_version:
      - 2
      - 0
    .max_flat_workgroup_size: 256
    .name:           _ZN9rocsolver6v33100L18geqr2_kernel_smallILi256EfifPfEEvT1_S3_T3_lS3_lPT2_lPT0_l
    .private_segment_fixed_size: 0
    .sgpr_count:     38
    .sgpr_spill_count: 0
    .symbol:         _ZN9rocsolver6v33100L18geqr2_kernel_smallILi256EfifPfEEvT1_S3_T3_lS3_lPT2_lPT0_l.kd
    .uniform_work_group_size: 1
    .uses_dynamic_stack: false
    .vgpr_count:     27
    .vgpr_spill_count: 0
    .wavefront_size: 32
    .workgroup_processor_mode: 1
  - .args:
      - .address_space:  global
        .offset:         0
        .size:           8
        .value_kind:     global_buffer
      - .offset:         8
        .size:           8
        .value_kind:     by_value
      - .offset:         16
        .size:           4
        .value_kind:     by_value
      - .offset:         20
        .size:           4
        .value_kind:     by_value
      - .offset:         24
        .size:           4
        .value_kind:     hidden_block_count_x
      - .offset:         28
        .size:           4
        .value_kind:     hidden_block_count_y
      - .offset:         32
        .size:           4
        .value_kind:     hidden_block_count_z
      - .offset:         36
        .size:           2
        .value_kind:     hidden_group_size_x
      - .offset:         38
        .size:           2
        .value_kind:     hidden_group_size_y
      - .offset:         40
        .size:           2
        .value_kind:     hidden_group_size_z
      - .offset:         42
        .size:           2
        .value_kind:     hidden_remainder_x
      - .offset:         44
        .size:           2
        .value_kind:     hidden_remainder_y
      - .offset:         46
        .size:           2
        .value_kind:     hidden_remainder_z
      - .offset:         64
        .size:           8
        .value_kind:     hidden_global_offset_x
      - .offset:         72
        .size:           8
        .value_kind:     hidden_global_offset_y
      - .offset:         80
        .size:           8
        .value_kind:     hidden_global_offset_z
      - .offset:         88
        .size:           2
        .value_kind:     hidden_grid_dims
    .group_segment_fixed_size: 0
    .kernarg_segment_align: 8
    .kernarg_segment_size: 280
    .language:       OpenCL C
    .language_version:
      - 2
      - 0
    .max_flat_workgroup_size: 1024
    .name:           _ZN9rocsolver6v33100L16reset_batch_infoIfiiPfEEvT2_lT0_T1_
    .private_segment_fixed_size: 0
    .sgpr_count:     18
    .sgpr_spill_count: 0
    .symbol:         _ZN9rocsolver6v33100L16reset_batch_infoIfiiPfEEvT2_lT0_T1_.kd
    .uniform_work_group_size: 1
    .uses_dynamic_stack: false
    .vgpr_count:     3
    .vgpr_spill_count: 0
    .wavefront_size: 32
    .workgroup_processor_mode: 1
  - .args:
      - .address_space:  global
        .offset:         0
        .size:           8
        .value_kind:     global_buffer
      - .offset:         8
        .size:           8
        .value_kind:     by_value
      - .offset:         16
        .size:           8
        .value_kind:     by_value
      - .address_space:  global
        .offset:         24
        .size:           8
        .value_kind:     global_buffer
      - .offset:         32
        .size:           8
        .value_kind:     by_value
      - .offset:         40
        .size:           4
        .value_kind:     by_value
      - .offset:         48
        .size:           8
        .value_kind:     by_value
      - .offset:         56
        .size:           4
        .value_kind:     by_value
      - .offset:         60
        .size:           1
        .value_kind:     by_value
      - .offset:         64
        .size:           4
        .value_kind:     hidden_block_count_x
      - .offset:         68
        .size:           4
        .value_kind:     hidden_block_count_y
      - .offset:         72
        .size:           4
        .value_kind:     hidden_block_count_z
      - .offset:         76
        .size:           2
        .value_kind:     hidden_group_size_x
      - .offset:         78
        .size:           2
        .value_kind:     hidden_group_size_y
      - .offset:         80
        .size:           2
        .value_kind:     hidden_group_size_z
      - .offset:         82
        .size:           2
        .value_kind:     hidden_remainder_x
      - .offset:         84
        .size:           2
        .value_kind:     hidden_remainder_y
      - .offset:         86
        .size:           2
        .value_kind:     hidden_remainder_z
      - .offset:         104
        .size:           8
        .value_kind:     hidden_global_offset_x
      - .offset:         112
        .size:           8
        .value_kind:     hidden_global_offset_y
      - .offset:         120
        .size:           8
        .value_kind:     hidden_global_offset_z
      - .offset:         128
        .size:           2
        .value_kind:     hidden_grid_dims
    .group_segment_fixed_size: 0
    .kernarg_segment_align: 8
    .kernarg_segment_size: 320
    .language:       OpenCL C
    .language_version:
      - 2
      - 0
    .max_flat_workgroup_size: 1024
    .name:           _ZN9rocsolver6v33100L8set_diagIfifPfTnNSt9enable_ifIXoont18rocblas_is_complexIT_E18rocblas_is_complexIT1_EEiE4typeELi0EEEvPS5_llT2_lT0_lSA_b
    .private_segment_fixed_size: 0
    .sgpr_count:     19
    .sgpr_spill_count: 0
    .symbol:         _ZN9rocsolver6v33100L8set_diagIfifPfTnNSt9enable_ifIXoont18rocblas_is_complexIT_E18rocblas_is_complexIT1_EEiE4typeELi0EEEvPS5_llT2_lT0_lSA_b.kd
    .uniform_work_group_size: 1
    .uses_dynamic_stack: false
    .vgpr_count:     6
    .vgpr_spill_count: 0
    .wavefront_size: 32
    .workgroup_processor_mode: 1
  - .args:
      - .address_space:  global
        .offset:         0
        .size:           8
        .value_kind:     global_buffer
      - .offset:         8
        .size:           8
        .value_kind:     by_value
      - .address_space:  global
        .offset:         16
        .size:           8
        .value_kind:     global_buffer
      - .address_space:  global
        .offset:         24
        .size:           8
        .value_kind:     global_buffer
      - .offset:         32
        .size:           8
        .value_kind:     by_value
      - .offset:         40
        .size:           8
        .value_kind:     by_value
      - .address_space:  global
        .offset:         48
        .size:           8
        .value_kind:     global_buffer
      - .offset:         56
        .size:           8
        .value_kind:     by_value
      - .offset:         64
        .size:           8
        .value_kind:     by_value
    .group_segment_fixed_size: 0
    .kernarg_segment_align: 8
    .kernarg_segment_size: 72
    .language:       OpenCL C
    .language_version:
      - 2
      - 0
    .max_flat_workgroup_size: 1024
    .name:           _ZN9rocsolver6v33100L11set_taubetaIfifPfEEvPT_lS4_T2_llPT1_ll
    .private_segment_fixed_size: 0
    .sgpr_count:     24
    .sgpr_spill_count: 0
    .symbol:         _ZN9rocsolver6v33100L11set_taubetaIfifPfEEvPT_lS4_T2_llPT1_ll.kd
    .uniform_work_group_size: 1
    .uses_dynamic_stack: false
    .vgpr_count:     8
    .vgpr_spill_count: 0
    .wavefront_size: 32
    .workgroup_processor_mode: 1
  - .args:
      - .offset:         0
        .size:           4
        .value_kind:     by_value
      - .offset:         4
        .size:           4
        .value_kind:     by_value
      - .address_space:  global
        .offset:         8
        .size:           8
        .value_kind:     global_buffer
      - .offset:         16
        .size:           8
        .value_kind:     by_value
      - .offset:         24
        .size:           4
        .value_kind:     by_value
      - .offset:         32
        .size:           8
        .value_kind:     by_value
    .group_segment_fixed_size: 0
    .kernarg_segment_align: 8
    .kernarg_segment_size: 40
    .language:       OpenCL C
    .language_version:
      - 2
      - 0
    .max_flat_workgroup_size: 1024
    .name:           _ZN9rocsolver6v33100L13conj_in_placeIfiPfTnNSt9enable_ifIXnt18rocblas_is_complexIT_EEiE4typeELi0EEEvT0_S7_T1_lS7_l
    .private_segment_fixed_size: 0
    .sgpr_count:     0
    .sgpr_spill_count: 0
    .symbol:         _ZN9rocsolver6v33100L13conj_in_placeIfiPfTnNSt9enable_ifIXnt18rocblas_is_complexIT_EEiE4typeELi0EEEvT0_S7_T1_lS7_l.kd
    .uniform_work_group_size: 1
    .uses_dynamic_stack: false
    .vgpr_count:     0
    .vgpr_spill_count: 0
    .wavefront_size: 32
    .workgroup_processor_mode: 1
  - .args:
      - .offset:         0
        .size:           4
        .value_kind:     by_value
      - .offset:         4
        .size:           4
        .value_kind:     by_value
      - .address_space:  global
        .offset:         8
        .size:           8
        .value_kind:     global_buffer
      - .offset:         16
        .size:           8
        .value_kind:     by_value
      - .offset:         24
        .size:           4
        .value_kind:     by_value
      - .offset:         32
        .size:           8
        .value_kind:     by_value
      - .address_space:  global
        .offset:         40
        .size:           8
        .value_kind:     global_buffer
      - .offset:         48
        .size:           8
        .value_kind:     by_value
      - .address_space:  global
        .offset:         56
        .size:           8
        .value_kind:     global_buffer
      - .offset:         64
        .size:           8
        .value_kind:     by_value
      - .offset:         72
        .size:           4
        .value_kind:     by_value
      - .offset:         80
        .size:           8
        .value_kind:     by_value
    .group_segment_fixed_size: 0
    .kernarg_segment_align: 8
    .kernarg_segment_size: 88
    .language:       OpenCL C
    .language_version:
      - 2
      - 0
    .max_flat_workgroup_size: 1024
    .name:           _ZN9rocsolver6v33100L16larf_left_kernelILi1024EfiPfEEvT1_S3_T2_lS3_lPKT0_lS4_lS3_l
    .private_segment_fixed_size: 0
    .sgpr_count:     32
    .sgpr_spill_count: 0
    .symbol:         _ZN9rocsolver6v33100L16larf_left_kernelILi1024EfiPfEEvT1_S3_T2_lS3_lPKT0_lS4_lS3_l.kd
    .uniform_work_group_size: 1
    .uses_dynamic_stack: false
    .vgpr_count:     13
    .vgpr_spill_count: 0
    .wavefront_size: 32
    .workgroup_processor_mode: 1
  - .args:
      - .offset:         0
        .size:           4
        .value_kind:     by_value
      - .offset:         4
        .size:           4
        .value_kind:     by_value
      - .address_space:  global
        .offset:         8
        .size:           8
        .value_kind:     global_buffer
      - .offset:         16
        .size:           8
        .value_kind:     by_value
      - .offset:         24
        .size:           4
        .value_kind:     by_value
      - .offset:         32
        .size:           8
        .value_kind:     by_value
      - .address_space:  global
        .offset:         40
        .size:           8
        .value_kind:     global_buffer
      - .offset:         48
        .size:           8
        .value_kind:     by_value
      - .address_space:  global
        .offset:         56
        .size:           8
        .value_kind:     global_buffer
      - .offset:         64
        .size:           8
        .value_kind:     by_value
      - .offset:         72
        .size:           4
        .value_kind:     by_value
      - .offset:         80
        .size:           8
        .value_kind:     by_value
    .group_segment_fixed_size: 0
    .kernarg_segment_align: 8
    .kernarg_segment_size: 88
    .language:       OpenCL C
    .language_version:
      - 2
      - 0
    .max_flat_workgroup_size: 1024
    .name:           _ZN9rocsolver6v33100L17larf_right_kernelILi1024EfiPfEEvT1_S3_T2_lS3_lPKT0_lS4_lS3_l
    .private_segment_fixed_size: 0
    .sgpr_count:     36
    .sgpr_spill_count: 0
    .symbol:         _ZN9rocsolver6v33100L17larf_right_kernelILi1024EfiPfEEvT1_S3_T2_lS3_lPKT0_lS4_lS3_l.kd
    .uniform_work_group_size: 1
    .uses_dynamic_stack: false
    .vgpr_count:     13
    .vgpr_spill_count: 0
    .wavefront_size: 32
    .workgroup_processor_mode: 1
  - .args:
      - .address_space:  global
        .offset:         0
        .size:           8
        .value_kind:     global_buffer
      - .offset:         8
        .size:           8
        .value_kind:     by_value
      - .offset:         16
        .size:           8
        .value_kind:     by_value
      - .address_space:  global
        .offset:         24
        .size:           8
        .value_kind:     global_buffer
      - .offset:         32
        .size:           8
        .value_kind:     by_value
      - .offset:         40
        .size:           4
        .value_kind:     by_value
      - .offset:         48
        .size:           8
        .value_kind:     by_value
      - .offset:         56
        .size:           4
        .value_kind:     by_value
      - .offset:         64
        .size:           4
        .value_kind:     hidden_block_count_x
      - .offset:         68
        .size:           4
        .value_kind:     hidden_block_count_y
      - .offset:         72
        .size:           4
        .value_kind:     hidden_block_count_z
      - .offset:         76
        .size:           2
        .value_kind:     hidden_group_size_x
      - .offset:         78
        .size:           2
        .value_kind:     hidden_group_size_y
      - .offset:         80
        .size:           2
        .value_kind:     hidden_group_size_z
      - .offset:         82
        .size:           2
        .value_kind:     hidden_remainder_x
      - .offset:         84
        .size:           2
        .value_kind:     hidden_remainder_y
      - .offset:         86
        .size:           2
        .value_kind:     hidden_remainder_z
      - .offset:         104
        .size:           8
        .value_kind:     hidden_global_offset_x
      - .offset:         112
        .size:           8
        .value_kind:     hidden_global_offset_y
      - .offset:         120
        .size:           8
        .value_kind:     hidden_global_offset_z
      - .offset:         128
        .size:           2
        .value_kind:     hidden_grid_dims
    .group_segment_fixed_size: 0
    .kernarg_segment_align: 8
    .kernarg_segment_size: 320
    .language:       OpenCL C
    .language_version:
      - 2
      - 0
    .max_flat_workgroup_size: 1024
    .name:           _ZN9rocsolver6v33100L12restore_diagIfifPfEEvPT1_llT2_lT0_lS6_
    .private_segment_fixed_size: 0
    .sgpr_count:     19
    .sgpr_spill_count: 0
    .symbol:         _ZN9rocsolver6v33100L12restore_diagIfifPfEEvPT1_llT2_lT0_lS6_.kd
    .uniform_work_group_size: 1
    .uses_dynamic_stack: false
    .vgpr_count:     5
    .vgpr_spill_count: 0
    .wavefront_size: 32
    .workgroup_processor_mode: 1
  - .args:
      - .offset:         0
        .size:           4
        .value_kind:     by_value
      - .offset:         4
        .size:           4
        .value_kind:     by_value
      - .address_space:  global
        .offset:         8
        .size:           8
        .value_kind:     global_buffer
      - .offset:         16
        .size:           4
        .value_kind:     by_value
      - .offset:         20
        .size:           4
        .value_kind:     by_value
      - .offset:         24
        .size:           8
        .value_kind:     by_value
      - .address_space:  global
        .offset:         32
        .size:           8
        .value_kind:     global_buffer
      - .offset:         40
        .size:           8
        .value_kind:     by_value
      - .address_space:  global
        .offset:         48
        .size:           8
        .value_kind:     global_buffer
      - .offset:         56
        .size:           4
        .value_kind:     by_value
      - .offset:         64
        .size:           8
        .value_kind:     by_value
      - .offset:         72
        .size:           4
        .value_kind:     by_value
      - .offset:         76
        .size:           4
        .value_kind:     by_value
      - .offset:         80
        .size:           1
        .value_kind:     by_value
      - .offset:         88
        .size:           4
        .value_kind:     hidden_block_count_x
      - .offset:         92
        .size:           4
        .value_kind:     hidden_block_count_y
      - .offset:         96
        .size:           4
        .value_kind:     hidden_block_count_z
      - .offset:         100
        .size:           2
        .value_kind:     hidden_group_size_x
      - .offset:         102
        .size:           2
        .value_kind:     hidden_group_size_y
      - .offset:         104
        .size:           2
        .value_kind:     hidden_group_size_z
      - .offset:         106
        .size:           2
        .value_kind:     hidden_remainder_x
      - .offset:         108
        .size:           2
        .value_kind:     hidden_remainder_y
      - .offset:         110
        .size:           2
        .value_kind:     hidden_remainder_z
      - .offset:         128
        .size:           8
        .value_kind:     hidden_global_offset_x
      - .offset:         136
        .size:           8
        .value_kind:     hidden_global_offset_y
      - .offset:         144
        .size:           8
        .value_kind:     hidden_global_offset_z
      - .offset:         152
        .size:           2
        .value_kind:     hidden_grid_dims
    .group_segment_fixed_size: 0
    .kernarg_segment_align: 8
    .kernarg_segment_size: 344
    .language:       OpenCL C
    .language_version:
      - 2
      - 0
    .max_flat_workgroup_size: 1024
    .name:           _ZN9rocsolver6v33100L14set_triangularIfPfTnNSt9enable_ifIXnt18rocblas_is_complexIT_EEiE4typeELi0EEEviiT0_iilPS4_lS8_il15rocblas_direct_15rocblas_storev_b
    .private_segment_fixed_size: 0
    .sgpr_count:     24
    .sgpr_spill_count: 0
    .symbol:         _ZN9rocsolver6v33100L14set_triangularIfPfTnNSt9enable_ifIXnt18rocblas_is_complexIT_EEiE4typeELi0EEEviiT0_iilPS4_lS8_il15rocblas_direct_15rocblas_storev_b.kd
    .uniform_work_group_size: 1
    .uses_dynamic_stack: false
    .vgpr_count:     14
    .vgpr_spill_count: 0
    .wavefront_size: 32
    .workgroup_processor_mode: 1
  - .args:
      - .offset:         0
        .size:           4
        .value_kind:     by_value
      - .address_space:  global
        .offset:         8
        .size:           8
        .value_kind:     global_buffer
      - .offset:         16
        .size:           8
        .value_kind:     by_value
      - .offset:         24
        .size:           4
        .value_kind:     hidden_block_count_x
      - .offset:         28
        .size:           4
        .value_kind:     hidden_block_count_y
      - .offset:         32
        .size:           4
        .value_kind:     hidden_block_count_z
      - .offset:         36
        .size:           2
        .value_kind:     hidden_group_size_x
      - .offset:         38
        .size:           2
        .value_kind:     hidden_group_size_y
      - .offset:         40
        .size:           2
        .value_kind:     hidden_group_size_z
      - .offset:         42
        .size:           2
        .value_kind:     hidden_remainder_x
      - .offset:         44
        .size:           2
        .value_kind:     hidden_remainder_y
      - .offset:         46
        .size:           2
        .value_kind:     hidden_remainder_z
      - .offset:         64
        .size:           8
        .value_kind:     hidden_global_offset_x
      - .offset:         72
        .size:           8
        .value_kind:     hidden_global_offset_y
      - .offset:         80
        .size:           8
        .value_kind:     hidden_global_offset_z
      - .offset:         88
        .size:           2
        .value_kind:     hidden_grid_dims
    .group_segment_fixed_size: 0
    .kernarg_segment_align: 8
    .kernarg_segment_size: 280
    .language:       OpenCL C
    .language_version:
      - 2
      - 0
    .max_flat_workgroup_size: 1024
    .name:           _ZN9rocsolver6v33100L7set_tauIfEEviPT_l
    .private_segment_fixed_size: 0
    .sgpr_count:     18
    .sgpr_spill_count: 0
    .symbol:         _ZN9rocsolver6v33100L7set_tauIfEEviPT_l.kd
    .uniform_work_group_size: 1
    .uses_dynamic_stack: false
    .vgpr_count:     3
    .vgpr_spill_count: 0
    .wavefront_size: 32
    .workgroup_processor_mode: 1
  - .args:
      - .offset:         0
        .size:           4
        .value_kind:     by_value
      - .offset:         4
        .size:           4
        .value_kind:     by_value
      - .offset:         8
        .size:           4
        .value_kind:     by_value
      - .address_space:  global
        .offset:         16
        .size:           8
        .value_kind:     global_buffer
      - .offset:         24
        .size:           4
        .value_kind:     by_value
      - .offset:         28
        .size:           4
        .value_kind:     by_value
      - .offset:         32
        .size:           8
        .value_kind:     by_value
      - .address_space:  global
        .offset:         40
        .size:           8
        .value_kind:     global_buffer
      - .offset:         48
        .size:           8
        .value_kind:     by_value
      - .address_space:  global
        .offset:         56
        .size:           8
        .value_kind:     global_buffer
      - .offset:         64
        .size:           4
        .value_kind:     by_value
      - .offset:         72
        .size:           8
        .value_kind:     by_value
      - .offset:         80
        .size:           4
        .value_kind:     hidden_block_count_x
      - .offset:         84
        .size:           4
        .value_kind:     hidden_block_count_y
      - .offset:         88
        .size:           4
        .value_kind:     hidden_block_count_z
      - .offset:         92
        .size:           2
        .value_kind:     hidden_group_size_x
      - .offset:         94
        .size:           2
        .value_kind:     hidden_group_size_y
      - .offset:         96
        .size:           2
        .value_kind:     hidden_group_size_z
      - .offset:         98
        .size:           2
        .value_kind:     hidden_remainder_x
      - .offset:         100
        .size:           2
        .value_kind:     hidden_remainder_y
      - .offset:         102
        .size:           2
        .value_kind:     hidden_remainder_z
      - .offset:         120
        .size:           8
        .value_kind:     hidden_global_offset_x
      - .offset:         128
        .size:           8
        .value_kind:     hidden_global_offset_y
      - .offset:         136
        .size:           8
        .value_kind:     hidden_global_offset_z
      - .offset:         144
        .size:           2
        .value_kind:     hidden_grid_dims
      - .offset:         200
        .size:           4
        .value_kind:     hidden_dynamic_lds_size
    .group_segment_fixed_size: 0
    .kernarg_segment_align: 8
    .kernarg_segment_size: 336
    .language:       OpenCL C
    .language_version:
      - 2
      - 0
    .max_flat_workgroup_size: 1024
    .name:           _ZN9rocsolver6v33100L20larft_kernel_forwardIfPfEEv15rocblas_storev_iiT0_iilPT_lS6_il
    .private_segment_fixed_size: 0
    .sgpr_count:     44
    .sgpr_spill_count: 0
    .symbol:         _ZN9rocsolver6v33100L20larft_kernel_forwardIfPfEEv15rocblas_storev_iiT0_iilPT_lS6_il.kd
    .uniform_work_group_size: 1
    .uses_dynamic_stack: false
    .vgpr_count:     16
    .vgpr_spill_count: 0
    .wavefront_size: 32
    .workgroup_processor_mode: 1
  - .args:
      - .offset:         0
        .size:           4
        .value_kind:     by_value
      - .offset:         4
        .size:           4
        .value_kind:     by_value
      - .offset:         8
        .size:           4
        .value_kind:     by_value
      - .address_space:  global
        .offset:         16
        .size:           8
        .value_kind:     global_buffer
      - .offset:         24
        .size:           4
        .value_kind:     by_value
      - .offset:         28
        .size:           4
        .value_kind:     by_value
      - .offset:         32
        .size:           8
        .value_kind:     by_value
      - .address_space:  global
        .offset:         40
        .size:           8
        .value_kind:     global_buffer
      - .offset:         48
        .size:           8
        .value_kind:     by_value
      - .address_space:  global
        .offset:         56
        .size:           8
        .value_kind:     global_buffer
      - .offset:         64
        .size:           4
        .value_kind:     by_value
      - .offset:         72
        .size:           8
        .value_kind:     by_value
      - .offset:         80
        .size:           4
        .value_kind:     hidden_block_count_x
      - .offset:         84
        .size:           4
        .value_kind:     hidden_block_count_y
      - .offset:         88
        .size:           4
        .value_kind:     hidden_block_count_z
      - .offset:         92
        .size:           2
        .value_kind:     hidden_group_size_x
      - .offset:         94
        .size:           2
        .value_kind:     hidden_group_size_y
      - .offset:         96
        .size:           2
        .value_kind:     hidden_group_size_z
      - .offset:         98
        .size:           2
        .value_kind:     hidden_remainder_x
      - .offset:         100
        .size:           2
        .value_kind:     hidden_remainder_y
      - .offset:         102
        .size:           2
        .value_kind:     hidden_remainder_z
      - .offset:         120
        .size:           8
        .value_kind:     hidden_global_offset_x
      - .offset:         128
        .size:           8
        .value_kind:     hidden_global_offset_y
      - .offset:         136
        .size:           8
        .value_kind:     hidden_global_offset_z
      - .offset:         144
        .size:           2
        .value_kind:     hidden_grid_dims
      - .offset:         200
        .size:           4
        .value_kind:     hidden_dynamic_lds_size
    .group_segment_fixed_size: 0
    .kernarg_segment_align: 8
    .kernarg_segment_size: 336
    .language:       OpenCL C
    .language_version:
      - 2
      - 0
    .max_flat_workgroup_size: 1024
    .name:           _ZN9rocsolver6v33100L21larft_kernel_backwardIfPfEEv15rocblas_storev_iiT0_iilPT_lS6_il
    .private_segment_fixed_size: 0
    .sgpr_count:     45
    .sgpr_spill_count: 0
    .symbol:         _ZN9rocsolver6v33100L21larft_kernel_backwardIfPfEEv15rocblas_storev_iiT0_iilPT_lS6_il.kd
    .uniform_work_group_size: 1
    .uses_dynamic_stack: false
    .vgpr_count:     13
    .vgpr_spill_count: 0
    .wavefront_size: 32
    .workgroup_processor_mode: 1
  - .args:
      - .offset:         0
        .size:           4
        .value_kind:     by_value
      - .offset:         4
        .size:           4
        .value_kind:     by_value
      - .address_space:  global
        .offset:         8
        .size:           8
        .value_kind:     global_buffer
      - .offset:         16
        .size:           4
        .value_kind:     by_value
      - .offset:         20
        .size:           4
        .value_kind:     by_value
      - .offset:         24
        .size:           8
        .value_kind:     by_value
      - .address_space:  global
        .offset:         32
        .size:           8
        .value_kind:     global_buffer
      - .offset:         40
        .size:           4
        .value_kind:     hidden_block_count_x
      - .offset:         44
        .size:           4
        .value_kind:     hidden_block_count_y
      - .offset:         48
        .size:           4
        .value_kind:     hidden_block_count_z
      - .offset:         52
        .size:           2
        .value_kind:     hidden_group_size_x
      - .offset:         54
        .size:           2
        .value_kind:     hidden_group_size_y
      - .offset:         56
        .size:           2
        .value_kind:     hidden_group_size_z
      - .offset:         58
        .size:           2
        .value_kind:     hidden_remainder_x
      - .offset:         60
        .size:           2
        .value_kind:     hidden_remainder_y
      - .offset:         62
        .size:           2
        .value_kind:     hidden_remainder_z
      - .offset:         80
        .size:           8
        .value_kind:     hidden_global_offset_x
      - .offset:         88
        .size:           8
        .value_kind:     hidden_global_offset_y
      - .offset:         96
        .size:           8
        .value_kind:     hidden_global_offset_z
      - .offset:         104
        .size:           2
        .value_kind:     hidden_grid_dims
    .group_segment_fixed_size: 0
    .kernarg_segment_align: 8
    .kernarg_segment_size: 296
    .language:       OpenCL C
    .language_version:
      - 2
      - 0
    .max_flat_workgroup_size: 1024
    .name:           _ZN9rocsolver6v33100L9copymatA1IfPfEEviiT0_iilPT_
    .private_segment_fixed_size: 0
    .sgpr_count:     18
    .sgpr_spill_count: 0
    .symbol:         _ZN9rocsolver6v33100L9copymatA1IfPfEEviiT0_iilPT_.kd
    .uniform_work_group_size: 1
    .uses_dynamic_stack: false
    .vgpr_count:     6
    .vgpr_spill_count: 0
    .wavefront_size: 32
    .workgroup_processor_mode: 1
  - .args:
      - .offset:         0
        .size:           4
        .value_kind:     by_value
      - .offset:         4
        .size:           4
        .value_kind:     by_value
      - .address_space:  global
        .offset:         8
        .size:           8
        .value_kind:     global_buffer
      - .offset:         16
        .size:           4
        .value_kind:     by_value
      - .offset:         20
        .size:           4
        .value_kind:     by_value
      - .offset:         24
        .size:           8
        .value_kind:     by_value
      - .address_space:  global
        .offset:         32
        .size:           8
        .value_kind:     global_buffer
      - .offset:         40
        .size:           4
        .value_kind:     hidden_block_count_x
      - .offset:         44
        .size:           4
        .value_kind:     hidden_block_count_y
      - .offset:         48
        .size:           4
        .value_kind:     hidden_block_count_z
      - .offset:         52
        .size:           2
        .value_kind:     hidden_group_size_x
      - .offset:         54
        .size:           2
        .value_kind:     hidden_group_size_y
      - .offset:         56
        .size:           2
        .value_kind:     hidden_group_size_z
      - .offset:         58
        .size:           2
        .value_kind:     hidden_remainder_x
      - .offset:         60
        .size:           2
        .value_kind:     hidden_remainder_y
      - .offset:         62
        .size:           2
        .value_kind:     hidden_remainder_z
      - .offset:         80
        .size:           8
        .value_kind:     hidden_global_offset_x
      - .offset:         88
        .size:           8
        .value_kind:     hidden_global_offset_y
      - .offset:         96
        .size:           8
        .value_kind:     hidden_global_offset_z
      - .offset:         104
        .size:           2
        .value_kind:     hidden_grid_dims
    .group_segment_fixed_size: 0
    .kernarg_segment_align: 8
    .kernarg_segment_size: 296
    .language:       OpenCL C
    .language_version:
      - 2
      - 0
    .max_flat_workgroup_size: 1024
    .name:           _ZN9rocsolver6v33100L8addmatA1IfPfEEviiT0_iilPT_
    .private_segment_fixed_size: 0
    .sgpr_count:     18
    .sgpr_spill_count: 0
    .symbol:         _ZN9rocsolver6v33100L8addmatA1IfPfEEviiT0_iilPT_.kd
    .uniform_work_group_size: 1
    .uses_dynamic_stack: false
    .vgpr_count:     6
    .vgpr_spill_count: 0
    .wavefront_size: 32
    .workgroup_processor_mode: 1
  - .args:
      - .offset:         0
        .size:           4
        .value_kind:     by_value
      - .offset:         4
        .size:           4
        .value_kind:     by_value
      - .address_space:  global
        .offset:         8
        .size:           8
        .value_kind:     global_buffer
      - .offset:         16
        .size:           4
        .value_kind:     by_value
      - .offset:         20
        .size:           4
        .value_kind:     by_value
      - .offset:         24
        .size:           8
        .value_kind:     by_value
      - .offset:         32
        .size:           4
        .value_kind:     by_value
      - .offset:         40
        .size:           4
        .value_kind:     hidden_block_count_x
      - .offset:         44
        .size:           4
        .value_kind:     hidden_block_count_y
      - .offset:         48
        .size:           4
        .value_kind:     hidden_block_count_z
      - .offset:         52
        .size:           2
        .value_kind:     hidden_group_size_x
      - .offset:         54
        .size:           2
        .value_kind:     hidden_group_size_y
      - .offset:         56
        .size:           2
        .value_kind:     hidden_group_size_z
      - .offset:         58
        .size:           2
        .value_kind:     hidden_remainder_x
      - .offset:         60
        .size:           2
        .value_kind:     hidden_remainder_y
      - .offset:         62
        .size:           2
        .value_kind:     hidden_remainder_z
      - .offset:         80
        .size:           8
        .value_kind:     hidden_global_offset_x
      - .offset:         88
        .size:           8
        .value_kind:     hidden_global_offset_y
      - .offset:         96
        .size:           8
        .value_kind:     hidden_global_offset_z
      - .offset:         104
        .size:           2
        .value_kind:     hidden_grid_dims
    .group_segment_fixed_size: 0
    .kernarg_segment_align: 8
    .kernarg_segment_size: 296
    .language:       OpenCL C
    .language_version:
      - 2
      - 0
    .max_flat_workgroup_size: 1024
    .name:           _ZN9rocsolver6v33100L8set_zeroIfPfEEviiT0_iil13rocblas_fill_
    .private_segment_fixed_size: 0
    .sgpr_count:     18
    .sgpr_spill_count: 0
    .symbol:         _ZN9rocsolver6v33100L8set_zeroIfPfEEviiT0_iil13rocblas_fill_.kd
    .uniform_work_group_size: 1
    .uses_dynamic_stack: false
    .vgpr_count:     5
    .vgpr_spill_count: 0
    .wavefront_size: 32
    .workgroup_processor_mode: 1
  - .args:
      - .offset:         0
        .size:           4
        .value_kind:     by_value
      - .offset:         4
        .size:           4
        .value_kind:     by_value
      - .offset:         8
        .size:           4
        .value_kind:     by_value
      - .address_space:  global
        .offset:         16
        .size:           8
        .value_kind:     global_buffer
      - .offset:         24
        .size:           4
        .value_kind:     by_value
      - .offset:         28
        .size:           4
        .value_kind:     by_value
      - .offset:         32
        .size:           8
        .value_kind:     by_value
      - .offset:         40
        .size:           4
        .value_kind:     hidden_block_count_x
      - .offset:         44
        .size:           4
        .value_kind:     hidden_block_count_y
      - .offset:         48
        .size:           4
        .value_kind:     hidden_block_count_z
      - .offset:         52
        .size:           2
        .value_kind:     hidden_group_size_x
      - .offset:         54
        .size:           2
        .value_kind:     hidden_group_size_y
      - .offset:         56
        .size:           2
        .value_kind:     hidden_group_size_z
      - .offset:         58
        .size:           2
        .value_kind:     hidden_remainder_x
      - .offset:         60
        .size:           2
        .value_kind:     hidden_remainder_y
      - .offset:         62
        .size:           2
        .value_kind:     hidden_remainder_z
      - .offset:         80
        .size:           8
        .value_kind:     hidden_global_offset_x
      - .offset:         88
        .size:           8
        .value_kind:     hidden_global_offset_y
      - .offset:         96
        .size:           8
        .value_kind:     hidden_global_offset_z
      - .offset:         104
        .size:           2
        .value_kind:     hidden_grid_dims
    .group_segment_fixed_size: 0
    .kernarg_segment_align: 8
    .kernarg_segment_size: 296
    .language:       OpenCL C
    .language_version:
      - 2
      - 0
    .max_flat_workgroup_size: 1024
    .name:           _ZN9rocsolver6v33100L16org2r_init_identIfPfEEviiiT0_iil
    .private_segment_fixed_size: 0
    .sgpr_count:     18
    .sgpr_spill_count: 0
    .symbol:         _ZN9rocsolver6v33100L16org2r_init_identIfPfEEviiiT0_iil.kd
    .uniform_work_group_size: 1
    .uses_dynamic_stack: false
    .vgpr_count:     6
    .vgpr_spill_count: 0
    .wavefront_size: 32
    .workgroup_processor_mode: 1
  - .args:
      - .offset:         0
        .size:           4
        .value_kind:     by_value
      - .offset:         4
        .size:           4
        .value_kind:     by_value
      - .address_space:  global
        .offset:         8
        .size:           8
        .value_kind:     global_buffer
      - .offset:         16
        .size:           4
        .value_kind:     by_value
      - .offset:         20
        .size:           4
        .value_kind:     by_value
      - .offset:         24
        .size:           8
        .value_kind:     by_value
      - .address_space:  global
        .offset:         32
        .size:           8
        .value_kind:     global_buffer
      - .offset:         40
        .size:           8
        .value_kind:     by_value
    .group_segment_fixed_size: 0
    .kernarg_segment_align: 8
    .kernarg_segment_size: 48
    .language:       OpenCL C
    .language_version:
      - 2
      - 0
    .max_flat_workgroup_size: 1024
    .name:           _ZN9rocsolver6v33100L12subtract_tauIfPfEEviiT0_iilPT_l
    .private_segment_fixed_size: 0
    .sgpr_count:     16
    .sgpr_spill_count: 0
    .symbol:         _ZN9rocsolver6v33100L12subtract_tauIfPfEEviiT0_iilPT_l.kd
    .uniform_work_group_size: 1
    .uses_dynamic_stack: false
    .vgpr_count:     3
    .vgpr_spill_count: 0
    .wavefront_size: 32
    .workgroup_processor_mode: 1
  - .args:
      - .offset:         0
        .size:           4
        .value_kind:     by_value
      - .address_space:  global
        .offset:         8
        .size:           8
        .value_kind:     global_buffer
      - .offset:         16
        .size:           8
        .value_kind:     by_value
      - .offset:         24
        .size:           4
        .value_kind:     hidden_block_count_x
      - .offset:         28
        .size:           4
        .value_kind:     hidden_block_count_y
      - .offset:         32
        .size:           4
        .value_kind:     hidden_block_count_z
      - .offset:         36
        .size:           2
        .value_kind:     hidden_group_size_x
      - .offset:         38
        .size:           2
        .value_kind:     hidden_group_size_y
      - .offset:         40
        .size:           2
        .value_kind:     hidden_group_size_z
      - .offset:         42
        .size:           2
        .value_kind:     hidden_remainder_x
      - .offset:         44
        .size:           2
        .value_kind:     hidden_remainder_y
      - .offset:         46
        .size:           2
        .value_kind:     hidden_remainder_z
      - .offset:         64
        .size:           8
        .value_kind:     hidden_global_offset_x
      - .offset:         72
        .size:           8
        .value_kind:     hidden_global_offset_y
      - .offset:         80
        .size:           8
        .value_kind:     hidden_global_offset_z
      - .offset:         88
        .size:           2
        .value_kind:     hidden_grid_dims
    .group_segment_fixed_size: 0
    .kernarg_segment_align: 8
    .kernarg_segment_size: 280
    .language:       OpenCL C
    .language_version:
      - 2
      - 0
    .max_flat_workgroup_size: 1024
    .name:           _ZN9rocsolver6v33100L6restauIfEEviPT_l
    .private_segment_fixed_size: 0
    .sgpr_count:     18
    .sgpr_spill_count: 0
    .symbol:         _ZN9rocsolver6v33100L6restauIfEEviPT_l.kd
    .uniform_work_group_size: 1
    .uses_dynamic_stack: false
    .vgpr_count:     3
    .vgpr_spill_count: 0
    .wavefront_size: 32
    .workgroup_processor_mode: 1
  - .args:
      - .offset:         0
        .size:           1
        .value_kind:     by_value
      - .offset:         4
        .size:           4
        .value_kind:     by_value
      - .address_space:  global
        .offset:         8
        .size:           8
        .value_kind:     global_buffer
      - .offset:         16
        .size:           4
        .value_kind:     by_value
      - .offset:         20
        .size:           4
        .value_kind:     by_value
      - .offset:         24
        .size:           8
        .value_kind:     by_value
      - .address_space:  global
        .offset:         32
        .size:           8
        .value_kind:     global_buffer
      - .offset:         40
        .size:           4
        .value_kind:     by_value
      - .offset:         44
        .size:           4
        .value_kind:     by_value
      - .offset:         48
        .size:           8
        .value_kind:     by_value
      - .offset:         56
        .size:           4
        .value_kind:     hidden_block_count_x
      - .offset:         60
        .size:           4
        .value_kind:     hidden_block_count_y
      - .offset:         64
        .size:           4
        .value_kind:     hidden_block_count_z
      - .offset:         68
        .size:           2
        .value_kind:     hidden_group_size_x
      - .offset:         70
        .size:           2
        .value_kind:     hidden_group_size_y
      - .offset:         72
        .size:           2
        .value_kind:     hidden_group_size_z
      - .offset:         74
        .size:           2
        .value_kind:     hidden_remainder_x
      - .offset:         76
        .size:           2
        .value_kind:     hidden_remainder_y
      - .offset:         78
        .size:           2
        .value_kind:     hidden_remainder_z
      - .offset:         96
        .size:           8
        .value_kind:     hidden_global_offset_x
      - .offset:         104
        .size:           8
        .value_kind:     hidden_global_offset_y
      - .offset:         112
        .size:           8
        .value_kind:     hidden_global_offset_z
      - .offset:         120
        .size:           2
        .value_kind:     hidden_grid_dims
    .group_segment_fixed_size: 0
    .kernarg_segment_align: 8
    .kernarg_segment_size: 312
    .language:       OpenCL C
    .language_version:
      - 2
      - 0
    .max_flat_workgroup_size: 1024
    .name:           _ZN9rocsolver6v33100L15copyshift_rightIfPfEEvbiT0_iilPT_iil
    .private_segment_fixed_size: 0
    .sgpr_count:     20
    .sgpr_spill_count: 0
    .symbol:         _ZN9rocsolver6v33100L15copyshift_rightIfPfEEvbiT0_iilPT_iil.kd
    .uniform_work_group_size: 1
    .uses_dynamic_stack: false
    .vgpr_count:     7
    .vgpr_spill_count: 0
    .wavefront_size: 32
    .workgroup_processor_mode: 1
  - .args:
      - .offset:         0
        .size:           4
        .value_kind:     by_value
      - .offset:         4
        .size:           4
        .value_kind:     by_value
      - .offset:         8
        .size:           4
        .value_kind:     by_value
      - .address_space:  global
        .offset:         16
        .size:           8
        .value_kind:     global_buffer
      - .offset:         24
        .size:           4
        .value_kind:     by_value
      - .offset:         28
        .size:           4
        .value_kind:     by_value
      - .offset:         32
        .size:           8
        .value_kind:     by_value
      - .offset:         40
        .size:           4
        .value_kind:     hidden_block_count_x
      - .offset:         44
        .size:           4
        .value_kind:     hidden_block_count_y
      - .offset:         48
        .size:           4
        .value_kind:     hidden_block_count_z
      - .offset:         52
        .size:           2
        .value_kind:     hidden_group_size_x
      - .offset:         54
        .size:           2
        .value_kind:     hidden_group_size_y
      - .offset:         56
        .size:           2
        .value_kind:     hidden_group_size_z
      - .offset:         58
        .size:           2
        .value_kind:     hidden_remainder_x
      - .offset:         60
        .size:           2
        .value_kind:     hidden_remainder_y
      - .offset:         62
        .size:           2
        .value_kind:     hidden_remainder_z
      - .offset:         80
        .size:           8
        .value_kind:     hidden_global_offset_x
      - .offset:         88
        .size:           8
        .value_kind:     hidden_global_offset_y
      - .offset:         96
        .size:           8
        .value_kind:     hidden_global_offset_z
      - .offset:         104
        .size:           2
        .value_kind:     hidden_grid_dims
    .group_segment_fixed_size: 0
    .kernarg_segment_align: 8
    .kernarg_segment_size: 296
    .language:       OpenCL C
    .language_version:
      - 2
      - 0
    .max_flat_workgroup_size: 1024
    .name:           _ZN9rocsolver6v33100L16orgl2_init_identIfPfEEviiiT0_iil
    .private_segment_fixed_size: 0
    .sgpr_count:     18
    .sgpr_spill_count: 0
    .symbol:         _ZN9rocsolver6v33100L16orgl2_init_identIfPfEEviiiT0_iil.kd
    .uniform_work_group_size: 1
    .uses_dynamic_stack: false
    .vgpr_count:     6
    .vgpr_spill_count: 0
    .wavefront_size: 32
    .workgroup_processor_mode: 1
  - .args:
      - .offset:         0
        .size:           1
        .value_kind:     by_value
      - .offset:         4
        .size:           4
        .value_kind:     by_value
      - .address_space:  global
        .offset:         8
        .size:           8
        .value_kind:     global_buffer
      - .offset:         16
        .size:           4
        .value_kind:     by_value
      - .offset:         20
        .size:           4
        .value_kind:     by_value
      - .offset:         24
        .size:           8
        .value_kind:     by_value
      - .address_space:  global
        .offset:         32
        .size:           8
        .value_kind:     global_buffer
      - .offset:         40
        .size:           4
        .value_kind:     by_value
      - .offset:         44
        .size:           4
        .value_kind:     by_value
      - .offset:         48
        .size:           8
        .value_kind:     by_value
      - .offset:         56
        .size:           4
        .value_kind:     hidden_block_count_x
      - .offset:         60
        .size:           4
        .value_kind:     hidden_block_count_y
      - .offset:         64
        .size:           4
        .value_kind:     hidden_block_count_z
      - .offset:         68
        .size:           2
        .value_kind:     hidden_group_size_x
      - .offset:         70
        .size:           2
        .value_kind:     hidden_group_size_y
      - .offset:         72
        .size:           2
        .value_kind:     hidden_group_size_z
      - .offset:         74
        .size:           2
        .value_kind:     hidden_remainder_x
      - .offset:         76
        .size:           2
        .value_kind:     hidden_remainder_y
      - .offset:         78
        .size:           2
        .value_kind:     hidden_remainder_z
      - .offset:         96
        .size:           8
        .value_kind:     hidden_global_offset_x
      - .offset:         104
        .size:           8
        .value_kind:     hidden_global_offset_y
      - .offset:         112
        .size:           8
        .value_kind:     hidden_global_offset_z
      - .offset:         120
        .size:           2
        .value_kind:     hidden_grid_dims
    .group_segment_fixed_size: 0
    .kernarg_segment_align: 8
    .kernarg_segment_size: 312
    .language:       OpenCL C
    .language_version:
      - 2
      - 0
    .max_flat_workgroup_size: 1024
    .name:           _ZN9rocsolver6v33100L14copyshift_downIfPfEEvbiT0_iilPT_iil
    .private_segment_fixed_size: 0
    .sgpr_count:     19
    .sgpr_spill_count: 0
    .symbol:         _ZN9rocsolver6v33100L14copyshift_downIfPfEEvbiT0_iilPT_iil.kd
    .uniform_work_group_size: 1
    .uses_dynamic_stack: false
    .vgpr_count:     9
    .vgpr_spill_count: 0
    .wavefront_size: 32
    .workgroup_processor_mode: 1
  - .args:
      - .address_space:  global
        .offset:         0
        .size:           8
        .value_kind:     global_buffer
      - .offset:         8
        .size:           4
        .value_kind:     by_value
      - .offset:         12
        .size:           4
        .value_kind:     by_value
      - .offset:         16
        .size:           4
        .value_kind:     by_value
      - .offset:         24
        .size:           4
        .value_kind:     hidden_block_count_x
      - .offset:         28
        .size:           4
        .value_kind:     hidden_block_count_y
      - .offset:         32
        .size:           4
        .value_kind:     hidden_block_count_z
      - .offset:         36
        .size:           2
        .value_kind:     hidden_group_size_x
      - .offset:         38
        .size:           2
        .value_kind:     hidden_group_size_y
      - .offset:         40
        .size:           2
        .value_kind:     hidden_group_size_z
      - .offset:         42
        .size:           2
        .value_kind:     hidden_remainder_x
      - .offset:         44
        .size:           2
        .value_kind:     hidden_remainder_y
      - .offset:         46
        .size:           2
        .value_kind:     hidden_remainder_z
      - .offset:         64
        .size:           8
        .value_kind:     hidden_global_offset_x
      - .offset:         72
        .size:           8
        .value_kind:     hidden_global_offset_y
      - .offset:         80
        .size:           8
        .value_kind:     hidden_global_offset_z
      - .offset:         88
        .size:           2
        .value_kind:     hidden_grid_dims
    .group_segment_fixed_size: 0
    .kernarg_segment_align: 8
    .kernarg_segment_size: 280
    .language:       OpenCL C
    .language_version:
      - 2
      - 0
    .max_flat_workgroup_size: 1024
    .name:           _ZN9rocsolver6v33100L10reset_infoIiiiEEvPT_T0_T1_S4_
    .private_segment_fixed_size: 0
    .sgpr_count:     18
    .sgpr_spill_count: 0
    .symbol:         _ZN9rocsolver6v33100L10reset_infoIiiiEEvPT_T0_T1_S4_.kd
    .uniform_work_group_size: 1
    .uses_dynamic_stack: false
    .vgpr_count:     6
    .vgpr_spill_count: 0
    .wavefront_size: 32
    .workgroup_processor_mode: 1
  - .args:
      - .offset:         0
        .size:           4
        .value_kind:     by_value
      - .address_space:  global
        .offset:         8
        .size:           8
        .value_kind:     global_buffer
      - .offset:         16
        .size:           8
        .value_kind:     by_value
      - .address_space:  global
        .offset:         24
        .size:           8
        .value_kind:     global_buffer
      - .offset:         32
        .size:           8
        .value_kind:     by_value
      - .address_space:  global
        .offset:         40
        .size:           8
        .value_kind:     global_buffer
      - .offset:         48
        .size:           4
        .value_kind:     by_value
      - .offset:         52
        .size:           4
        .value_kind:     by_value
      - .offset:         56
        .size:           4
        .value_kind:     by_value
      - .address_space:  global
        .offset:         64
        .size:           8
        .value_kind:     global_buffer
      - .address_space:  global
        .offset:         72
        .size:           8
        .value_kind:     global_buffer
      - .offset:         80
        .size:           8
        .value_kind:     by_value
      - .address_space:  global
        .offset:         88
        .size:           8
        .value_kind:     global_buffer
    .group_segment_fixed_size: 0
    .kernarg_segment_align: 8
    .kernarg_segment_size: 96
    .language:       OpenCL C
    .language_version:
      - 2
      - 0
    .max_flat_workgroup_size: 1024
    .name:           _ZN9rocsolver6v33100L10bdsqr_initIffEEviPT0_lS3_lPiiS2_S2_S4_S3_lS4_
    .private_segment_fixed_size: 0
    .sgpr_count:     34
    .sgpr_spill_count: 0
    .symbol:         _ZN9rocsolver6v33100L10bdsqr_initIffEEviPT0_lS3_lPiiS2_S2_S4_S3_lS4_.kd
    .uniform_work_group_size: 1
    .uses_dynamic_stack: false
    .vgpr_count:     10
    .vgpr_spill_count: 0
    .wavefront_size: 32
    .workgroup_processor_mode: 1
  - .args:
      - .offset:         0
        .size:           4
        .value_kind:     by_value
      - .address_space:  global
        .offset:         8
        .size:           8
        .value_kind:     global_buffer
      - .offset:         16
        .size:           4
        .value_kind:     by_value
      - .address_space:  global
        .offset:         24
        .size:           8
        .value_kind:     global_buffer
      - .offset:         32
        .size:           4
        .value_kind:     by_value
      - .offset:         40
        .size:           4
        .value_kind:     hidden_block_count_x
      - .offset:         44
        .size:           4
        .value_kind:     hidden_block_count_y
      - .offset:         48
        .size:           4
        .value_kind:     hidden_block_count_z
      - .offset:         52
        .size:           2
        .value_kind:     hidden_group_size_x
      - .offset:         54
        .size:           2
        .value_kind:     hidden_group_size_y
      - .offset:         56
        .size:           2
        .value_kind:     hidden_group_size_z
      - .offset:         58
        .size:           2
        .value_kind:     hidden_remainder_x
      - .offset:         60
        .size:           2
        .value_kind:     hidden_remainder_y
      - .offset:         62
        .size:           2
        .value_kind:     hidden_remainder_z
      - .offset:         80
        .size:           8
        .value_kind:     hidden_global_offset_x
      - .offset:         88
        .size:           8
        .value_kind:     hidden_global_offset_y
      - .offset:         96
        .size:           8
        .value_kind:     hidden_global_offset_z
      - .offset:         104
        .size:           2
        .value_kind:     hidden_grid_dims
    .group_segment_fixed_size: 0
    .kernarg_segment_align: 8
    .kernarg_segment_size: 296
    .language:       OpenCL C
    .language_version:
      - 2
      - 0
    .max_flat_workgroup_size: 1024
    .name:           _ZN9rocsolver6v33100L11swap_kernelIfiEEvT0_PT_S2_S4_S2_
    .private_segment_fixed_size: 0
    .sgpr_count:     18
    .sgpr_spill_count: 0
    .symbol:         _ZN9rocsolver6v33100L11swap_kernelIfiEEvT0_PT_S2_S4_S2_.kd
    .uniform_work_group_size: 1
    .uses_dynamic_stack: false
    .vgpr_count:     9
    .vgpr_spill_count: 0
    .wavefront_size: 32
    .workgroup_processor_mode: 1
  - .args:
      - .offset:         0
        .size:           4
        .value_kind:     by_value
      - .address_space:  global
        .offset:         8
        .size:           8
        .value_kind:     global_buffer
      - .offset:         16
        .size:           4
        .value_kind:     by_value
      - .address_space:  global
        .offset:         24
        .size:           8
        .value_kind:     global_buffer
      - .offset:         32
        .size:           4
        .value_kind:     by_value
      - .offset:         36
        .size:           4
        .value_kind:     by_value
      - .offset:         40
        .size:           4
        .value_kind:     by_value
      - .offset:         48
        .size:           4
        .value_kind:     hidden_block_count_x
      - .offset:         52
        .size:           4
        .value_kind:     hidden_block_count_y
      - .offset:         56
        .size:           4
        .value_kind:     hidden_block_count_z
      - .offset:         60
        .size:           2
        .value_kind:     hidden_group_size_x
      - .offset:         62
        .size:           2
        .value_kind:     hidden_group_size_y
      - .offset:         64
        .size:           2
        .value_kind:     hidden_group_size_z
      - .offset:         66
        .size:           2
        .value_kind:     hidden_remainder_x
      - .offset:         68
        .size:           2
        .value_kind:     hidden_remainder_y
      - .offset:         70
        .size:           2
        .value_kind:     hidden_remainder_z
      - .offset:         88
        .size:           8
        .value_kind:     hidden_global_offset_x
      - .offset:         96
        .size:           8
        .value_kind:     hidden_global_offset_y
      - .offset:         104
        .size:           8
        .value_kind:     hidden_global_offset_z
      - .offset:         112
        .size:           2
        .value_kind:     hidden_grid_dims
    .group_segment_fixed_size: 0
    .kernarg_segment_align: 8
    .kernarg_segment_size: 304
    .language:       OpenCL C
    .language_version:
      - 2
      - 0
    .max_flat_workgroup_size: 1024
    .name:           _ZN9rocsolver6v33100L10rot_kernelIffiEEvT1_PT0_S2_S4_S2_T_S5_
    .private_segment_fixed_size: 0
    .sgpr_count:     19
    .sgpr_spill_count: 0
    .symbol:         _ZN9rocsolver6v33100L10rot_kernelIffiEEvT1_PT0_S2_S4_S2_T_S5_.kd
    .uniform_work_group_size: 1
    .uses_dynamic_stack: false
    .vgpr_count:     11
    .vgpr_spill_count: 0
    .wavefront_size: 32
    .workgroup_processor_mode: 1
  - .args:
      - .offset:         0
        .size:           4
        .value_kind:     by_value
      - .offset:         4
        .size:           4
        .value_kind:     by_value
      - .offset:         8
        .size:           4
        .value_kind:     by_value
      - .offset:         12
        .size:           4
        .value_kind:     by_value
      - .offset:         16
        .size:           4
        .value_kind:     by_value
      - .address_space:  global
        .offset:         24
        .size:           8
        .value_kind:     global_buffer
      - .offset:         32
        .size:           8
        .value_kind:     by_value
      - .address_space:  global
        .offset:         40
        .size:           8
        .value_kind:     global_buffer
      - .offset:         48
        .size:           8
        .value_kind:     by_value
      - .address_space:  global
        .offset:         56
        .size:           8
        .value_kind:     global_buffer
      - .offset:         64
        .size:           8
        .value_kind:     by_value
      - .offset:         72
        .size:           4
        .value_kind:     by_value
      - .offset:         80
        .size:           8
        .value_kind:     by_value
      - .offset:         88
        .size:           4
        .value_kind:     by_value
      - .offset:         96
        .size:           4
        .value_kind:     hidden_block_count_x
      - .offset:         100
        .size:           4
        .value_kind:     hidden_block_count_y
      - .offset:         104
        .size:           4
        .value_kind:     hidden_block_count_z
      - .offset:         108
        .size:           2
        .value_kind:     hidden_group_size_x
      - .offset:         110
        .size:           2
        .value_kind:     hidden_group_size_y
      - .offset:         112
        .size:           2
        .value_kind:     hidden_group_size_z
      - .offset:         114
        .size:           2
        .value_kind:     hidden_remainder_x
      - .offset:         116
        .size:           2
        .value_kind:     hidden_remainder_y
      - .offset:         118
        .size:           2
        .value_kind:     hidden_remainder_z
      - .offset:         136
        .size:           8
        .value_kind:     hidden_global_offset_x
      - .offset:         144
        .size:           8
        .value_kind:     hidden_global_offset_y
      - .offset:         152
        .size:           8
        .value_kind:     hidden_global_offset_z
      - .offset:         160
        .size:           2
        .value_kind:     hidden_grid_dims
    .group_segment_fixed_size: 0
    .kernarg_segment_align: 8
    .kernarg_segment_size: 352
    .language:       OpenCL C
    .language_version:
      - 2
      - 0
    .max_flat_workgroup_size: 64
    .name:           _ZN9rocsolver6v33100L11lasr_kernelIffPfiEEv13rocblas_side_14rocblas_pivot_15rocblas_direct_T2_S6_PT0_lS8_lT1_lS6_lS6_
    .private_segment_fixed_size: 0
    .sgpr_count:     89
    .sgpr_spill_count: 0
    .symbol:         _ZN9rocsolver6v33100L11lasr_kernelIffPfiEEv13rocblas_side_14rocblas_pivot_15rocblas_direct_T2_S6_PT0_lS8_lT1_lS6_lS6_.kd
    .uniform_work_group_size: 1
    .uses_dynamic_stack: false
    .vgpr_count:     41
    .vgpr_spill_count: 0
    .wavefront_size: 32
    .workgroup_processor_mode: 1
  - .args:
      - .offset:         0
        .size:           4
        .value_kind:     by_value
      - .offset:         4
        .size:           4
        .value_kind:     by_value
      - .address_space:  global
        .offset:         8
        .size:           8
        .value_kind:     global_buffer
      - .offset:         16
        .size:           4
        .value_kind:     by_value
      - .offset:         24
        .size:           4
        .value_kind:     hidden_block_count_x
      - .offset:         28
        .size:           4
        .value_kind:     hidden_block_count_y
      - .offset:         32
        .size:           4
        .value_kind:     hidden_block_count_z
      - .offset:         36
        .size:           2
        .value_kind:     hidden_group_size_x
      - .offset:         38
        .size:           2
        .value_kind:     hidden_group_size_y
      - .offset:         40
        .size:           2
        .value_kind:     hidden_group_size_z
      - .offset:         42
        .size:           2
        .value_kind:     hidden_remainder_x
      - .offset:         44
        .size:           2
        .value_kind:     hidden_remainder_y
      - .offset:         46
        .size:           2
        .value_kind:     hidden_remainder_z
      - .offset:         64
        .size:           8
        .value_kind:     hidden_global_offset_x
      - .offset:         72
        .size:           8
        .value_kind:     hidden_global_offset_y
      - .offset:         80
        .size:           8
        .value_kind:     hidden_global_offset_z
      - .offset:         88
        .size:           2
        .value_kind:     hidden_grid_dims
    .group_segment_fixed_size: 0
    .kernarg_segment_align: 8
    .kernarg_segment_size: 280
    .language:       OpenCL C
    .language_version:
      - 2
      - 0
    .max_flat_workgroup_size: 1024
    .name:           _ZN9rocsolver6v33100L11scal_kernelIffiEEvT1_T_PT0_S2_
    .private_segment_fixed_size: 0
    .sgpr_count:     18
    .sgpr_spill_count: 0
    .symbol:         _ZN9rocsolver6v33100L11scal_kernelIffiEEvT1_T_PT0_S2_.kd
    .uniform_work_group_size: 1
    .uses_dynamic_stack: false
    .vgpr_count:     5
    .vgpr_spill_count: 0
    .wavefront_size: 32
    .workgroup_processor_mode: 1
  - .args:
      - .offset:         0
        .size:           4
        .value_kind:     by_value
      - .offset:         4
        .size:           4
        .value_kind:     by_value
      - .offset:         8
        .size:           4
        .value_kind:     by_value
      - .address_space:  global
        .offset:         16
        .size:           8
        .value_kind:     global_buffer
      - .offset:         24
        .size:           8
        .value_kind:     by_value
      - .address_space:  global
        .offset:         32
        .size:           8
        .value_kind:     global_buffer
      - .offset:         40
        .size:           8
        .value_kind:     by_value
      - .address_space:  global
        .offset:         48
        .size:           8
        .value_kind:     global_buffer
      - .offset:         56
        .size:           4
        .value_kind:     by_value
      - .offset:         60
        .size:           4
        .value_kind:     by_value
      - .offset:         64
        .size:           8
        .value_kind:     by_value
      - .address_space:  global
        .offset:         72
        .size:           8
        .value_kind:     global_buffer
      - .offset:         80
        .size:           4
        .value_kind:     by_value
      - .offset:         84
        .size:           4
        .value_kind:     by_value
      - .offset:         88
        .size:           8
        .value_kind:     by_value
      - .address_space:  global
        .offset:         96
        .size:           8
        .value_kind:     global_buffer
      - .address_space:  global
        .offset:         104
        .size:           8
        .value_kind:     global_buffer
      - .offset:         112
        .size:           8
        .value_kind:     by_value
      - .address_space:  global
        .offset:         120
        .size:           8
        .value_kind:     global_buffer
      - .offset:         128
        .size:           4
        .value_kind:     hidden_block_count_x
      - .offset:         132
        .size:           4
        .value_kind:     hidden_block_count_y
      - .offset:         136
        .size:           4
        .value_kind:     hidden_block_count_z
      - .offset:         140
        .size:           2
        .value_kind:     hidden_group_size_x
      - .offset:         142
        .size:           2
        .value_kind:     hidden_group_size_y
      - .offset:         144
        .size:           2
        .value_kind:     hidden_group_size_z
      - .offset:         146
        .size:           2
        .value_kind:     hidden_remainder_x
      - .offset:         148
        .size:           2
        .value_kind:     hidden_remainder_y
      - .offset:         150
        .size:           2
        .value_kind:     hidden_remainder_z
      - .offset:         168
        .size:           8
        .value_kind:     hidden_global_offset_x
      - .offset:         176
        .size:           8
        .value_kind:     hidden_global_offset_y
      - .offset:         184
        .size:           8
        .value_kind:     hidden_global_offset_z
      - .offset:         192
        .size:           2
        .value_kind:     hidden_grid_dims
    .group_segment_fixed_size: 0
    .kernarg_segment_align: 8
    .kernarg_segment_size: 384
    .language:       OpenCL C
    .language_version:
      - 2
      - 0
    .max_flat_workgroup_size: 1024
    .name:           _ZN9rocsolver6v33100L17bdsqr_lower2upperIffPfS2_EEviiiPT0_lS4_lT1_iilT2_iilPiS4_lS7_
    .private_segment_fixed_size: 0
    .sgpr_count:     34
    .sgpr_spill_count: 0
    .symbol:         _ZN9rocsolver6v33100L17bdsqr_lower2upperIffPfS2_EEviiiPT0_lS4_lT1_iilT2_iilPiS4_lS7_.kd
    .uniform_work_group_size: 1
    .uses_dynamic_stack: false
    .vgpr_count:     14
    .vgpr_spill_count: 0
    .wavefront_size: 32
    .workgroup_processor_mode: 1
  - .args:
      - .offset:         0
        .size:           4
        .value_kind:     by_value
      - .offset:         4
        .size:           4
        .value_kind:     by_value
      - .offset:         8
        .size:           4
        .value_kind:     by_value
      - .offset:         12
        .size:           4
        .value_kind:     by_value
      - .address_space:  global
        .offset:         16
        .size:           8
        .value_kind:     global_buffer
      - .offset:         24
        .size:           8
        .value_kind:     by_value
      - .address_space:  global
        .offset:         32
        .size:           8
        .value_kind:     global_buffer
      - .offset:         40
        .size:           8
        .value_kind:     by_value
      - .address_space:  global
        .offset:         48
        .size:           8
        .value_kind:     global_buffer
      - .offset:         56
        .size:           4
        .value_kind:     by_value
      - .offset:         60
        .size:           4
        .value_kind:     by_value
      - .offset:         64
        .size:           8
        .value_kind:     by_value
      - .address_space:  global
        .offset:         72
        .size:           8
        .value_kind:     global_buffer
      - .offset:         80
        .size:           4
        .value_kind:     by_value
      - .offset:         84
        .size:           4
        .value_kind:     by_value
      - .offset:         88
        .size:           8
        .value_kind:     by_value
      - .address_space:  global
        .offset:         96
        .size:           8
        .value_kind:     global_buffer
      - .offset:         104
        .size:           4
        .value_kind:     by_value
      - .offset:         108
        .size:           4
        .value_kind:     by_value
      - .offset:         112
        .size:           8
        .value_kind:     by_value
      - .offset:         120
        .size:           4
        .value_kind:     by_value
      - .offset:         124
        .size:           4
        .value_kind:     by_value
      - .offset:         128
        .size:           4
        .value_kind:     by_value
      - .offset:         132
        .size:           4
        .value_kind:     by_value
      - .offset:         136
        .size:           4
        .value_kind:     by_value
      - .address_space:  global
        .offset:         144
        .size:           8
        .value_kind:     global_buffer
      - .address_space:  global
        .offset:         152
        .size:           8
        .value_kind:     global_buffer
      - .offset:         160
        .size:           4
        .value_kind:     by_value
      - .offset:         168
        .size:           8
        .value_kind:     by_value
      - .address_space:  global
        .offset:         176
        .size:           8
        .value_kind:     global_buffer
      - .offset:         184
        .size:           4
        .value_kind:     hidden_block_count_x
      - .offset:         188
        .size:           4
        .value_kind:     hidden_block_count_y
      - .offset:         192
        .size:           4
        .value_kind:     hidden_block_count_z
      - .offset:         196
        .size:           2
        .value_kind:     hidden_group_size_x
      - .offset:         198
        .size:           2
        .value_kind:     hidden_group_size_y
      - .offset:         200
        .size:           2
        .value_kind:     hidden_group_size_z
      - .offset:         202
        .size:           2
        .value_kind:     hidden_remainder_x
      - .offset:         204
        .size:           2
        .value_kind:     hidden_remainder_y
      - .offset:         206
        .size:           2
        .value_kind:     hidden_remainder_z
      - .offset:         224
        .size:           8
        .value_kind:     hidden_global_offset_x
      - .offset:         232
        .size:           8
        .value_kind:     hidden_global_offset_y
      - .offset:         240
        .size:           8
        .value_kind:     hidden_global_offset_z
      - .offset:         248
        .size:           2
        .value_kind:     hidden_grid_dims
    .group_segment_fixed_size: 1040
    .kernarg_segment_align: 8
    .kernarg_segment_size: 440
    .language:       OpenCL C
    .language_version:
      - 2
      - 0
    .max_flat_workgroup_size: 1024
    .name:           _ZN9rocsolver6v33100L13bdsqr_computeILi256EffPfS2_S2_EEviiiiPT1_lS4_lT2_iilT3_iilT4_iiliS3_S3_S3_S3_PiS4_ilS8_
    .private_segment_fixed_size: 0
    .sgpr_count:     107
    .sgpr_spill_count: 0
    .symbol:         _ZN9rocsolver6v33100L13bdsqr_computeILi256EffPfS2_S2_EEviiiiPT1_lS4_lT2_iilT3_iilT4_iiliS3_S3_S3_S3_PiS4_ilS8_.kd
    .uniform_work_group_size: 1
    .uses_dynamic_stack: false
    .vgpr_count:     29
    .vgpr_spill_count: 0
    .wavefront_size: 32
    .workgroup_processor_mode: 1
  - .args:
      - .offset:         0
        .size:           4
        .value_kind:     by_value
      - .offset:         4
        .size:           4
        .value_kind:     by_value
      - .offset:         8
        .size:           4
        .value_kind:     by_value
      - .offset:         12
        .size:           4
        .value_kind:     by_value
      - .address_space:  global
        .offset:         16
        .size:           8
        .value_kind:     global_buffer
      - .offset:         24
        .size:           4
        .value_kind:     by_value
      - .offset:         28
        .size:           4
        .value_kind:     by_value
      - .offset:         32
        .size:           8
        .value_kind:     by_value
      - .address_space:  global
        .offset:         40
        .size:           8
        .value_kind:     global_buffer
      - .offset:         48
        .size:           4
        .value_kind:     by_value
      - .offset:         52
        .size:           4
        .value_kind:     by_value
      - .offset:         56
        .size:           8
        .value_kind:     by_value
      - .address_space:  global
        .offset:         64
        .size:           8
        .value_kind:     global_buffer
      - .offset:         72
        .size:           4
        .value_kind:     by_value
      - .offset:         76
        .size:           4
        .value_kind:     by_value
      - .offset:         80
        .size:           8
        .value_kind:     by_value
      - .offset:         88
        .size:           4
        .value_kind:     by_value
      - .address_space:  global
        .offset:         96
        .size:           8
        .value_kind:     global_buffer
      - .address_space:  global
        .offset:         104
        .size:           8
        .value_kind:     global_buffer
      - .offset:         112
        .size:           4
        .value_kind:     by_value
      - .offset:         120
        .size:           8
        .value_kind:     by_value
      - .address_space:  global
        .offset:         128
        .size:           8
        .value_kind:     global_buffer
      - .offset:         136
        .size:           4
        .value_kind:     hidden_block_count_x
      - .offset:         140
        .size:           4
        .value_kind:     hidden_block_count_y
      - .offset:         144
        .size:           4
        .value_kind:     hidden_block_count_z
      - .offset:         148
        .size:           2
        .value_kind:     hidden_group_size_x
      - .offset:         150
        .size:           2
        .value_kind:     hidden_group_size_y
      - .offset:         152
        .size:           2
        .value_kind:     hidden_group_size_z
      - .offset:         154
        .size:           2
        .value_kind:     hidden_remainder_x
      - .offset:         156
        .size:           2
        .value_kind:     hidden_remainder_y
      - .offset:         158
        .size:           2
        .value_kind:     hidden_remainder_z
      - .offset:         176
        .size:           8
        .value_kind:     hidden_global_offset_x
      - .offset:         184
        .size:           8
        .value_kind:     hidden_global_offset_y
      - .offset:         192
        .size:           8
        .value_kind:     hidden_global_offset_z
      - .offset:         200
        .size:           2
        .value_kind:     hidden_grid_dims
    .group_segment_fixed_size: 0
    .kernarg_segment_align: 8
    .kernarg_segment_size: 392
    .language:       OpenCL C
    .language_version:
      - 2
      - 0
    .max_flat_workgroup_size: 1024
    .name:           _ZN9rocsolver6v33100L12bdsqr_rotateIffPfS2_S2_EEviiiiT1_iilT2_iilT3_iiliPiPT0_ilS6_
    .private_segment_fixed_size: 0
    .sgpr_count:     46
    .sgpr_spill_count: 0
    .symbol:         _ZN9rocsolver6v33100L12bdsqr_rotateIffPfS2_S2_EEviiiiT1_iilT2_iilT3_iiliPiPT0_ilS6_.kd
    .uniform_work_group_size: 1
    .uses_dynamic_stack: false
    .vgpr_count:     17
    .vgpr_spill_count: 0
    .wavefront_size: 32
    .workgroup_processor_mode: 1
  - .args:
      - .offset:         0
        .size:           4
        .value_kind:     by_value
      - .address_space:  global
        .offset:         8
        .size:           8
        .value_kind:     global_buffer
      - .offset:         16
        .size:           8
        .value_kind:     by_value
      - .address_space:  global
        .offset:         24
        .size:           8
        .value_kind:     global_buffer
      - .address_space:  global
        .offset:         32
        .size:           8
        .value_kind:     global_buffer
      - .offset:         40
        .size:           8
        .value_kind:     by_value
      - .address_space:  global
        .offset:         48
        .size:           8
        .value_kind:     global_buffer
      - .offset:         56
        .size:           4
        .value_kind:     hidden_block_count_x
      - .offset:         60
        .size:           4
        .value_kind:     hidden_block_count_y
      - .offset:         64
        .size:           4
        .value_kind:     hidden_block_count_z
      - .offset:         68
        .size:           2
        .value_kind:     hidden_group_size_x
      - .offset:         70
        .size:           2
        .value_kind:     hidden_group_size_y
      - .offset:         72
        .size:           2
        .value_kind:     hidden_group_size_z
      - .offset:         74
        .size:           2
        .value_kind:     hidden_remainder_x
      - .offset:         76
        .size:           2
        .value_kind:     hidden_remainder_y
      - .offset:         78
        .size:           2
        .value_kind:     hidden_remainder_z
      - .offset:         96
        .size:           8
        .value_kind:     hidden_global_offset_x
      - .offset:         104
        .size:           8
        .value_kind:     hidden_global_offset_y
      - .offset:         112
        .size:           8
        .value_kind:     hidden_global_offset_z
      - .offset:         120
        .size:           2
        .value_kind:     hidden_grid_dims
    .group_segment_fixed_size: 0
    .kernarg_segment_align: 8
    .kernarg_segment_size: 312
    .language:       OpenCL C
    .language_version:
      - 2
      - 0
    .max_flat_workgroup_size: 1024
    .name:           _ZN9rocsolver6v33100L22bdsqr_update_endpointsIffEEviPT0_lPiS3_lS4_
    .private_segment_fixed_size: 0
    .sgpr_count:     25
    .sgpr_spill_count: 0
    .symbol:         _ZN9rocsolver6v33100L22bdsqr_update_endpointsIffEEviPT0_lPiS3_lS4_.kd
    .uniform_work_group_size: 1
    .uses_dynamic_stack: false
    .vgpr_count:     9
    .vgpr_spill_count: 0
    .wavefront_size: 32
    .workgroup_processor_mode: 1
  - .args:
      - .offset:         0
        .size:           4
        .value_kind:     by_value
      - .offset:         4
        .size:           4
        .value_kind:     by_value
      - .address_space:  global
        .offset:         8
        .size:           8
        .value_kind:     global_buffer
      - .address_space:  global
        .offset:         16
        .size:           8
        .value_kind:     global_buffer
      - .offset:         24
        .size:           8
        .value_kind:     by_value
      - .address_space:  global
        .offset:         32
        .size:           8
        .value_kind:     global_buffer
    .group_segment_fixed_size: 0
    .kernarg_segment_align: 8
    .kernarg_segment_size: 40
    .language:       OpenCL C
    .language_version:
      - 2
      - 0
    .max_flat_workgroup_size: 1024
    .name:           _ZN9rocsolver6v33100L19bdsqr_chk_completedIffEEviiPiPT0_lS2_
    .private_segment_fixed_size: 0
    .sgpr_count:     18
    .sgpr_spill_count: 0
    .symbol:         _ZN9rocsolver6v33100L19bdsqr_chk_completedIffEEviiPiPT0_lS2_.kd
    .uniform_work_group_size: 1
    .uses_dynamic_stack: false
    .vgpr_count:     4
    .vgpr_spill_count: 0
    .wavefront_size: 32
    .workgroup_processor_mode: 1
  - .args:
      - .offset:         0
        .size:           4
        .value_kind:     by_value
      - .offset:         4
        .size:           4
        .value_kind:     by_value
      - .offset:         8
        .size:           4
        .value_kind:     by_value
      - .offset:         12
        .size:           4
        .value_kind:     by_value
      - .address_space:  global
        .offset:         16
        .size:           8
        .value_kind:     global_buffer
      - .offset:         24
        .size:           8
        .value_kind:     by_value
      - .address_space:  global
        .offset:         32
        .size:           8
        .value_kind:     global_buffer
      - .offset:         40
        .size:           8
        .value_kind:     by_value
      - .address_space:  global
        .offset:         48
        .size:           8
        .value_kind:     global_buffer
      - .offset:         56
        .size:           4
        .value_kind:     by_value
      - .offset:         60
        .size:           4
        .value_kind:     by_value
      - .offset:         64
        .size:           8
        .value_kind:     by_value
      - .address_space:  global
        .offset:         72
        .size:           8
        .value_kind:     global_buffer
      - .offset:         80
        .size:           4
        .value_kind:     by_value
      - .offset:         84
        .size:           4
        .value_kind:     by_value
      - .offset:         88
        .size:           8
        .value_kind:     by_value
      - .address_space:  global
        .offset:         96
        .size:           8
        .value_kind:     global_buffer
      - .offset:         104
        .size:           4
        .value_kind:     by_value
      - .offset:         108
        .size:           4
        .value_kind:     by_value
      - .offset:         112
        .size:           8
        .value_kind:     by_value
      - .address_space:  global
        .offset:         120
        .size:           8
        .value_kind:     global_buffer
      - .address_space:  global
        .offset:         128
        .size:           8
        .value_kind:     global_buffer
      - .address_space:  global
        .offset:         136
        .size:           8
        .value_kind:     global_buffer
      - .offset:         144
        .size:           4
        .value_kind:     hidden_block_count_x
      - .offset:         148
        .size:           4
        .value_kind:     hidden_block_count_y
      - .offset:         152
        .size:           4
        .value_kind:     hidden_block_count_z
      - .offset:         156
        .size:           2
        .value_kind:     hidden_group_size_x
      - .offset:         158
        .size:           2
        .value_kind:     hidden_group_size_y
      - .offset:         160
        .size:           2
        .value_kind:     hidden_group_size_z
      - .offset:         162
        .size:           2
        .value_kind:     hidden_remainder_x
      - .offset:         164
        .size:           2
        .value_kind:     hidden_remainder_y
      - .offset:         166
        .size:           2
        .value_kind:     hidden_remainder_z
      - .offset:         184
        .size:           8
        .value_kind:     hidden_global_offset_x
      - .offset:         192
        .size:           8
        .value_kind:     hidden_global_offset_y
      - .offset:         200
        .size:           8
        .value_kind:     hidden_global_offset_z
      - .offset:         208
        .size:           2
        .value_kind:     hidden_grid_dims
      - .offset:         224
        .size:           8
        .value_kind:     hidden_hostcall_buffer
    .group_segment_fixed_size: 0
    .kernarg_segment_align: 8
    .kernarg_segment_size: 400
    .language:       OpenCL C
    .language_version:
      - 2
      - 0
    .max_flat_workgroup_size: 1024
    .name:           _ZN9rocsolver6v33100L14bdsqr_finalizeIffPfS2_S2_EEviiiiPT0_lS4_lT1_iilT2_iilT3_iilPiS8_S8_
    .private_segment_fixed_size: 64
    .sgpr_count:     62
    .sgpr_spill_count: 0
    .symbol:         _ZN9rocsolver6v33100L14bdsqr_finalizeIffPfS2_S2_EEviiiiPT0_lS4_lT1_iilT2_iilT3_iilPiS8_S8_.kd
    .uniform_work_group_size: 1
    .uses_dynamic_stack: false
    .vgpr_count:     45
    .vgpr_spill_count: 0
    .wavefront_size: 32
    .workgroup_processor_mode: 1
  - .args:
      - .offset:         0
        .size:           4
        .value_kind:     by_value
      - .offset:         4
        .size:           4
        .value_kind:     by_value
      - .address_space:  global
        .offset:         8
        .size:           8
        .value_kind:     global_buffer
      - .offset:         16
        .size:           4
        .value_kind:     by_value
      - .offset:         20
        .size:           4
        .value_kind:     by_value
      - .offset:         24
        .size:           8
        .value_kind:     by_value
      - .address_space:  global
        .offset:         32
        .size:           8
        .value_kind:     global_buffer
      - .offset:         40
        .size:           4
        .value_kind:     by_value
      - .offset:         44
        .size:           4
        .value_kind:     by_value
      - .offset:         48
        .size:           8
        .value_kind:     by_value
      - .offset:         56
        .size:           1
        .value_kind:     by_value
      - .offset:         60
        .size:           4
        .value_kind:     by_value
      - .offset:         64
        .size:           4
        .value_kind:     by_value
      - .offset:         72
        .size:           4
        .value_kind:     hidden_block_count_x
      - .offset:         76
        .size:           4
        .value_kind:     hidden_block_count_y
      - .offset:         80
        .size:           4
        .value_kind:     hidden_block_count_z
      - .offset:         84
        .size:           2
        .value_kind:     hidden_group_size_x
      - .offset:         86
        .size:           2
        .value_kind:     hidden_group_size_y
      - .offset:         88
        .size:           2
        .value_kind:     hidden_group_size_z
      - .offset:         90
        .size:           2
        .value_kind:     hidden_remainder_x
      - .offset:         92
        .size:           2
        .value_kind:     hidden_remainder_y
      - .offset:         94
        .size:           2
        .value_kind:     hidden_remainder_z
      - .offset:         112
        .size:           8
        .value_kind:     hidden_global_offset_x
      - .offset:         120
        .size:           8
        .value_kind:     hidden_global_offset_y
      - .offset:         128
        .size:           8
        .value_kind:     hidden_global_offset_z
      - .offset:         136
        .size:           2
        .value_kind:     hidden_grid_dims
    .group_segment_fixed_size: 0
    .kernarg_segment_align: 8
    .kernarg_segment_size: 328
    .language:       OpenCL C
    .language_version:
      - 2
      - 0
    .max_flat_workgroup_size: 1024
    .name:           _ZN9rocsolver6v33100L8copy_matIfPfS2_NS0_7no_maskEEEviiT0_iilT1_iilT2_13rocblas_fill_17rocblas_diagonal_
    .private_segment_fixed_size: 0
    .sgpr_count:     18
    .sgpr_spill_count: 0
    .symbol:         _ZN9rocsolver6v33100L8copy_matIfPfS2_NS0_7no_maskEEEviiT0_iilT1_iilT2_13rocblas_fill_17rocblas_diagonal_.kd
    .uniform_work_group_size: 1
    .uses_dynamic_stack: false
    .vgpr_count:     6
    .vgpr_spill_count: 0
    .wavefront_size: 32
    .workgroup_processor_mode: 1
  - .args:
      - .address_space:  global
        .offset:         0
        .size:           8
        .value_kind:     global_buffer
      - .offset:         8
        .size:           4
        .value_kind:     by_value
      - .offset:         16
        .size:           8
        .value_kind:     by_value
    .group_segment_fixed_size: 0
    .kernarg_segment_align: 8
    .kernarg_segment_size: 24
    .language:       OpenCL C
    .language_version:
      - 2
      - 0
    .max_flat_workgroup_size: 32
    .name:           _ZN9rocsolver6v33100L6iota_nIdEEvPT_jS2_
    .private_segment_fixed_size: 0
    .sgpr_count:     6
    .sgpr_spill_count: 0
    .symbol:         _ZN9rocsolver6v33100L6iota_nIdEEvPT_jS2_.kd
    .uniform_work_group_size: 1
    .uses_dynamic_stack: false
    .vgpr_count:     3
    .vgpr_spill_count: 0
    .wavefront_size: 32
    .workgroup_processor_mode: 1
  - .args:
      - .offset:         0
        .size:           4
        .value_kind:     by_value
      - .offset:         4
        .size:           4
        .value_kind:     by_value
      - .address_space:  global
        .offset:         8
        .size:           8
        .value_kind:     global_buffer
      - .offset:         16
        .size:           8
        .value_kind:     by_value
      - .offset:         24
        .size:           4
        .value_kind:     by_value
      - .offset:         32
        .size:           8
        .value_kind:     by_value
      - .address_space:  global
        .offset:         40
        .size:           8
        .value_kind:     global_buffer
      - .offset:         48
        .size:           8
        .value_kind:     by_value
      - .address_space:  global
        .offset:         56
        .size:           8
        .value_kind:     global_buffer
      - .offset:         64
        .size:           8
        .value_kind:     by_value
    .group_segment_fixed_size: 0
    .kernarg_segment_align: 8
    .kernarg_segment_size: 72
    .language:       OpenCL C
    .language_version:
      - 2
      - 0
    .max_flat_workgroup_size: 256
    .name:           _ZN9rocsolver6v33100L18geqr2_kernel_smallILi256EdidPdEEvT1_S3_T3_lS3_lPT2_lPT0_l
    .private_segment_fixed_size: 0
    .sgpr_count:     42
    .sgpr_spill_count: 0
    .symbol:         _ZN9rocsolver6v33100L18geqr2_kernel_smallILi256EdidPdEEvT1_S3_T3_lS3_lPT2_lPT0_l.kd
    .uniform_work_group_size: 1
    .uses_dynamic_stack: false
    .vgpr_count:     36
    .vgpr_spill_count: 0
    .wavefront_size: 32
    .workgroup_processor_mode: 1
  - .args:
      - .address_space:  global
        .offset:         0
        .size:           8
        .value_kind:     global_buffer
      - .offset:         8
        .size:           8
        .value_kind:     by_value
      - .offset:         16
        .size:           4
        .value_kind:     by_value
      - .offset:         20
        .size:           4
        .value_kind:     by_value
      - .offset:         24
        .size:           4
        .value_kind:     hidden_block_count_x
      - .offset:         28
        .size:           4
        .value_kind:     hidden_block_count_y
      - .offset:         32
        .size:           4
        .value_kind:     hidden_block_count_z
      - .offset:         36
        .size:           2
        .value_kind:     hidden_group_size_x
      - .offset:         38
        .size:           2
        .value_kind:     hidden_group_size_y
      - .offset:         40
        .size:           2
        .value_kind:     hidden_group_size_z
      - .offset:         42
        .size:           2
        .value_kind:     hidden_remainder_x
      - .offset:         44
        .size:           2
        .value_kind:     hidden_remainder_y
      - .offset:         46
        .size:           2
        .value_kind:     hidden_remainder_z
      - .offset:         64
        .size:           8
        .value_kind:     hidden_global_offset_x
      - .offset:         72
        .size:           8
        .value_kind:     hidden_global_offset_y
      - .offset:         80
        .size:           8
        .value_kind:     hidden_global_offset_z
      - .offset:         88
        .size:           2
        .value_kind:     hidden_grid_dims
    .group_segment_fixed_size: 0
    .kernarg_segment_align: 8
    .kernarg_segment_size: 280
    .language:       OpenCL C
    .language_version:
      - 2
      - 0
    .max_flat_workgroup_size: 1024
    .name:           _ZN9rocsolver6v33100L16reset_batch_infoIdiiPdEEvT2_lT0_T1_
    .private_segment_fixed_size: 0
    .sgpr_count:     18
    .sgpr_spill_count: 0
    .symbol:         _ZN9rocsolver6v33100L16reset_batch_infoIdiiPdEEvT2_lT0_T1_.kd
    .uniform_work_group_size: 1
    .uses_dynamic_stack: false
    .vgpr_count:     5
    .vgpr_spill_count: 0
    .wavefront_size: 32
    .workgroup_processor_mode: 1
  - .args:
      - .address_space:  global
        .offset:         0
        .size:           8
        .value_kind:     global_buffer
      - .offset:         8
        .size:           8
        .value_kind:     by_value
      - .offset:         16
        .size:           8
        .value_kind:     by_value
      - .address_space:  global
        .offset:         24
        .size:           8
        .value_kind:     global_buffer
      - .offset:         32
        .size:           8
        .value_kind:     by_value
      - .offset:         40
        .size:           4
        .value_kind:     by_value
      - .offset:         48
        .size:           8
        .value_kind:     by_value
      - .offset:         56
        .size:           4
        .value_kind:     by_value
      - .offset:         60
        .size:           1
        .value_kind:     by_value
      - .offset:         64
        .size:           4
        .value_kind:     hidden_block_count_x
      - .offset:         68
        .size:           4
        .value_kind:     hidden_block_count_y
      - .offset:         72
        .size:           4
        .value_kind:     hidden_block_count_z
      - .offset:         76
        .size:           2
        .value_kind:     hidden_group_size_x
      - .offset:         78
        .size:           2
        .value_kind:     hidden_group_size_y
      - .offset:         80
        .size:           2
        .value_kind:     hidden_group_size_z
      - .offset:         82
        .size:           2
        .value_kind:     hidden_remainder_x
      - .offset:         84
        .size:           2
        .value_kind:     hidden_remainder_y
      - .offset:         86
        .size:           2
        .value_kind:     hidden_remainder_z
      - .offset:         104
        .size:           8
        .value_kind:     hidden_global_offset_x
      - .offset:         112
        .size:           8
        .value_kind:     hidden_global_offset_y
      - .offset:         120
        .size:           8
        .value_kind:     hidden_global_offset_z
      - .offset:         128
        .size:           2
        .value_kind:     hidden_grid_dims
    .group_segment_fixed_size: 0
    .kernarg_segment_align: 8
    .kernarg_segment_size: 320
    .language:       OpenCL C
    .language_version:
      - 2
      - 0
    .max_flat_workgroup_size: 1024
    .name:           _ZN9rocsolver6v33100L8set_diagIdidPdTnNSt9enable_ifIXoont18rocblas_is_complexIT_E18rocblas_is_complexIT1_EEiE4typeELi0EEEvPS5_llT2_lT0_lSA_b
    .private_segment_fixed_size: 0
    .sgpr_count:     19
    .sgpr_spill_count: 0
    .symbol:         _ZN9rocsolver6v33100L8set_diagIdidPdTnNSt9enable_ifIXoont18rocblas_is_complexIT_E18rocblas_is_complexIT1_EEiE4typeELi0EEEvPS5_llT2_lT0_lSA_b.kd
    .uniform_work_group_size: 1
    .uses_dynamic_stack: false
    .vgpr_count:     9
    .vgpr_spill_count: 0
    .wavefront_size: 32
    .workgroup_processor_mode: 1
  - .args:
      - .address_space:  global
        .offset:         0
        .size:           8
        .value_kind:     global_buffer
      - .offset:         8
        .size:           8
        .value_kind:     by_value
      - .address_space:  global
        .offset:         16
        .size:           8
        .value_kind:     global_buffer
      - .address_space:  global
        .offset:         24
        .size:           8
        .value_kind:     global_buffer
      - .offset:         32
        .size:           8
        .value_kind:     by_value
      - .offset:         40
        .size:           8
        .value_kind:     by_value
      - .address_space:  global
        .offset:         48
        .size:           8
        .value_kind:     global_buffer
      - .offset:         56
        .size:           8
        .value_kind:     by_value
      - .offset:         64
        .size:           8
        .value_kind:     by_value
    .group_segment_fixed_size: 0
    .kernarg_segment_align: 8
    .kernarg_segment_size: 72
    .language:       OpenCL C
    .language_version:
      - 2
      - 0
    .max_flat_workgroup_size: 1024
    .name:           _ZN9rocsolver6v33100L11set_taubetaIdidPdEEvPT_lS4_T2_llPT1_ll
    .private_segment_fixed_size: 0
    .sgpr_count:     24
    .sgpr_spill_count: 0
    .symbol:         _ZN9rocsolver6v33100L11set_taubetaIdidPdEEvPT_lS4_T2_llPT1_ll.kd
    .uniform_work_group_size: 1
    .uses_dynamic_stack: false
    .vgpr_count:     13
    .vgpr_spill_count: 0
    .wavefront_size: 32
    .workgroup_processor_mode: 1
  - .args:
      - .offset:         0
        .size:           4
        .value_kind:     by_value
      - .offset:         4
        .size:           4
        .value_kind:     by_value
      - .address_space:  global
        .offset:         8
        .size:           8
        .value_kind:     global_buffer
      - .offset:         16
        .size:           8
        .value_kind:     by_value
      - .offset:         24
        .size:           4
        .value_kind:     by_value
      - .offset:         32
        .size:           8
        .value_kind:     by_value
    .group_segment_fixed_size: 0
    .kernarg_segment_align: 8
    .kernarg_segment_size: 40
    .language:       OpenCL C
    .language_version:
      - 2
      - 0
    .max_flat_workgroup_size: 1024
    .name:           _ZN9rocsolver6v33100L13conj_in_placeIdiPdTnNSt9enable_ifIXnt18rocblas_is_complexIT_EEiE4typeELi0EEEvT0_S7_T1_lS7_l
    .private_segment_fixed_size: 0
    .sgpr_count:     0
    .sgpr_spill_count: 0
    .symbol:         _ZN9rocsolver6v33100L13conj_in_placeIdiPdTnNSt9enable_ifIXnt18rocblas_is_complexIT_EEiE4typeELi0EEEvT0_S7_T1_lS7_l.kd
    .uniform_work_group_size: 1
    .uses_dynamic_stack: false
    .vgpr_count:     0
    .vgpr_spill_count: 0
    .wavefront_size: 32
    .workgroup_processor_mode: 1
  - .args:
      - .offset:         0
        .size:           4
        .value_kind:     by_value
      - .offset:         4
        .size:           4
        .value_kind:     by_value
      - .address_space:  global
        .offset:         8
        .size:           8
        .value_kind:     global_buffer
      - .offset:         16
        .size:           8
        .value_kind:     by_value
      - .offset:         24
        .size:           4
        .value_kind:     by_value
      - .offset:         32
        .size:           8
        .value_kind:     by_value
      - .address_space:  global
        .offset:         40
        .size:           8
        .value_kind:     global_buffer
      - .offset:         48
        .size:           8
        .value_kind:     by_value
      - .address_space:  global
        .offset:         56
        .size:           8
        .value_kind:     global_buffer
      - .offset:         64
        .size:           8
        .value_kind:     by_value
      - .offset:         72
        .size:           4
        .value_kind:     by_value
      - .offset:         80
        .size:           8
        .value_kind:     by_value
    .group_segment_fixed_size: 0
    .kernarg_segment_align: 8
    .kernarg_segment_size: 88
    .language:       OpenCL C
    .language_version:
      - 2
      - 0
    .max_flat_workgroup_size: 1024
    .name:           _ZN9rocsolver6v33100L16larf_left_kernelILi1024EdiPdEEvT1_S3_T2_lS3_lPKT0_lS4_lS3_l
    .private_segment_fixed_size: 0
    .sgpr_count:     32
    .sgpr_spill_count: 0
    .symbol:         _ZN9rocsolver6v33100L16larf_left_kernelILi1024EdiPdEEvT1_S3_T2_lS3_lPKT0_lS4_lS3_l.kd
    .uniform_work_group_size: 1
    .uses_dynamic_stack: false
    .vgpr_count:     15
    .vgpr_spill_count: 0
    .wavefront_size: 32
    .workgroup_processor_mode: 1
  - .args:
      - .offset:         0
        .size:           4
        .value_kind:     by_value
      - .offset:         4
        .size:           4
        .value_kind:     by_value
      - .address_space:  global
        .offset:         8
        .size:           8
        .value_kind:     global_buffer
      - .offset:         16
        .size:           8
        .value_kind:     by_value
      - .offset:         24
        .size:           4
        .value_kind:     by_value
      - .offset:         32
        .size:           8
        .value_kind:     by_value
      - .address_space:  global
        .offset:         40
        .size:           8
        .value_kind:     global_buffer
      - .offset:         48
        .size:           8
        .value_kind:     by_value
      - .address_space:  global
        .offset:         56
        .size:           8
        .value_kind:     global_buffer
      - .offset:         64
        .size:           8
        .value_kind:     by_value
      - .offset:         72
        .size:           4
        .value_kind:     by_value
      - .offset:         80
        .size:           8
        .value_kind:     by_value
    .group_segment_fixed_size: 0
    .kernarg_segment_align: 8
    .kernarg_segment_size: 88
    .language:       OpenCL C
    .language_version:
      - 2
      - 0
    .max_flat_workgroup_size: 1024
    .name:           _ZN9rocsolver6v33100L17larf_right_kernelILi1024EdiPdEEvT1_S3_T2_lS3_lPKT0_lS4_lS3_l
    .private_segment_fixed_size: 0
    .sgpr_count:     36
    .sgpr_spill_count: 0
    .symbol:         _ZN9rocsolver6v33100L17larf_right_kernelILi1024EdiPdEEvT1_S3_T2_lS3_lPKT0_lS4_lS3_l.kd
    .uniform_work_group_size: 1
    .uses_dynamic_stack: false
    .vgpr_count:     15
    .vgpr_spill_count: 0
    .wavefront_size: 32
    .workgroup_processor_mode: 1
  - .args:
      - .address_space:  global
        .offset:         0
        .size:           8
        .value_kind:     global_buffer
      - .offset:         8
        .size:           8
        .value_kind:     by_value
      - .offset:         16
        .size:           8
        .value_kind:     by_value
      - .address_space:  global
        .offset:         24
        .size:           8
        .value_kind:     global_buffer
      - .offset:         32
        .size:           8
        .value_kind:     by_value
      - .offset:         40
        .size:           4
        .value_kind:     by_value
      - .offset:         48
        .size:           8
        .value_kind:     by_value
      - .offset:         56
        .size:           4
        .value_kind:     by_value
      - .offset:         64
        .size:           4
        .value_kind:     hidden_block_count_x
      - .offset:         68
        .size:           4
        .value_kind:     hidden_block_count_y
      - .offset:         72
        .size:           4
        .value_kind:     hidden_block_count_z
      - .offset:         76
        .size:           2
        .value_kind:     hidden_group_size_x
      - .offset:         78
        .size:           2
        .value_kind:     hidden_group_size_y
      - .offset:         80
        .size:           2
        .value_kind:     hidden_group_size_z
      - .offset:         82
        .size:           2
        .value_kind:     hidden_remainder_x
      - .offset:         84
        .size:           2
        .value_kind:     hidden_remainder_y
      - .offset:         86
        .size:           2
        .value_kind:     hidden_remainder_z
      - .offset:         104
        .size:           8
        .value_kind:     hidden_global_offset_x
      - .offset:         112
        .size:           8
        .value_kind:     hidden_global_offset_y
      - .offset:         120
        .size:           8
        .value_kind:     hidden_global_offset_z
      - .offset:         128
        .size:           2
        .value_kind:     hidden_grid_dims
    .group_segment_fixed_size: 0
    .kernarg_segment_align: 8
    .kernarg_segment_size: 320
    .language:       OpenCL C
    .language_version:
      - 2
      - 0
    .max_flat_workgroup_size: 1024
    .name:           _ZN9rocsolver6v33100L12restore_diagIdidPdEEvPT1_llT2_lT0_lS6_
    .private_segment_fixed_size: 0
    .sgpr_count:     19
    .sgpr_spill_count: 0
    .symbol:         _ZN9rocsolver6v33100L12restore_diagIdidPdEEvPT1_llT2_lT0_lS6_.kd
    .uniform_work_group_size: 1
    .uses_dynamic_stack: false
    .vgpr_count:     4
    .vgpr_spill_count: 0
    .wavefront_size: 32
    .workgroup_processor_mode: 1
  - .args:
      - .offset:         0
        .size:           4
        .value_kind:     by_value
      - .offset:         4
        .size:           4
        .value_kind:     by_value
      - .address_space:  global
        .offset:         8
        .size:           8
        .value_kind:     global_buffer
      - .offset:         16
        .size:           4
        .value_kind:     by_value
      - .offset:         20
        .size:           4
        .value_kind:     by_value
      - .offset:         24
        .size:           8
        .value_kind:     by_value
      - .address_space:  global
        .offset:         32
        .size:           8
        .value_kind:     global_buffer
      - .offset:         40
        .size:           8
        .value_kind:     by_value
      - .address_space:  global
        .offset:         48
        .size:           8
        .value_kind:     global_buffer
      - .offset:         56
        .size:           4
        .value_kind:     by_value
      - .offset:         64
        .size:           8
        .value_kind:     by_value
      - .offset:         72
        .size:           4
        .value_kind:     by_value
      - .offset:         76
        .size:           4
        .value_kind:     by_value
      - .offset:         80
        .size:           1
        .value_kind:     by_value
      - .offset:         88
        .size:           4
        .value_kind:     hidden_block_count_x
      - .offset:         92
        .size:           4
        .value_kind:     hidden_block_count_y
      - .offset:         96
        .size:           4
        .value_kind:     hidden_block_count_z
      - .offset:         100
        .size:           2
        .value_kind:     hidden_group_size_x
      - .offset:         102
        .size:           2
        .value_kind:     hidden_group_size_y
      - .offset:         104
        .size:           2
        .value_kind:     hidden_group_size_z
      - .offset:         106
        .size:           2
        .value_kind:     hidden_remainder_x
      - .offset:         108
        .size:           2
        .value_kind:     hidden_remainder_y
      - .offset:         110
        .size:           2
        .value_kind:     hidden_remainder_z
      - .offset:         128
        .size:           8
        .value_kind:     hidden_global_offset_x
      - .offset:         136
        .size:           8
        .value_kind:     hidden_global_offset_y
      - .offset:         144
        .size:           8
        .value_kind:     hidden_global_offset_z
      - .offset:         152
        .size:           2
        .value_kind:     hidden_grid_dims
    .group_segment_fixed_size: 0
    .kernarg_segment_align: 8
    .kernarg_segment_size: 344
    .language:       OpenCL C
    .language_version:
      - 2
      - 0
    .max_flat_workgroup_size: 1024
    .name:           _ZN9rocsolver6v33100L14set_triangularIdPdTnNSt9enable_ifIXnt18rocblas_is_complexIT_EEiE4typeELi0EEEviiT0_iilPS4_lS8_il15rocblas_direct_15rocblas_storev_b
    .private_segment_fixed_size: 0
    .sgpr_count:     24
    .sgpr_spill_count: 0
    .symbol:         _ZN9rocsolver6v33100L14set_triangularIdPdTnNSt9enable_ifIXnt18rocblas_is_complexIT_EEiE4typeELi0EEEviiT0_iilPS4_lS8_il15rocblas_direct_15rocblas_storev_b.kd
    .uniform_work_group_size: 1
    .uses_dynamic_stack: false
    .vgpr_count:     15
    .vgpr_spill_count: 0
    .wavefront_size: 32
    .workgroup_processor_mode: 1
  - .args:
      - .offset:         0
        .size:           4
        .value_kind:     by_value
      - .address_space:  global
        .offset:         8
        .size:           8
        .value_kind:     global_buffer
      - .offset:         16
        .size:           8
        .value_kind:     by_value
      - .offset:         24
        .size:           4
        .value_kind:     hidden_block_count_x
      - .offset:         28
        .size:           4
        .value_kind:     hidden_block_count_y
      - .offset:         32
        .size:           4
        .value_kind:     hidden_block_count_z
      - .offset:         36
        .size:           2
        .value_kind:     hidden_group_size_x
      - .offset:         38
        .size:           2
        .value_kind:     hidden_group_size_y
      - .offset:         40
        .size:           2
        .value_kind:     hidden_group_size_z
      - .offset:         42
        .size:           2
        .value_kind:     hidden_remainder_x
      - .offset:         44
        .size:           2
        .value_kind:     hidden_remainder_y
      - .offset:         46
        .size:           2
        .value_kind:     hidden_remainder_z
      - .offset:         64
        .size:           8
        .value_kind:     hidden_global_offset_x
      - .offset:         72
        .size:           8
        .value_kind:     hidden_global_offset_y
      - .offset:         80
        .size:           8
        .value_kind:     hidden_global_offset_z
      - .offset:         88
        .size:           2
        .value_kind:     hidden_grid_dims
    .group_segment_fixed_size: 0
    .kernarg_segment_align: 8
    .kernarg_segment_size: 280
    .language:       OpenCL C
    .language_version:
      - 2
      - 0
    .max_flat_workgroup_size: 1024
    .name:           _ZN9rocsolver6v33100L7set_tauIdEEviPT_l
    .private_segment_fixed_size: 0
    .sgpr_count:     18
    .sgpr_spill_count: 0
    .symbol:         _ZN9rocsolver6v33100L7set_tauIdEEviPT_l.kd
    .uniform_work_group_size: 1
    .uses_dynamic_stack: false
    .vgpr_count:     4
    .vgpr_spill_count: 0
    .wavefront_size: 32
    .workgroup_processor_mode: 1
  - .args:
      - .offset:         0
        .size:           4
        .value_kind:     by_value
      - .offset:         4
        .size:           4
        .value_kind:     by_value
      - .offset:         8
        .size:           4
        .value_kind:     by_value
      - .address_space:  global
        .offset:         16
        .size:           8
        .value_kind:     global_buffer
      - .offset:         24
        .size:           4
        .value_kind:     by_value
      - .offset:         28
        .size:           4
        .value_kind:     by_value
      - .offset:         32
        .size:           8
        .value_kind:     by_value
      - .address_space:  global
        .offset:         40
        .size:           8
        .value_kind:     global_buffer
      - .offset:         48
        .size:           8
        .value_kind:     by_value
      - .address_space:  global
        .offset:         56
        .size:           8
        .value_kind:     global_buffer
      - .offset:         64
        .size:           4
        .value_kind:     by_value
      - .offset:         72
        .size:           8
        .value_kind:     by_value
      - .offset:         80
        .size:           4
        .value_kind:     hidden_block_count_x
      - .offset:         84
        .size:           4
        .value_kind:     hidden_block_count_y
      - .offset:         88
        .size:           4
        .value_kind:     hidden_block_count_z
      - .offset:         92
        .size:           2
        .value_kind:     hidden_group_size_x
      - .offset:         94
        .size:           2
        .value_kind:     hidden_group_size_y
      - .offset:         96
        .size:           2
        .value_kind:     hidden_group_size_z
      - .offset:         98
        .size:           2
        .value_kind:     hidden_remainder_x
      - .offset:         100
        .size:           2
        .value_kind:     hidden_remainder_y
      - .offset:         102
        .size:           2
        .value_kind:     hidden_remainder_z
      - .offset:         120
        .size:           8
        .value_kind:     hidden_global_offset_x
      - .offset:         128
        .size:           8
        .value_kind:     hidden_global_offset_y
      - .offset:         136
        .size:           8
        .value_kind:     hidden_global_offset_z
      - .offset:         144
        .size:           2
        .value_kind:     hidden_grid_dims
      - .offset:         200
        .size:           4
        .value_kind:     hidden_dynamic_lds_size
    .group_segment_fixed_size: 0
    .kernarg_segment_align: 8
    .kernarg_segment_size: 336
    .language:       OpenCL C
    .language_version:
      - 2
      - 0
    .max_flat_workgroup_size: 1024
    .name:           _ZN9rocsolver6v33100L20larft_kernel_forwardIdPdEEv15rocblas_storev_iiT0_iilPT_lS6_il
    .private_segment_fixed_size: 0
    .sgpr_count:     46
    .sgpr_spill_count: 0
    .symbol:         _ZN9rocsolver6v33100L20larft_kernel_forwardIdPdEEv15rocblas_storev_iiT0_iilPT_lS6_il.kd
    .uniform_work_group_size: 1
    .uses_dynamic_stack: false
    .vgpr_count:     19
    .vgpr_spill_count: 0
    .wavefront_size: 32
    .workgroup_processor_mode: 1
  - .args:
      - .offset:         0
        .size:           4
        .value_kind:     by_value
      - .offset:         4
        .size:           4
        .value_kind:     by_value
      - .offset:         8
        .size:           4
        .value_kind:     by_value
      - .address_space:  global
        .offset:         16
        .size:           8
        .value_kind:     global_buffer
      - .offset:         24
        .size:           4
        .value_kind:     by_value
      - .offset:         28
        .size:           4
        .value_kind:     by_value
      - .offset:         32
        .size:           8
        .value_kind:     by_value
      - .address_space:  global
        .offset:         40
        .size:           8
        .value_kind:     global_buffer
      - .offset:         48
        .size:           8
        .value_kind:     by_value
      - .address_space:  global
        .offset:         56
        .size:           8
        .value_kind:     global_buffer
      - .offset:         64
        .size:           4
        .value_kind:     by_value
      - .offset:         72
        .size:           8
        .value_kind:     by_value
      - .offset:         80
        .size:           4
        .value_kind:     hidden_block_count_x
      - .offset:         84
        .size:           4
        .value_kind:     hidden_block_count_y
      - .offset:         88
        .size:           4
        .value_kind:     hidden_block_count_z
      - .offset:         92
        .size:           2
        .value_kind:     hidden_group_size_x
      - .offset:         94
        .size:           2
        .value_kind:     hidden_group_size_y
      - .offset:         96
        .size:           2
        .value_kind:     hidden_group_size_z
      - .offset:         98
        .size:           2
        .value_kind:     hidden_remainder_x
      - .offset:         100
        .size:           2
        .value_kind:     hidden_remainder_y
      - .offset:         102
        .size:           2
        .value_kind:     hidden_remainder_z
      - .offset:         120
        .size:           8
        .value_kind:     hidden_global_offset_x
      - .offset:         128
        .size:           8
        .value_kind:     hidden_global_offset_y
      - .offset:         136
        .size:           8
        .value_kind:     hidden_global_offset_z
      - .offset:         144
        .size:           2
        .value_kind:     hidden_grid_dims
      - .offset:         200
        .size:           4
        .value_kind:     hidden_dynamic_lds_size
    .group_segment_fixed_size: 0
    .kernarg_segment_align: 8
    .kernarg_segment_size: 336
    .language:       OpenCL C
    .language_version:
      - 2
      - 0
    .max_flat_workgroup_size: 1024
    .name:           _ZN9rocsolver6v33100L21larft_kernel_backwardIdPdEEv15rocblas_storev_iiT0_iilPT_lS6_il
    .private_segment_fixed_size: 0
    .sgpr_count:     48
    .sgpr_spill_count: 0
    .symbol:         _ZN9rocsolver6v33100L21larft_kernel_backwardIdPdEEv15rocblas_storev_iiT0_iilPT_lS6_il.kd
    .uniform_work_group_size: 1
    .uses_dynamic_stack: false
    .vgpr_count:     16
    .vgpr_spill_count: 0
    .wavefront_size: 32
    .workgroup_processor_mode: 1
  - .args:
      - .offset:         0
        .size:           4
        .value_kind:     by_value
      - .offset:         4
        .size:           4
        .value_kind:     by_value
      - .address_space:  global
        .offset:         8
        .size:           8
        .value_kind:     global_buffer
      - .offset:         16
        .size:           4
        .value_kind:     by_value
      - .offset:         20
        .size:           4
        .value_kind:     by_value
      - .offset:         24
        .size:           8
        .value_kind:     by_value
      - .address_space:  global
        .offset:         32
        .size:           8
        .value_kind:     global_buffer
      - .offset:         40
        .size:           4
        .value_kind:     hidden_block_count_x
      - .offset:         44
        .size:           4
        .value_kind:     hidden_block_count_y
      - .offset:         48
        .size:           4
        .value_kind:     hidden_block_count_z
      - .offset:         52
        .size:           2
        .value_kind:     hidden_group_size_x
      - .offset:         54
        .size:           2
        .value_kind:     hidden_group_size_y
      - .offset:         56
        .size:           2
        .value_kind:     hidden_group_size_z
      - .offset:         58
        .size:           2
        .value_kind:     hidden_remainder_x
      - .offset:         60
        .size:           2
        .value_kind:     hidden_remainder_y
      - .offset:         62
        .size:           2
        .value_kind:     hidden_remainder_z
      - .offset:         80
        .size:           8
        .value_kind:     hidden_global_offset_x
      - .offset:         88
        .size:           8
        .value_kind:     hidden_global_offset_y
      - .offset:         96
        .size:           8
        .value_kind:     hidden_global_offset_z
      - .offset:         104
        .size:           2
        .value_kind:     hidden_grid_dims
    .group_segment_fixed_size: 0
    .kernarg_segment_align: 8
    .kernarg_segment_size: 296
    .language:       OpenCL C
    .language_version:
      - 2
      - 0
    .max_flat_workgroup_size: 1024
    .name:           _ZN9rocsolver6v33100L9copymatA1IdPdEEviiT0_iilPT_
    .private_segment_fixed_size: 0
    .sgpr_count:     18
    .sgpr_spill_count: 0
    .symbol:         _ZN9rocsolver6v33100L9copymatA1IdPdEEviiT0_iilPT_.kd
    .uniform_work_group_size: 1
    .uses_dynamic_stack: false
    .vgpr_count:     8
    .vgpr_spill_count: 0
    .wavefront_size: 32
    .workgroup_processor_mode: 1
  - .args:
      - .offset:         0
        .size:           4
        .value_kind:     by_value
      - .offset:         4
        .size:           4
        .value_kind:     by_value
      - .address_space:  global
        .offset:         8
        .size:           8
        .value_kind:     global_buffer
      - .offset:         16
        .size:           4
        .value_kind:     by_value
      - .offset:         20
        .size:           4
        .value_kind:     by_value
      - .offset:         24
        .size:           8
        .value_kind:     by_value
      - .address_space:  global
        .offset:         32
        .size:           8
        .value_kind:     global_buffer
      - .offset:         40
        .size:           4
        .value_kind:     hidden_block_count_x
      - .offset:         44
        .size:           4
        .value_kind:     hidden_block_count_y
      - .offset:         48
        .size:           4
        .value_kind:     hidden_block_count_z
      - .offset:         52
        .size:           2
        .value_kind:     hidden_group_size_x
      - .offset:         54
        .size:           2
        .value_kind:     hidden_group_size_y
      - .offset:         56
        .size:           2
        .value_kind:     hidden_group_size_z
      - .offset:         58
        .size:           2
        .value_kind:     hidden_remainder_x
      - .offset:         60
        .size:           2
        .value_kind:     hidden_remainder_y
      - .offset:         62
        .size:           2
        .value_kind:     hidden_remainder_z
      - .offset:         80
        .size:           8
        .value_kind:     hidden_global_offset_x
      - .offset:         88
        .size:           8
        .value_kind:     hidden_global_offset_y
      - .offset:         96
        .size:           8
        .value_kind:     hidden_global_offset_z
      - .offset:         104
        .size:           2
        .value_kind:     hidden_grid_dims
    .group_segment_fixed_size: 0
    .kernarg_segment_align: 8
    .kernarg_segment_size: 296
    .language:       OpenCL C
    .language_version:
      - 2
      - 0
    .max_flat_workgroup_size: 1024
    .name:           _ZN9rocsolver6v33100L8addmatA1IdPdEEviiT0_iilPT_
    .private_segment_fixed_size: 0
    .sgpr_count:     18
    .sgpr_spill_count: 0
    .symbol:         _ZN9rocsolver6v33100L8addmatA1IdPdEEviiT0_iilPT_.kd
    .uniform_work_group_size: 1
    .uses_dynamic_stack: false
    .vgpr_count:     6
    .vgpr_spill_count: 0
    .wavefront_size: 32
    .workgroup_processor_mode: 1
  - .args:
      - .offset:         0
        .size:           4
        .value_kind:     by_value
      - .offset:         4
        .size:           4
        .value_kind:     by_value
      - .address_space:  global
        .offset:         8
        .size:           8
        .value_kind:     global_buffer
      - .offset:         16
        .size:           4
        .value_kind:     by_value
      - .offset:         20
        .size:           4
        .value_kind:     by_value
      - .offset:         24
        .size:           8
        .value_kind:     by_value
      - .offset:         32
        .size:           4
        .value_kind:     by_value
      - .offset:         40
        .size:           4
        .value_kind:     hidden_block_count_x
      - .offset:         44
        .size:           4
        .value_kind:     hidden_block_count_y
      - .offset:         48
        .size:           4
        .value_kind:     hidden_block_count_z
      - .offset:         52
        .size:           2
        .value_kind:     hidden_group_size_x
      - .offset:         54
        .size:           2
        .value_kind:     hidden_group_size_y
      - .offset:         56
        .size:           2
        .value_kind:     hidden_group_size_z
      - .offset:         58
        .size:           2
        .value_kind:     hidden_remainder_x
      - .offset:         60
        .size:           2
        .value_kind:     hidden_remainder_y
      - .offset:         62
        .size:           2
        .value_kind:     hidden_remainder_z
      - .offset:         80
        .size:           8
        .value_kind:     hidden_global_offset_x
      - .offset:         88
        .size:           8
        .value_kind:     hidden_global_offset_y
      - .offset:         96
        .size:           8
        .value_kind:     hidden_global_offset_z
      - .offset:         104
        .size:           2
        .value_kind:     hidden_grid_dims
    .group_segment_fixed_size: 0
    .kernarg_segment_align: 8
    .kernarg_segment_size: 296
    .language:       OpenCL C
    .language_version:
      - 2
      - 0
    .max_flat_workgroup_size: 1024
    .name:           _ZN9rocsolver6v33100L8set_zeroIdPdEEviiT0_iil13rocblas_fill_
    .private_segment_fixed_size: 0
    .sgpr_count:     18
    .sgpr_spill_count: 0
    .symbol:         _ZN9rocsolver6v33100L8set_zeroIdPdEEviiT0_iil13rocblas_fill_.kd
    .uniform_work_group_size: 1
    .uses_dynamic_stack: false
    .vgpr_count:     5
    .vgpr_spill_count: 0
    .wavefront_size: 32
    .workgroup_processor_mode: 1
  - .args:
      - .offset:         0
        .size:           4
        .value_kind:     by_value
      - .offset:         4
        .size:           4
        .value_kind:     by_value
      - .offset:         8
        .size:           4
        .value_kind:     by_value
      - .address_space:  global
        .offset:         16
        .size:           8
        .value_kind:     global_buffer
      - .offset:         24
        .size:           4
        .value_kind:     by_value
      - .offset:         28
        .size:           4
        .value_kind:     by_value
      - .offset:         32
        .size:           8
        .value_kind:     by_value
      - .offset:         40
        .size:           4
        .value_kind:     hidden_block_count_x
      - .offset:         44
        .size:           4
        .value_kind:     hidden_block_count_y
      - .offset:         48
        .size:           4
        .value_kind:     hidden_block_count_z
      - .offset:         52
        .size:           2
        .value_kind:     hidden_group_size_x
      - .offset:         54
        .size:           2
        .value_kind:     hidden_group_size_y
      - .offset:         56
        .size:           2
        .value_kind:     hidden_group_size_z
      - .offset:         58
        .size:           2
        .value_kind:     hidden_remainder_x
      - .offset:         60
        .size:           2
        .value_kind:     hidden_remainder_y
      - .offset:         62
        .size:           2
        .value_kind:     hidden_remainder_z
      - .offset:         80
        .size:           8
        .value_kind:     hidden_global_offset_x
      - .offset:         88
        .size:           8
        .value_kind:     hidden_global_offset_y
      - .offset:         96
        .size:           8
        .value_kind:     hidden_global_offset_z
      - .offset:         104
        .size:           2
        .value_kind:     hidden_grid_dims
    .group_segment_fixed_size: 0
    .kernarg_segment_align: 8
    .kernarg_segment_size: 296
    .language:       OpenCL C
    .language_version:
      - 2
      - 0
    .max_flat_workgroup_size: 1024
    .name:           _ZN9rocsolver6v33100L16org2r_init_identIdPdEEviiiT0_iil
    .private_segment_fixed_size: 0
    .sgpr_count:     18
    .sgpr_spill_count: 0
    .symbol:         _ZN9rocsolver6v33100L16org2r_init_identIdPdEEviiiT0_iil.kd
    .uniform_work_group_size: 1
    .uses_dynamic_stack: false
    .vgpr_count:     8
    .vgpr_spill_count: 0
    .wavefront_size: 32
    .workgroup_processor_mode: 1
  - .args:
      - .offset:         0
        .size:           4
        .value_kind:     by_value
      - .offset:         4
        .size:           4
        .value_kind:     by_value
      - .address_space:  global
        .offset:         8
        .size:           8
        .value_kind:     global_buffer
      - .offset:         16
        .size:           4
        .value_kind:     by_value
      - .offset:         20
        .size:           4
        .value_kind:     by_value
      - .offset:         24
        .size:           8
        .value_kind:     by_value
      - .address_space:  global
        .offset:         32
        .size:           8
        .value_kind:     global_buffer
      - .offset:         40
        .size:           8
        .value_kind:     by_value
    .group_segment_fixed_size: 0
    .kernarg_segment_align: 8
    .kernarg_segment_size: 48
    .language:       OpenCL C
    .language_version:
      - 2
      - 0
    .max_flat_workgroup_size: 1024
    .name:           _ZN9rocsolver6v33100L12subtract_tauIdPdEEviiT0_iilPT_l
    .private_segment_fixed_size: 0
    .sgpr_count:     16
    .sgpr_spill_count: 0
    .symbol:         _ZN9rocsolver6v33100L12subtract_tauIdPdEEviiT0_iilPT_l.kd
    .uniform_work_group_size: 1
    .uses_dynamic_stack: false
    .vgpr_count:     5
    .vgpr_spill_count: 0
    .wavefront_size: 32
    .workgroup_processor_mode: 1
  - .args:
      - .offset:         0
        .size:           4
        .value_kind:     by_value
      - .address_space:  global
        .offset:         8
        .size:           8
        .value_kind:     global_buffer
      - .offset:         16
        .size:           8
        .value_kind:     by_value
      - .offset:         24
        .size:           4
        .value_kind:     hidden_block_count_x
      - .offset:         28
        .size:           4
        .value_kind:     hidden_block_count_y
      - .offset:         32
        .size:           4
        .value_kind:     hidden_block_count_z
      - .offset:         36
        .size:           2
        .value_kind:     hidden_group_size_x
      - .offset:         38
        .size:           2
        .value_kind:     hidden_group_size_y
      - .offset:         40
        .size:           2
        .value_kind:     hidden_group_size_z
      - .offset:         42
        .size:           2
        .value_kind:     hidden_remainder_x
      - .offset:         44
        .size:           2
        .value_kind:     hidden_remainder_y
      - .offset:         46
        .size:           2
        .value_kind:     hidden_remainder_z
      - .offset:         64
        .size:           8
        .value_kind:     hidden_global_offset_x
      - .offset:         72
        .size:           8
        .value_kind:     hidden_global_offset_y
      - .offset:         80
        .size:           8
        .value_kind:     hidden_global_offset_z
      - .offset:         88
        .size:           2
        .value_kind:     hidden_grid_dims
    .group_segment_fixed_size: 0
    .kernarg_segment_align: 8
    .kernarg_segment_size: 280
    .language:       OpenCL C
    .language_version:
      - 2
      - 0
    .max_flat_workgroup_size: 1024
    .name:           _ZN9rocsolver6v33100L6restauIdEEviPT_l
    .private_segment_fixed_size: 0
    .sgpr_count:     18
    .sgpr_spill_count: 0
    .symbol:         _ZN9rocsolver6v33100L6restauIdEEviPT_l.kd
    .uniform_work_group_size: 1
    .uses_dynamic_stack: false
    .vgpr_count:     4
    .vgpr_spill_count: 0
    .wavefront_size: 32
    .workgroup_processor_mode: 1
  - .args:
      - .offset:         0
        .size:           1
        .value_kind:     by_value
      - .offset:         4
        .size:           4
        .value_kind:     by_value
      - .address_space:  global
        .offset:         8
        .size:           8
        .value_kind:     global_buffer
      - .offset:         16
        .size:           4
        .value_kind:     by_value
      - .offset:         20
        .size:           4
        .value_kind:     by_value
      - .offset:         24
        .size:           8
        .value_kind:     by_value
      - .address_space:  global
        .offset:         32
        .size:           8
        .value_kind:     global_buffer
      - .offset:         40
        .size:           4
        .value_kind:     by_value
      - .offset:         44
        .size:           4
        .value_kind:     by_value
      - .offset:         48
        .size:           8
        .value_kind:     by_value
      - .offset:         56
        .size:           4
        .value_kind:     hidden_block_count_x
      - .offset:         60
        .size:           4
        .value_kind:     hidden_block_count_y
      - .offset:         64
        .size:           4
        .value_kind:     hidden_block_count_z
      - .offset:         68
        .size:           2
        .value_kind:     hidden_group_size_x
      - .offset:         70
        .size:           2
        .value_kind:     hidden_group_size_y
      - .offset:         72
        .size:           2
        .value_kind:     hidden_group_size_z
      - .offset:         74
        .size:           2
        .value_kind:     hidden_remainder_x
      - .offset:         76
        .size:           2
        .value_kind:     hidden_remainder_y
      - .offset:         78
        .size:           2
        .value_kind:     hidden_remainder_z
      - .offset:         96
        .size:           8
        .value_kind:     hidden_global_offset_x
      - .offset:         104
        .size:           8
        .value_kind:     hidden_global_offset_y
      - .offset:         112
        .size:           8
        .value_kind:     hidden_global_offset_z
      - .offset:         120
        .size:           2
        .value_kind:     hidden_grid_dims
    .group_segment_fixed_size: 0
    .kernarg_segment_align: 8
    .kernarg_segment_size: 312
    .language:       OpenCL C
    .language_version:
      - 2
      - 0
    .max_flat_workgroup_size: 1024
    .name:           _ZN9rocsolver6v33100L15copyshift_rightIdPdEEvbiT0_iilPT_iil
    .private_segment_fixed_size: 0
    .sgpr_count:     20
    .sgpr_spill_count: 0
    .symbol:         _ZN9rocsolver6v33100L15copyshift_rightIdPdEEvbiT0_iilPT_iil.kd
    .uniform_work_group_size: 1
    .uses_dynamic_stack: false
    .vgpr_count:     9
    .vgpr_spill_count: 0
    .wavefront_size: 32
    .workgroup_processor_mode: 1
  - .args:
      - .offset:         0
        .size:           4
        .value_kind:     by_value
      - .offset:         4
        .size:           4
        .value_kind:     by_value
      - .offset:         8
        .size:           4
        .value_kind:     by_value
      - .address_space:  global
        .offset:         16
        .size:           8
        .value_kind:     global_buffer
      - .offset:         24
        .size:           4
        .value_kind:     by_value
      - .offset:         28
        .size:           4
        .value_kind:     by_value
      - .offset:         32
        .size:           8
        .value_kind:     by_value
      - .offset:         40
        .size:           4
        .value_kind:     hidden_block_count_x
      - .offset:         44
        .size:           4
        .value_kind:     hidden_block_count_y
      - .offset:         48
        .size:           4
        .value_kind:     hidden_block_count_z
      - .offset:         52
        .size:           2
        .value_kind:     hidden_group_size_x
      - .offset:         54
        .size:           2
        .value_kind:     hidden_group_size_y
      - .offset:         56
        .size:           2
        .value_kind:     hidden_group_size_z
      - .offset:         58
        .size:           2
        .value_kind:     hidden_remainder_x
      - .offset:         60
        .size:           2
        .value_kind:     hidden_remainder_y
      - .offset:         62
        .size:           2
        .value_kind:     hidden_remainder_z
      - .offset:         80
        .size:           8
        .value_kind:     hidden_global_offset_x
      - .offset:         88
        .size:           8
        .value_kind:     hidden_global_offset_y
      - .offset:         96
        .size:           8
        .value_kind:     hidden_global_offset_z
      - .offset:         104
        .size:           2
        .value_kind:     hidden_grid_dims
    .group_segment_fixed_size: 0
    .kernarg_segment_align: 8
    .kernarg_segment_size: 296
    .language:       OpenCL C
    .language_version:
      - 2
      - 0
    .max_flat_workgroup_size: 1024
    .name:           _ZN9rocsolver6v33100L16orgl2_init_identIdPdEEviiiT0_iil
    .private_segment_fixed_size: 0
    .sgpr_count:     18
    .sgpr_spill_count: 0
    .symbol:         _ZN9rocsolver6v33100L16orgl2_init_identIdPdEEviiiT0_iil.kd
    .uniform_work_group_size: 1
    .uses_dynamic_stack: false
    .vgpr_count:     8
    .vgpr_spill_count: 0
    .wavefront_size: 32
    .workgroup_processor_mode: 1
  - .args:
      - .offset:         0
        .size:           1
        .value_kind:     by_value
      - .offset:         4
        .size:           4
        .value_kind:     by_value
      - .address_space:  global
        .offset:         8
        .size:           8
        .value_kind:     global_buffer
      - .offset:         16
        .size:           4
        .value_kind:     by_value
      - .offset:         20
        .size:           4
        .value_kind:     by_value
      - .offset:         24
        .size:           8
        .value_kind:     by_value
      - .address_space:  global
        .offset:         32
        .size:           8
        .value_kind:     global_buffer
      - .offset:         40
        .size:           4
        .value_kind:     by_value
      - .offset:         44
        .size:           4
        .value_kind:     by_value
      - .offset:         48
        .size:           8
        .value_kind:     by_value
      - .offset:         56
        .size:           4
        .value_kind:     hidden_block_count_x
      - .offset:         60
        .size:           4
        .value_kind:     hidden_block_count_y
      - .offset:         64
        .size:           4
        .value_kind:     hidden_block_count_z
      - .offset:         68
        .size:           2
        .value_kind:     hidden_group_size_x
      - .offset:         70
        .size:           2
        .value_kind:     hidden_group_size_y
      - .offset:         72
        .size:           2
        .value_kind:     hidden_group_size_z
      - .offset:         74
        .size:           2
        .value_kind:     hidden_remainder_x
      - .offset:         76
        .size:           2
        .value_kind:     hidden_remainder_y
      - .offset:         78
        .size:           2
        .value_kind:     hidden_remainder_z
      - .offset:         96
        .size:           8
        .value_kind:     hidden_global_offset_x
      - .offset:         104
        .size:           8
        .value_kind:     hidden_global_offset_y
      - .offset:         112
        .size:           8
        .value_kind:     hidden_global_offset_z
      - .offset:         120
        .size:           2
        .value_kind:     hidden_grid_dims
    .group_segment_fixed_size: 0
    .kernarg_segment_align: 8
    .kernarg_segment_size: 312
    .language:       OpenCL C
    .language_version:
      - 2
      - 0
    .max_flat_workgroup_size: 1024
    .name:           _ZN9rocsolver6v33100L14copyshift_downIdPdEEvbiT0_iilPT_iil
    .private_segment_fixed_size: 0
    .sgpr_count:     19
    .sgpr_spill_count: 0
    .symbol:         _ZN9rocsolver6v33100L14copyshift_downIdPdEEvbiT0_iilPT_iil.kd
    .uniform_work_group_size: 1
    .uses_dynamic_stack: false
    .vgpr_count:     10
    .vgpr_spill_count: 0
    .wavefront_size: 32
    .workgroup_processor_mode: 1
  - .args:
      - .offset:         0
        .size:           4
        .value_kind:     by_value
      - .address_space:  global
        .offset:         8
        .size:           8
        .value_kind:     global_buffer
      - .offset:         16
        .size:           8
        .value_kind:     by_value
      - .address_space:  global
        .offset:         24
        .size:           8
        .value_kind:     global_buffer
      - .offset:         32
        .size:           8
        .value_kind:     by_value
      - .address_space:  global
        .offset:         40
        .size:           8
        .value_kind:     global_buffer
      - .offset:         48
        .size:           4
        .value_kind:     by_value
      - .offset:         56
        .size:           8
        .value_kind:     by_value
      - .offset:         64
        .size:           8
        .value_kind:     by_value
      - .address_space:  global
        .offset:         72
        .size:           8
        .value_kind:     global_buffer
      - .address_space:  global
        .offset:         80
        .size:           8
        .value_kind:     global_buffer
      - .offset:         88
        .size:           8
        .value_kind:     by_value
      - .address_space:  global
        .offset:         96
        .size:           8
        .value_kind:     global_buffer
    .group_segment_fixed_size: 0
    .kernarg_segment_align: 8
    .kernarg_segment_size: 104
    .language:       OpenCL C
    .language_version:
      - 2
      - 0
    .max_flat_workgroup_size: 1024
    .name:           _ZN9rocsolver6v33100L10bdsqr_initIddEEviPT0_lS3_lPiiS2_S2_S4_S3_lS4_
    .private_segment_fixed_size: 0
    .sgpr_count:     38
    .sgpr_spill_count: 0
    .symbol:         _ZN9rocsolver6v33100L10bdsqr_initIddEEviPT0_lS3_lPiiS2_S2_S4_S3_lS4_.kd
    .uniform_work_group_size: 1
    .uses_dynamic_stack: false
    .vgpr_count:     14
    .vgpr_spill_count: 0
    .wavefront_size: 32
    .workgroup_processor_mode: 1
  - .args:
      - .offset:         0
        .size:           4
        .value_kind:     by_value
      - .address_space:  global
        .offset:         8
        .size:           8
        .value_kind:     global_buffer
      - .offset:         16
        .size:           4
        .value_kind:     by_value
      - .address_space:  global
        .offset:         24
        .size:           8
        .value_kind:     global_buffer
      - .offset:         32
        .size:           4
        .value_kind:     by_value
      - .offset:         40
        .size:           4
        .value_kind:     hidden_block_count_x
      - .offset:         44
        .size:           4
        .value_kind:     hidden_block_count_y
      - .offset:         48
        .size:           4
        .value_kind:     hidden_block_count_z
      - .offset:         52
        .size:           2
        .value_kind:     hidden_group_size_x
      - .offset:         54
        .size:           2
        .value_kind:     hidden_group_size_y
      - .offset:         56
        .size:           2
        .value_kind:     hidden_group_size_z
      - .offset:         58
        .size:           2
        .value_kind:     hidden_remainder_x
      - .offset:         60
        .size:           2
        .value_kind:     hidden_remainder_y
      - .offset:         62
        .size:           2
        .value_kind:     hidden_remainder_z
      - .offset:         80
        .size:           8
        .value_kind:     hidden_global_offset_x
      - .offset:         88
        .size:           8
        .value_kind:     hidden_global_offset_y
      - .offset:         96
        .size:           8
        .value_kind:     hidden_global_offset_z
      - .offset:         104
        .size:           2
        .value_kind:     hidden_grid_dims
    .group_segment_fixed_size: 0
    .kernarg_segment_align: 8
    .kernarg_segment_size: 296
    .language:       OpenCL C
    .language_version:
      - 2
      - 0
    .max_flat_workgroup_size: 1024
    .name:           _ZN9rocsolver6v33100L11swap_kernelIdiEEvT0_PT_S2_S4_S2_
    .private_segment_fixed_size: 0
    .sgpr_count:     18
    .sgpr_spill_count: 0
    .symbol:         _ZN9rocsolver6v33100L11swap_kernelIdiEEvT0_PT_S2_S4_S2_.kd
    .uniform_work_group_size: 1
    .uses_dynamic_stack: false
    .vgpr_count:     12
    .vgpr_spill_count: 0
    .wavefront_size: 32
    .workgroup_processor_mode: 1
  - .args:
      - .offset:         0
        .size:           4
        .value_kind:     by_value
      - .address_space:  global
        .offset:         8
        .size:           8
        .value_kind:     global_buffer
      - .offset:         16
        .size:           4
        .value_kind:     by_value
      - .address_space:  global
        .offset:         24
        .size:           8
        .value_kind:     global_buffer
      - .offset:         32
        .size:           4
        .value_kind:     by_value
      - .offset:         40
        .size:           8
        .value_kind:     by_value
      - .offset:         48
        .size:           8
        .value_kind:     by_value
      - .offset:         56
        .size:           4
        .value_kind:     hidden_block_count_x
      - .offset:         60
        .size:           4
        .value_kind:     hidden_block_count_y
      - .offset:         64
        .size:           4
        .value_kind:     hidden_block_count_z
      - .offset:         68
        .size:           2
        .value_kind:     hidden_group_size_x
      - .offset:         70
        .size:           2
        .value_kind:     hidden_group_size_y
      - .offset:         72
        .size:           2
        .value_kind:     hidden_group_size_z
      - .offset:         74
        .size:           2
        .value_kind:     hidden_remainder_x
      - .offset:         76
        .size:           2
        .value_kind:     hidden_remainder_y
      - .offset:         78
        .size:           2
        .value_kind:     hidden_remainder_z
      - .offset:         96
        .size:           8
        .value_kind:     hidden_global_offset_x
      - .offset:         104
        .size:           8
        .value_kind:     hidden_global_offset_y
      - .offset:         112
        .size:           8
        .value_kind:     hidden_global_offset_z
      - .offset:         120
        .size:           2
        .value_kind:     hidden_grid_dims
    .group_segment_fixed_size: 0
    .kernarg_segment_align: 8
    .kernarg_segment_size: 312
    .language:       OpenCL C
    .language_version:
      - 2
      - 0
    .max_flat_workgroup_size: 1024
    .name:           _ZN9rocsolver6v33100L10rot_kernelIddiEEvT1_PT0_S2_S4_S2_T_S5_
    .private_segment_fixed_size: 0
    .sgpr_count:     22
    .sgpr_spill_count: 0
    .symbol:         _ZN9rocsolver6v33100L10rot_kernelIddiEEvT1_PT0_S2_S4_S2_T_S5_.kd
    .uniform_work_group_size: 1
    .uses_dynamic_stack: false
    .vgpr_count:     16
    .vgpr_spill_count: 0
    .wavefront_size: 32
    .workgroup_processor_mode: 1
  - .args:
      - .offset:         0
        .size:           4
        .value_kind:     by_value
      - .offset:         4
        .size:           4
        .value_kind:     by_value
      - .offset:         8
        .size:           4
        .value_kind:     by_value
      - .offset:         12
        .size:           4
        .value_kind:     by_value
      - .offset:         16
        .size:           4
        .value_kind:     by_value
      - .address_space:  global
        .offset:         24
        .size:           8
        .value_kind:     global_buffer
      - .offset:         32
        .size:           8
        .value_kind:     by_value
      - .address_space:  global
        .offset:         40
        .size:           8
        .value_kind:     global_buffer
      - .offset:         48
        .size:           8
        .value_kind:     by_value
      - .address_space:  global
        .offset:         56
        .size:           8
        .value_kind:     global_buffer
      - .offset:         64
        .size:           8
        .value_kind:     by_value
      - .offset:         72
        .size:           4
        .value_kind:     by_value
      - .offset:         80
        .size:           8
        .value_kind:     by_value
      - .offset:         88
        .size:           4
        .value_kind:     by_value
      - .offset:         96
        .size:           4
        .value_kind:     hidden_block_count_x
      - .offset:         100
        .size:           4
        .value_kind:     hidden_block_count_y
      - .offset:         104
        .size:           4
        .value_kind:     hidden_block_count_z
      - .offset:         108
        .size:           2
        .value_kind:     hidden_group_size_x
      - .offset:         110
        .size:           2
        .value_kind:     hidden_group_size_y
      - .offset:         112
        .size:           2
        .value_kind:     hidden_group_size_z
      - .offset:         114
        .size:           2
        .value_kind:     hidden_remainder_x
      - .offset:         116
        .size:           2
        .value_kind:     hidden_remainder_y
      - .offset:         118
        .size:           2
        .value_kind:     hidden_remainder_z
      - .offset:         136
        .size:           8
        .value_kind:     hidden_global_offset_x
      - .offset:         144
        .size:           8
        .value_kind:     hidden_global_offset_y
      - .offset:         152
        .size:           8
        .value_kind:     hidden_global_offset_z
      - .offset:         160
        .size:           2
        .value_kind:     hidden_grid_dims
    .group_segment_fixed_size: 0
    .kernarg_segment_align: 8
    .kernarg_segment_size: 352
    .language:       OpenCL C
    .language_version:
      - 2
      - 0
    .max_flat_workgroup_size: 64
    .name:           _ZN9rocsolver6v33100L11lasr_kernelIddPdiEEv13rocblas_side_14rocblas_pivot_15rocblas_direct_T2_S6_PT0_lS8_lT1_lS6_lS6_
    .private_segment_fixed_size: 0
    .sgpr_count:     89
    .sgpr_spill_count: 0
    .symbol:         _ZN9rocsolver6v33100L11lasr_kernelIddPdiEEv13rocblas_side_14rocblas_pivot_15rocblas_direct_T2_S6_PT0_lS8_lT1_lS6_lS6_.kd
    .uniform_work_group_size: 1
    .uses_dynamic_stack: false
    .vgpr_count:     43
    .vgpr_spill_count: 0
    .wavefront_size: 32
    .workgroup_processor_mode: 1
  - .args:
      - .offset:         0
        .size:           4
        .value_kind:     by_value
      - .offset:         8
        .size:           8
        .value_kind:     by_value
      - .address_space:  global
        .offset:         16
        .size:           8
        .value_kind:     global_buffer
      - .offset:         24
        .size:           4
        .value_kind:     by_value
      - .offset:         32
        .size:           4
        .value_kind:     hidden_block_count_x
      - .offset:         36
        .size:           4
        .value_kind:     hidden_block_count_y
      - .offset:         40
        .size:           4
        .value_kind:     hidden_block_count_z
      - .offset:         44
        .size:           2
        .value_kind:     hidden_group_size_x
      - .offset:         46
        .size:           2
        .value_kind:     hidden_group_size_y
      - .offset:         48
        .size:           2
        .value_kind:     hidden_group_size_z
      - .offset:         50
        .size:           2
        .value_kind:     hidden_remainder_x
      - .offset:         52
        .size:           2
        .value_kind:     hidden_remainder_y
      - .offset:         54
        .size:           2
        .value_kind:     hidden_remainder_z
      - .offset:         72
        .size:           8
        .value_kind:     hidden_global_offset_x
      - .offset:         80
        .size:           8
        .value_kind:     hidden_global_offset_y
      - .offset:         88
        .size:           8
        .value_kind:     hidden_global_offset_z
      - .offset:         96
        .size:           2
        .value_kind:     hidden_grid_dims
    .group_segment_fixed_size: 0
    .kernarg_segment_align: 8
    .kernarg_segment_size: 288
    .language:       OpenCL C
    .language_version:
      - 2
      - 0
    .max_flat_workgroup_size: 1024
    .name:           _ZN9rocsolver6v33100L11scal_kernelIddiEEvT1_T_PT0_S2_
    .private_segment_fixed_size: 0
    .sgpr_count:     18
    .sgpr_spill_count: 0
    .symbol:         _ZN9rocsolver6v33100L11scal_kernelIddiEEvT1_T_PT0_S2_.kd
    .uniform_work_group_size: 1
    .uses_dynamic_stack: false
    .vgpr_count:     6
    .vgpr_spill_count: 0
    .wavefront_size: 32
    .workgroup_processor_mode: 1
  - .args:
      - .offset:         0
        .size:           4
        .value_kind:     by_value
      - .offset:         4
        .size:           4
        .value_kind:     by_value
      - .offset:         8
        .size:           4
        .value_kind:     by_value
      - .address_space:  global
        .offset:         16
        .size:           8
        .value_kind:     global_buffer
      - .offset:         24
        .size:           8
        .value_kind:     by_value
      - .address_space:  global
        .offset:         32
        .size:           8
        .value_kind:     global_buffer
      - .offset:         40
        .size:           8
        .value_kind:     by_value
      - .address_space:  global
        .offset:         48
        .size:           8
        .value_kind:     global_buffer
      - .offset:         56
        .size:           4
        .value_kind:     by_value
      - .offset:         60
        .size:           4
        .value_kind:     by_value
      - .offset:         64
        .size:           8
        .value_kind:     by_value
      - .address_space:  global
        .offset:         72
        .size:           8
        .value_kind:     global_buffer
      - .offset:         80
        .size:           4
        .value_kind:     by_value
      - .offset:         84
        .size:           4
        .value_kind:     by_value
      - .offset:         88
        .size:           8
        .value_kind:     by_value
      - .address_space:  global
        .offset:         96
        .size:           8
        .value_kind:     global_buffer
      - .address_space:  global
        .offset:         104
        .size:           8
        .value_kind:     global_buffer
      - .offset:         112
        .size:           8
        .value_kind:     by_value
      - .address_space:  global
        .offset:         120
        .size:           8
        .value_kind:     global_buffer
      - .offset:         128
        .size:           4
        .value_kind:     hidden_block_count_x
      - .offset:         132
        .size:           4
        .value_kind:     hidden_block_count_y
      - .offset:         136
        .size:           4
        .value_kind:     hidden_block_count_z
      - .offset:         140
        .size:           2
        .value_kind:     hidden_group_size_x
      - .offset:         142
        .size:           2
        .value_kind:     hidden_group_size_y
      - .offset:         144
        .size:           2
        .value_kind:     hidden_group_size_z
      - .offset:         146
        .size:           2
        .value_kind:     hidden_remainder_x
      - .offset:         148
        .size:           2
        .value_kind:     hidden_remainder_y
      - .offset:         150
        .size:           2
        .value_kind:     hidden_remainder_z
      - .offset:         168
        .size:           8
        .value_kind:     hidden_global_offset_x
      - .offset:         176
        .size:           8
        .value_kind:     hidden_global_offset_y
      - .offset:         184
        .size:           8
        .value_kind:     hidden_global_offset_z
      - .offset:         192
        .size:           2
        .value_kind:     hidden_grid_dims
    .group_segment_fixed_size: 0
    .kernarg_segment_align: 8
    .kernarg_segment_size: 384
    .language:       OpenCL C
    .language_version:
      - 2
      - 0
    .max_flat_workgroup_size: 1024
    .name:           _ZN9rocsolver6v33100L17bdsqr_lower2upperIddPdS2_EEviiiPT0_lS4_lT1_iilT2_iilPiS4_lS7_
    .private_segment_fixed_size: 0
    .sgpr_count:     38
    .sgpr_spill_count: 0
    .symbol:         _ZN9rocsolver6v33100L17bdsqr_lower2upperIddPdS2_EEviiiPT0_lS4_lT1_iilT2_iilPiS4_lS7_.kd
    .uniform_work_group_size: 1
    .uses_dynamic_stack: false
    .vgpr_count:     19
    .vgpr_spill_count: 0
    .wavefront_size: 32
    .workgroup_processor_mode: 1
  - .args:
      - .offset:         0
        .size:           4
        .value_kind:     by_value
      - .offset:         4
        .size:           4
        .value_kind:     by_value
      - .offset:         8
        .size:           4
        .value_kind:     by_value
      - .offset:         12
        .size:           4
        .value_kind:     by_value
      - .address_space:  global
        .offset:         16
        .size:           8
        .value_kind:     global_buffer
      - .offset:         24
        .size:           8
        .value_kind:     by_value
      - .address_space:  global
        .offset:         32
        .size:           8
        .value_kind:     global_buffer
      - .offset:         40
        .size:           8
        .value_kind:     by_value
      - .address_space:  global
        .offset:         48
        .size:           8
        .value_kind:     global_buffer
      - .offset:         56
        .size:           4
        .value_kind:     by_value
      - .offset:         60
        .size:           4
        .value_kind:     by_value
      - .offset:         64
        .size:           8
        .value_kind:     by_value
      - .address_space:  global
        .offset:         72
        .size:           8
        .value_kind:     global_buffer
      - .offset:         80
        .size:           4
        .value_kind:     by_value
      - .offset:         84
        .size:           4
        .value_kind:     by_value
      - .offset:         88
        .size:           8
        .value_kind:     by_value
      - .address_space:  global
        .offset:         96
        .size:           8
        .value_kind:     global_buffer
      - .offset:         104
        .size:           4
        .value_kind:     by_value
      - .offset:         108
        .size:           4
        .value_kind:     by_value
      - .offset:         112
        .size:           8
        .value_kind:     by_value
      - .offset:         120
        .size:           4
        .value_kind:     by_value
      - .offset:         128
        .size:           8
        .value_kind:     by_value
      - .offset:         136
        .size:           8
        .value_kind:     by_value
      - .offset:         144
        .size:           8
        .value_kind:     by_value
      - .offset:         152
        .size:           8
        .value_kind:     by_value
      - .address_space:  global
        .offset:         160
        .size:           8
        .value_kind:     global_buffer
      - .address_space:  global
        .offset:         168
        .size:           8
        .value_kind:     global_buffer
      - .offset:         176
        .size:           4
        .value_kind:     by_value
      - .offset:         184
        .size:           8
        .value_kind:     by_value
      - .address_space:  global
        .offset:         192
        .size:           8
        .value_kind:     global_buffer
      - .offset:         200
        .size:           4
        .value_kind:     hidden_block_count_x
      - .offset:         204
        .size:           4
        .value_kind:     hidden_block_count_y
      - .offset:         208
        .size:           4
        .value_kind:     hidden_block_count_z
      - .offset:         212
        .size:           2
        .value_kind:     hidden_group_size_x
      - .offset:         214
        .size:           2
        .value_kind:     hidden_group_size_y
      - .offset:         216
        .size:           2
        .value_kind:     hidden_group_size_z
      - .offset:         218
        .size:           2
        .value_kind:     hidden_remainder_x
      - .offset:         220
        .size:           2
        .value_kind:     hidden_remainder_y
      - .offset:         222
        .size:           2
        .value_kind:     hidden_remainder_z
      - .offset:         240
        .size:           8
        .value_kind:     hidden_global_offset_x
      - .offset:         248
        .size:           8
        .value_kind:     hidden_global_offset_y
      - .offset:         256
        .size:           8
        .value_kind:     hidden_global_offset_z
      - .offset:         264
        .size:           2
        .value_kind:     hidden_grid_dims
    .group_segment_fixed_size: 2072
    .kernarg_segment_align: 8
    .kernarg_segment_size: 456
    .language:       OpenCL C
    .language_version:
      - 2
      - 0
    .max_flat_workgroup_size: 1024
    .name:           _ZN9rocsolver6v33100L13bdsqr_computeILi256EddPdS2_S2_EEviiiiPT1_lS4_lT2_iilT3_iilT4_iiliS3_S3_S3_S3_PiS4_ilS8_
    .private_segment_fixed_size: 0
    .sgpr_count:     107
    .sgpr_spill_count: 2
    .symbol:         _ZN9rocsolver6v33100L13bdsqr_computeILi256EddPdS2_S2_EEviiiiPT1_lS4_lT2_iilT3_iilT4_iiliS3_S3_S3_S3_PiS4_ilS8_.kd
    .uniform_work_group_size: 1
    .uses_dynamic_stack: false
    .vgpr_count:     36
    .vgpr_spill_count: 0
    .wavefront_size: 32
    .workgroup_processor_mode: 1
  - .args:
      - .offset:         0
        .size:           4
        .value_kind:     by_value
      - .offset:         4
        .size:           4
        .value_kind:     by_value
      - .offset:         8
        .size:           4
        .value_kind:     by_value
      - .offset:         12
        .size:           4
        .value_kind:     by_value
      - .address_space:  global
        .offset:         16
        .size:           8
        .value_kind:     global_buffer
      - .offset:         24
        .size:           4
        .value_kind:     by_value
      - .offset:         28
        .size:           4
        .value_kind:     by_value
      - .offset:         32
        .size:           8
        .value_kind:     by_value
      - .address_space:  global
        .offset:         40
        .size:           8
        .value_kind:     global_buffer
      - .offset:         48
        .size:           4
        .value_kind:     by_value
      - .offset:         52
        .size:           4
        .value_kind:     by_value
      - .offset:         56
        .size:           8
        .value_kind:     by_value
      - .address_space:  global
        .offset:         64
        .size:           8
        .value_kind:     global_buffer
      - .offset:         72
        .size:           4
        .value_kind:     by_value
      - .offset:         76
        .size:           4
        .value_kind:     by_value
      - .offset:         80
        .size:           8
        .value_kind:     by_value
      - .offset:         88
        .size:           4
        .value_kind:     by_value
      - .address_space:  global
        .offset:         96
        .size:           8
        .value_kind:     global_buffer
      - .address_space:  global
        .offset:         104
        .size:           8
        .value_kind:     global_buffer
      - .offset:         112
        .size:           4
        .value_kind:     by_value
      - .offset:         120
        .size:           8
        .value_kind:     by_value
      - .address_space:  global
        .offset:         128
        .size:           8
        .value_kind:     global_buffer
      - .offset:         136
        .size:           4
        .value_kind:     hidden_block_count_x
      - .offset:         140
        .size:           4
        .value_kind:     hidden_block_count_y
      - .offset:         144
        .size:           4
        .value_kind:     hidden_block_count_z
      - .offset:         148
        .size:           2
        .value_kind:     hidden_group_size_x
      - .offset:         150
        .size:           2
        .value_kind:     hidden_group_size_y
      - .offset:         152
        .size:           2
        .value_kind:     hidden_group_size_z
      - .offset:         154
        .size:           2
        .value_kind:     hidden_remainder_x
      - .offset:         156
        .size:           2
        .value_kind:     hidden_remainder_y
      - .offset:         158
        .size:           2
        .value_kind:     hidden_remainder_z
      - .offset:         176
        .size:           8
        .value_kind:     hidden_global_offset_x
      - .offset:         184
        .size:           8
        .value_kind:     hidden_global_offset_y
      - .offset:         192
        .size:           8
        .value_kind:     hidden_global_offset_z
      - .offset:         200
        .size:           2
        .value_kind:     hidden_grid_dims
    .group_segment_fixed_size: 0
    .kernarg_segment_align: 8
    .kernarg_segment_size: 392
    .language:       OpenCL C
    .language_version:
      - 2
      - 0
    .max_flat_workgroup_size: 1024
    .name:           _ZN9rocsolver6v33100L12bdsqr_rotateIddPdS2_S2_EEviiiiT1_iilT2_iilT3_iiliPiPT0_ilS6_
    .private_segment_fixed_size: 0
    .sgpr_count:     46
    .sgpr_spill_count: 0
    .symbol:         _ZN9rocsolver6v33100L12bdsqr_rotateIddPdS2_S2_EEviiiiT1_iilT2_iilT3_iiliPiPT0_ilS6_.kd
    .uniform_work_group_size: 1
    .uses_dynamic_stack: false
    .vgpr_count:     21
    .vgpr_spill_count: 0
    .wavefront_size: 32
    .workgroup_processor_mode: 1
  - .args:
      - .offset:         0
        .size:           4
        .value_kind:     by_value
      - .address_space:  global
        .offset:         8
        .size:           8
        .value_kind:     global_buffer
      - .offset:         16
        .size:           8
        .value_kind:     by_value
      - .address_space:  global
        .offset:         24
        .size:           8
        .value_kind:     global_buffer
      - .address_space:  global
        .offset:         32
        .size:           8
        .value_kind:     global_buffer
      - .offset:         40
        .size:           8
        .value_kind:     by_value
      - .address_space:  global
        .offset:         48
        .size:           8
        .value_kind:     global_buffer
      - .offset:         56
        .size:           4
        .value_kind:     hidden_block_count_x
      - .offset:         60
        .size:           4
        .value_kind:     hidden_block_count_y
      - .offset:         64
        .size:           4
        .value_kind:     hidden_block_count_z
      - .offset:         68
        .size:           2
        .value_kind:     hidden_group_size_x
      - .offset:         70
        .size:           2
        .value_kind:     hidden_group_size_y
      - .offset:         72
        .size:           2
        .value_kind:     hidden_group_size_z
      - .offset:         74
        .size:           2
        .value_kind:     hidden_remainder_x
      - .offset:         76
        .size:           2
        .value_kind:     hidden_remainder_y
      - .offset:         78
        .size:           2
        .value_kind:     hidden_remainder_z
      - .offset:         96
        .size:           8
        .value_kind:     hidden_global_offset_x
      - .offset:         104
        .size:           8
        .value_kind:     hidden_global_offset_y
      - .offset:         112
        .size:           8
        .value_kind:     hidden_global_offset_z
      - .offset:         120
        .size:           2
        .value_kind:     hidden_grid_dims
    .group_segment_fixed_size: 0
    .kernarg_segment_align: 8
    .kernarg_segment_size: 312
    .language:       OpenCL C
    .language_version:
      - 2
      - 0
    .max_flat_workgroup_size: 1024
    .name:           _ZN9rocsolver6v33100L22bdsqr_update_endpointsIddEEviPT0_lPiS3_lS4_
    .private_segment_fixed_size: 0
    .sgpr_count:     26
    .sgpr_spill_count: 0
    .symbol:         _ZN9rocsolver6v33100L22bdsqr_update_endpointsIddEEviPT0_lPiS3_lS4_.kd
    .uniform_work_group_size: 1
    .uses_dynamic_stack: false
    .vgpr_count:     14
    .vgpr_spill_count: 0
    .wavefront_size: 32
    .workgroup_processor_mode: 1
  - .args:
      - .offset:         0
        .size:           4
        .value_kind:     by_value
      - .offset:         4
        .size:           4
        .value_kind:     by_value
      - .address_space:  global
        .offset:         8
        .size:           8
        .value_kind:     global_buffer
      - .address_space:  global
        .offset:         16
        .size:           8
        .value_kind:     global_buffer
      - .offset:         24
        .size:           8
        .value_kind:     by_value
      - .address_space:  global
        .offset:         32
        .size:           8
        .value_kind:     global_buffer
    .group_segment_fixed_size: 0
    .kernarg_segment_align: 8
    .kernarg_segment_size: 40
    .language:       OpenCL C
    .language_version:
      - 2
      - 0
    .max_flat_workgroup_size: 1024
    .name:           _ZN9rocsolver6v33100L19bdsqr_chk_completedIddEEviiPiPT0_lS2_
    .private_segment_fixed_size: 0
    .sgpr_count:     22
    .sgpr_spill_count: 0
    .symbol:         _ZN9rocsolver6v33100L19bdsqr_chk_completedIddEEviiPiPT0_lS2_.kd
    .uniform_work_group_size: 1
    .uses_dynamic_stack: false
    .vgpr_count:     6
    .vgpr_spill_count: 0
    .wavefront_size: 32
    .workgroup_processor_mode: 1
  - .args:
      - .offset:         0
        .size:           4
        .value_kind:     by_value
      - .offset:         4
        .size:           4
        .value_kind:     by_value
      - .offset:         8
        .size:           4
        .value_kind:     by_value
      - .offset:         12
        .size:           4
        .value_kind:     by_value
      - .address_space:  global
        .offset:         16
        .size:           8
        .value_kind:     global_buffer
      - .offset:         24
        .size:           8
        .value_kind:     by_value
      - .address_space:  global
        .offset:         32
        .size:           8
        .value_kind:     global_buffer
      - .offset:         40
        .size:           8
        .value_kind:     by_value
      - .address_space:  global
        .offset:         48
        .size:           8
        .value_kind:     global_buffer
      - .offset:         56
        .size:           4
        .value_kind:     by_value
      - .offset:         60
        .size:           4
        .value_kind:     by_value
      - .offset:         64
        .size:           8
        .value_kind:     by_value
      - .address_space:  global
        .offset:         72
        .size:           8
        .value_kind:     global_buffer
      - .offset:         80
        .size:           4
        .value_kind:     by_value
      - .offset:         84
        .size:           4
        .value_kind:     by_value
      - .offset:         88
        .size:           8
        .value_kind:     by_value
      - .address_space:  global
        .offset:         96
        .size:           8
        .value_kind:     global_buffer
      - .offset:         104
        .size:           4
        .value_kind:     by_value
      - .offset:         108
        .size:           4
        .value_kind:     by_value
      - .offset:         112
        .size:           8
        .value_kind:     by_value
      - .address_space:  global
        .offset:         120
        .size:           8
        .value_kind:     global_buffer
      - .address_space:  global
        .offset:         128
        .size:           8
        .value_kind:     global_buffer
      - .address_space:  global
        .offset:         136
        .size:           8
        .value_kind:     global_buffer
      - .offset:         144
        .size:           4
        .value_kind:     hidden_block_count_x
      - .offset:         148
        .size:           4
        .value_kind:     hidden_block_count_y
      - .offset:         152
        .size:           4
        .value_kind:     hidden_block_count_z
      - .offset:         156
        .size:           2
        .value_kind:     hidden_group_size_x
      - .offset:         158
        .size:           2
        .value_kind:     hidden_group_size_y
      - .offset:         160
        .size:           2
        .value_kind:     hidden_group_size_z
      - .offset:         162
        .size:           2
        .value_kind:     hidden_remainder_x
      - .offset:         164
        .size:           2
        .value_kind:     hidden_remainder_y
      - .offset:         166
        .size:           2
        .value_kind:     hidden_remainder_z
      - .offset:         184
        .size:           8
        .value_kind:     hidden_global_offset_x
      - .offset:         192
        .size:           8
        .value_kind:     hidden_global_offset_y
      - .offset:         200
        .size:           8
        .value_kind:     hidden_global_offset_z
      - .offset:         208
        .size:           2
        .value_kind:     hidden_grid_dims
      - .offset:         224
        .size:           8
        .value_kind:     hidden_hostcall_buffer
    .group_segment_fixed_size: 0
    .kernarg_segment_align: 8
    .kernarg_segment_size: 400
    .language:       OpenCL C
    .language_version:
      - 2
      - 0
    .max_flat_workgroup_size: 1024
    .name:           _ZN9rocsolver6v33100L14bdsqr_finalizeIddPdS2_S2_EEviiiiPT0_lS4_lT1_iilT2_iilT3_iilPiS8_S8_
    .private_segment_fixed_size: 64
    .sgpr_count:     62
    .sgpr_spill_count: 0
    .symbol:         _ZN9rocsolver6v33100L14bdsqr_finalizeIddPdS2_S2_EEviiiiPT0_lS4_lT1_iilT2_iilT3_iilPiS8_S8_.kd
    .uniform_work_group_size: 1
    .uses_dynamic_stack: false
    .vgpr_count:     45
    .vgpr_spill_count: 0
    .wavefront_size: 32
    .workgroup_processor_mode: 1
  - .args:
      - .offset:         0
        .size:           4
        .value_kind:     by_value
      - .offset:         4
        .size:           4
        .value_kind:     by_value
      - .address_space:  global
        .offset:         8
        .size:           8
        .value_kind:     global_buffer
      - .offset:         16
        .size:           4
        .value_kind:     by_value
      - .offset:         20
        .size:           4
        .value_kind:     by_value
      - .offset:         24
        .size:           8
        .value_kind:     by_value
      - .address_space:  global
        .offset:         32
        .size:           8
        .value_kind:     global_buffer
      - .offset:         40
        .size:           4
        .value_kind:     by_value
      - .offset:         44
        .size:           4
        .value_kind:     by_value
      - .offset:         48
        .size:           8
        .value_kind:     by_value
      - .offset:         56
        .size:           1
        .value_kind:     by_value
      - .offset:         60
        .size:           4
        .value_kind:     by_value
      - .offset:         64
        .size:           4
        .value_kind:     by_value
      - .offset:         72
        .size:           4
        .value_kind:     hidden_block_count_x
      - .offset:         76
        .size:           4
        .value_kind:     hidden_block_count_y
      - .offset:         80
        .size:           4
        .value_kind:     hidden_block_count_z
      - .offset:         84
        .size:           2
        .value_kind:     hidden_group_size_x
      - .offset:         86
        .size:           2
        .value_kind:     hidden_group_size_y
      - .offset:         88
        .size:           2
        .value_kind:     hidden_group_size_z
      - .offset:         90
        .size:           2
        .value_kind:     hidden_remainder_x
      - .offset:         92
        .size:           2
        .value_kind:     hidden_remainder_y
      - .offset:         94
        .size:           2
        .value_kind:     hidden_remainder_z
      - .offset:         112
        .size:           8
        .value_kind:     hidden_global_offset_x
      - .offset:         120
        .size:           8
        .value_kind:     hidden_global_offset_y
      - .offset:         128
        .size:           8
        .value_kind:     hidden_global_offset_z
      - .offset:         136
        .size:           2
        .value_kind:     hidden_grid_dims
    .group_segment_fixed_size: 0
    .kernarg_segment_align: 8
    .kernarg_segment_size: 328
    .language:       OpenCL C
    .language_version:
      - 2
      - 0
    .max_flat_workgroup_size: 1024
    .name:           _ZN9rocsolver6v33100L8copy_matIdPdS2_NS0_7no_maskEEEviiT0_iilT1_iilT2_13rocblas_fill_17rocblas_diagonal_
    .private_segment_fixed_size: 0
    .sgpr_count:     18
    .sgpr_spill_count: 0
    .symbol:         _ZN9rocsolver6v33100L8copy_matIdPdS2_NS0_7no_maskEEEviiT0_iilT1_iilT2_13rocblas_fill_17rocblas_diagonal_.kd
    .uniform_work_group_size: 1
    .uses_dynamic_stack: false
    .vgpr_count:     8
    .vgpr_spill_count: 0
    .wavefront_size: 32
    .workgroup_processor_mode: 1
  - .args:
      - .address_space:  global
        .offset:         0
        .size:           8
        .value_kind:     global_buffer
      - .offset:         8
        .size:           4
        .value_kind:     by_value
      - .offset:         12
        .size:           8
        .value_kind:     by_value
    .group_segment_fixed_size: 0
    .kernarg_segment_align: 8
    .kernarg_segment_size: 20
    .language:       OpenCL C
    .language_version:
      - 2
      - 0
    .max_flat_workgroup_size: 32
    .name:           _ZN9rocsolver6v33100L6iota_nI19rocblas_complex_numIfEEEvPT_jS4_
    .private_segment_fixed_size: 0
    .sgpr_count:     6
    .sgpr_spill_count: 0
    .symbol:         _ZN9rocsolver6v33100L6iota_nI19rocblas_complex_numIfEEEvPT_jS4_.kd
    .uniform_work_group_size: 1
    .uses_dynamic_stack: false
    .vgpr_count:     3
    .vgpr_spill_count: 0
    .wavefront_size: 32
    .workgroup_processor_mode: 1
  - .args:
      - .offset:         0
        .size:           4
        .value_kind:     by_value
      - .offset:         4
        .size:           4
        .value_kind:     by_value
      - .address_space:  global
        .offset:         8
        .size:           8
        .value_kind:     global_buffer
      - .offset:         16
        .size:           8
        .value_kind:     by_value
      - .offset:         24
        .size:           4
        .value_kind:     by_value
      - .offset:         32
        .size:           8
        .value_kind:     by_value
      - .address_space:  global
        .offset:         40
        .size:           8
        .value_kind:     global_buffer
      - .offset:         48
        .size:           8
        .value_kind:     by_value
      - .address_space:  global
        .offset:         56
        .size:           8
        .value_kind:     global_buffer
      - .offset:         64
        .size:           8
        .value_kind:     by_value
    .group_segment_fixed_size: 0
    .kernarg_segment_align: 8
    .kernarg_segment_size: 72
    .language:       OpenCL C
    .language_version:
      - 2
      - 0
    .max_flat_workgroup_size: 256
    .name:           _ZN9rocsolver6v33100L18geqr2_kernel_smallILi256E19rocblas_complex_numIfEifPS3_EEvT1_S5_T3_lS5_lPT2_lPT0_l
    .private_segment_fixed_size: 0
    .sgpr_count:     39
    .sgpr_spill_count: 0
    .symbol:         _ZN9rocsolver6v33100L18geqr2_kernel_smallILi256E19rocblas_complex_numIfEifPS3_EEvT1_S5_T3_lS5_lPT2_lPT0_l.kd
    .uniform_work_group_size: 1
    .uses_dynamic_stack: false
    .vgpr_count:     40
    .vgpr_spill_count: 0
    .wavefront_size: 32
    .workgroup_processor_mode: 1
  - .args:
      - .address_space:  global
        .offset:         0
        .size:           8
        .value_kind:     global_buffer
      - .offset:         8
        .size:           8
        .value_kind:     by_value
      - .offset:         16
        .size:           4
        .value_kind:     by_value
      - .offset:         20
        .size:           4
        .value_kind:     by_value
      - .offset:         24
        .size:           4
        .value_kind:     hidden_block_count_x
      - .offset:         28
        .size:           4
        .value_kind:     hidden_block_count_y
      - .offset:         32
        .size:           4
        .value_kind:     hidden_block_count_z
      - .offset:         36
        .size:           2
        .value_kind:     hidden_group_size_x
      - .offset:         38
        .size:           2
        .value_kind:     hidden_group_size_y
      - .offset:         40
        .size:           2
        .value_kind:     hidden_group_size_z
      - .offset:         42
        .size:           2
        .value_kind:     hidden_remainder_x
      - .offset:         44
        .size:           2
        .value_kind:     hidden_remainder_y
      - .offset:         46
        .size:           2
        .value_kind:     hidden_remainder_z
      - .offset:         64
        .size:           8
        .value_kind:     hidden_global_offset_x
      - .offset:         72
        .size:           8
        .value_kind:     hidden_global_offset_y
      - .offset:         80
        .size:           8
        .value_kind:     hidden_global_offset_z
      - .offset:         88
        .size:           2
        .value_kind:     hidden_grid_dims
    .group_segment_fixed_size: 0
    .kernarg_segment_align: 8
    .kernarg_segment_size: 280
    .language:       OpenCL C
    .language_version:
      - 2
      - 0
    .max_flat_workgroup_size: 1024
    .name:           _ZN9rocsolver6v33100L16reset_batch_infoI19rocblas_complex_numIfEiiPS3_EEvT2_lT0_T1_
    .private_segment_fixed_size: 0
    .sgpr_count:     18
    .sgpr_spill_count: 0
    .symbol:         _ZN9rocsolver6v33100L16reset_batch_infoI19rocblas_complex_numIfEiiPS3_EEvT2_lT0_T1_.kd
    .uniform_work_group_size: 1
    .uses_dynamic_stack: false
    .vgpr_count:     4
    .vgpr_spill_count: 0
    .wavefront_size: 32
    .workgroup_processor_mode: 1
  - .args:
      - .address_space:  global
        .offset:         0
        .size:           8
        .value_kind:     global_buffer
      - .offset:         8
        .size:           8
        .value_kind:     by_value
      - .offset:         16
        .size:           8
        .value_kind:     by_value
      - .address_space:  global
        .offset:         24
        .size:           8
        .value_kind:     global_buffer
      - .offset:         32
        .size:           8
        .value_kind:     by_value
      - .offset:         40
        .size:           4
        .value_kind:     by_value
      - .offset:         48
        .size:           8
        .value_kind:     by_value
      - .offset:         56
        .size:           4
        .value_kind:     by_value
      - .offset:         60
        .size:           1
        .value_kind:     by_value
      - .offset:         64
        .size:           4
        .value_kind:     hidden_block_count_x
      - .offset:         68
        .size:           4
        .value_kind:     hidden_block_count_y
      - .offset:         72
        .size:           4
        .value_kind:     hidden_block_count_z
      - .offset:         76
        .size:           2
        .value_kind:     hidden_group_size_x
      - .offset:         78
        .size:           2
        .value_kind:     hidden_group_size_y
      - .offset:         80
        .size:           2
        .value_kind:     hidden_group_size_z
      - .offset:         82
        .size:           2
        .value_kind:     hidden_remainder_x
      - .offset:         84
        .size:           2
        .value_kind:     hidden_remainder_y
      - .offset:         86
        .size:           2
        .value_kind:     hidden_remainder_z
      - .offset:         104
        .size:           8
        .value_kind:     hidden_global_offset_x
      - .offset:         112
        .size:           8
        .value_kind:     hidden_global_offset_y
      - .offset:         120
        .size:           8
        .value_kind:     hidden_global_offset_z
      - .offset:         128
        .size:           2
        .value_kind:     hidden_grid_dims
    .group_segment_fixed_size: 0
    .kernarg_segment_align: 8
    .kernarg_segment_size: 320
    .language:       OpenCL C
    .language_version:
      - 2
      - 0
    .max_flat_workgroup_size: 1024
    .name:           _ZN9rocsolver6v33100L8set_diagI19rocblas_complex_numIfEifPS3_TnNSt9enable_ifIXaa18rocblas_is_complexIT_Ent18rocblas_is_complexIT1_EEiE4typeELi0EEEvPS7_llT2_lT0_lSC_b
    .private_segment_fixed_size: 0
    .sgpr_count:     19
    .sgpr_spill_count: 0
    .symbol:         _ZN9rocsolver6v33100L8set_diagI19rocblas_complex_numIfEifPS3_TnNSt9enable_ifIXaa18rocblas_is_complexIT_Ent18rocblas_is_complexIT1_EEiE4typeELi0EEEvPS7_llT2_lT0_lSC_b.kd
    .uniform_work_group_size: 1
    .uses_dynamic_stack: false
    .vgpr_count:     6
    .vgpr_spill_count: 0
    .wavefront_size: 32
    .workgroup_processor_mode: 1
  - .args:
      - .address_space:  global
        .offset:         0
        .size:           8
        .value_kind:     global_buffer
      - .offset:         8
        .size:           8
        .value_kind:     by_value
      - .address_space:  global
        .offset:         16
        .size:           8
        .value_kind:     global_buffer
      - .address_space:  global
        .offset:         24
        .size:           8
        .value_kind:     global_buffer
      - .offset:         32
        .size:           8
        .value_kind:     by_value
      - .offset:         40
        .size:           8
        .value_kind:     by_value
      - .address_space:  global
        .offset:         48
        .size:           8
        .value_kind:     global_buffer
      - .offset:         56
        .size:           8
        .value_kind:     by_value
      - .offset:         64
        .size:           8
        .value_kind:     by_value
    .group_segment_fixed_size: 0
    .kernarg_segment_align: 8
    .kernarg_segment_size: 72
    .language:       OpenCL C
    .language_version:
      - 2
      - 0
    .max_flat_workgroup_size: 1024
    .name:           _ZN9rocsolver6v33100L11set_taubetaI19rocblas_complex_numIfEifPS3_EEvPT_lS6_T2_llPT1_ll
    .private_segment_fixed_size: 0
    .sgpr_count:     24
    .sgpr_spill_count: 0
    .symbol:         _ZN9rocsolver6v33100L11set_taubetaI19rocblas_complex_numIfEifPS3_EEvPT_lS6_T2_llPT1_ll.kd
    .uniform_work_group_size: 1
    .uses_dynamic_stack: false
    .vgpr_count:     24
    .vgpr_spill_count: 0
    .wavefront_size: 32
    .workgroup_processor_mode: 1
  - .args:
      - .offset:         0
        .size:           4
        .value_kind:     by_value
      - .offset:         4
        .size:           4
        .value_kind:     by_value
      - .address_space:  global
        .offset:         8
        .size:           8
        .value_kind:     global_buffer
      - .offset:         16
        .size:           8
        .value_kind:     by_value
      - .offset:         24
        .size:           4
        .value_kind:     by_value
      - .offset:         32
        .size:           8
        .value_kind:     by_value
      - .offset:         40
        .size:           4
        .value_kind:     hidden_block_count_x
      - .offset:         44
        .size:           4
        .value_kind:     hidden_block_count_y
      - .offset:         48
        .size:           4
        .value_kind:     hidden_block_count_z
      - .offset:         52
        .size:           2
        .value_kind:     hidden_group_size_x
      - .offset:         54
        .size:           2
        .value_kind:     hidden_group_size_y
      - .offset:         56
        .size:           2
        .value_kind:     hidden_group_size_z
      - .offset:         58
        .size:           2
        .value_kind:     hidden_remainder_x
      - .offset:         60
        .size:           2
        .value_kind:     hidden_remainder_y
      - .offset:         62
        .size:           2
        .value_kind:     hidden_remainder_z
      - .offset:         80
        .size:           8
        .value_kind:     hidden_global_offset_x
      - .offset:         88
        .size:           8
        .value_kind:     hidden_global_offset_y
      - .offset:         96
        .size:           8
        .value_kind:     hidden_global_offset_z
      - .offset:         104
        .size:           2
        .value_kind:     hidden_grid_dims
    .group_segment_fixed_size: 0
    .kernarg_segment_align: 8
    .kernarg_segment_size: 296
    .language:       OpenCL C
    .language_version:
      - 2
      - 0
    .max_flat_workgroup_size: 1024
    .name:           _ZN9rocsolver6v33100L13conj_in_placeI19rocblas_complex_numIfEiPS3_TnNSt9enable_ifIX18rocblas_is_complexIT_EEiE4typeELi0EEEvT0_S9_T1_lS9_l
    .private_segment_fixed_size: 0
    .sgpr_count:     18
    .sgpr_spill_count: 0
    .symbol:         _ZN9rocsolver6v33100L13conj_in_placeI19rocblas_complex_numIfEiPS3_TnNSt9enable_ifIX18rocblas_is_complexIT_EEiE4typeELi0EEEvT0_S9_T1_lS9_l.kd
    .uniform_work_group_size: 1
    .uses_dynamic_stack: false
    .vgpr_count:     7
    .vgpr_spill_count: 0
    .wavefront_size: 32
    .workgroup_processor_mode: 1
  - .args:
      - .offset:         0
        .size:           4
        .value_kind:     by_value
      - .offset:         4
        .size:           4
        .value_kind:     by_value
      - .address_space:  global
        .offset:         8
        .size:           8
        .value_kind:     global_buffer
      - .offset:         16
        .size:           8
        .value_kind:     by_value
      - .offset:         24
        .size:           4
        .value_kind:     by_value
      - .offset:         32
        .size:           8
        .value_kind:     by_value
      - .address_space:  global
        .offset:         40
        .size:           8
        .value_kind:     global_buffer
      - .offset:         48
        .size:           8
        .value_kind:     by_value
      - .address_space:  global
        .offset:         56
        .size:           8
        .value_kind:     global_buffer
      - .offset:         64
        .size:           8
        .value_kind:     by_value
      - .offset:         72
        .size:           4
        .value_kind:     by_value
      - .offset:         80
        .size:           8
        .value_kind:     by_value
    .group_segment_fixed_size: 0
    .kernarg_segment_align: 8
    .kernarg_segment_size: 88
    .language:       OpenCL C
    .language_version:
      - 2
      - 0
    .max_flat_workgroup_size: 1024
    .name:           _ZN9rocsolver6v33100L16larf_left_kernelILi1024E19rocblas_complex_numIfEiPS3_EEvT1_S5_T2_lS5_lPKT0_lS6_lS5_l
    .private_segment_fixed_size: 0
    .sgpr_count:     33
    .sgpr_spill_count: 0
    .symbol:         _ZN9rocsolver6v33100L16larf_left_kernelILi1024E19rocblas_complex_numIfEiPS3_EEvT1_S5_T2_lS5_lPKT0_lS6_lS5_l.kd
    .uniform_work_group_size: 1
    .uses_dynamic_stack: false
    .vgpr_count:     17
    .vgpr_spill_count: 0
    .wavefront_size: 32
    .workgroup_processor_mode: 1
  - .args:
      - .offset:         0
        .size:           4
        .value_kind:     by_value
      - .offset:         4
        .size:           4
        .value_kind:     by_value
      - .address_space:  global
        .offset:         8
        .size:           8
        .value_kind:     global_buffer
      - .offset:         16
        .size:           8
        .value_kind:     by_value
      - .offset:         24
        .size:           4
        .value_kind:     by_value
      - .offset:         32
        .size:           8
        .value_kind:     by_value
      - .address_space:  global
        .offset:         40
        .size:           8
        .value_kind:     global_buffer
      - .offset:         48
        .size:           8
        .value_kind:     by_value
      - .address_space:  global
        .offset:         56
        .size:           8
        .value_kind:     global_buffer
      - .offset:         64
        .size:           8
        .value_kind:     by_value
      - .offset:         72
        .size:           4
        .value_kind:     by_value
      - .offset:         80
        .size:           8
        .value_kind:     by_value
    .group_segment_fixed_size: 0
    .kernarg_segment_align: 8
    .kernarg_segment_size: 88
    .language:       OpenCL C
    .language_version:
      - 2
      - 0
    .max_flat_workgroup_size: 1024
    .name:           _ZN9rocsolver6v33100L17larf_right_kernelILi1024E19rocblas_complex_numIfEiPS3_EEvT1_S5_T2_lS5_lPKT0_lS6_lS5_l
    .private_segment_fixed_size: 0
    .sgpr_count:     37
    .sgpr_spill_count: 0
    .symbol:         _ZN9rocsolver6v33100L17larf_right_kernelILi1024E19rocblas_complex_numIfEiPS3_EEvT1_S5_T2_lS5_lPKT0_lS6_lS5_l.kd
    .uniform_work_group_size: 1
    .uses_dynamic_stack: false
    .vgpr_count:     17
    .vgpr_spill_count: 0
    .wavefront_size: 32
    .workgroup_processor_mode: 1
  - .args:
      - .address_space:  global
        .offset:         0
        .size:           8
        .value_kind:     global_buffer
      - .offset:         8
        .size:           8
        .value_kind:     by_value
      - .offset:         16
        .size:           8
        .value_kind:     by_value
      - .address_space:  global
        .offset:         24
        .size:           8
        .value_kind:     global_buffer
      - .offset:         32
        .size:           8
        .value_kind:     by_value
      - .offset:         40
        .size:           4
        .value_kind:     by_value
      - .offset:         48
        .size:           8
        .value_kind:     by_value
      - .offset:         56
        .size:           4
        .value_kind:     by_value
      - .offset:         64
        .size:           4
        .value_kind:     hidden_block_count_x
      - .offset:         68
        .size:           4
        .value_kind:     hidden_block_count_y
      - .offset:         72
        .size:           4
        .value_kind:     hidden_block_count_z
      - .offset:         76
        .size:           2
        .value_kind:     hidden_group_size_x
      - .offset:         78
        .size:           2
        .value_kind:     hidden_group_size_y
      - .offset:         80
        .size:           2
        .value_kind:     hidden_group_size_z
      - .offset:         82
        .size:           2
        .value_kind:     hidden_remainder_x
      - .offset:         84
        .size:           2
        .value_kind:     hidden_remainder_y
      - .offset:         86
        .size:           2
        .value_kind:     hidden_remainder_z
      - .offset:         104
        .size:           8
        .value_kind:     hidden_global_offset_x
      - .offset:         112
        .size:           8
        .value_kind:     hidden_global_offset_y
      - .offset:         120
        .size:           8
        .value_kind:     hidden_global_offset_z
      - .offset:         128
        .size:           2
        .value_kind:     hidden_grid_dims
    .group_segment_fixed_size: 0
    .kernarg_segment_align: 8
    .kernarg_segment_size: 320
    .language:       OpenCL C
    .language_version:
      - 2
      - 0
    .max_flat_workgroup_size: 1024
    .name:           _ZN9rocsolver6v33100L12restore_diagI19rocblas_complex_numIfEifPS3_EEvPT1_llT2_lT0_lS8_
    .private_segment_fixed_size: 0
    .sgpr_count:     19
    .sgpr_spill_count: 0
    .symbol:         _ZN9rocsolver6v33100L12restore_diagI19rocblas_complex_numIfEifPS3_EEvPT1_llT2_lT0_lS8_.kd
    .uniform_work_group_size: 1
    .uses_dynamic_stack: false
    .vgpr_count:     5
    .vgpr_spill_count: 0
    .wavefront_size: 32
    .workgroup_processor_mode: 1
  - .args:
      - .offset:         0
        .size:           4
        .value_kind:     by_value
      - .offset:         4
        .size:           4
        .value_kind:     by_value
      - .address_space:  global
        .offset:         8
        .size:           8
        .value_kind:     global_buffer
      - .offset:         16
        .size:           4
        .value_kind:     by_value
      - .offset:         20
        .size:           4
        .value_kind:     by_value
      - .offset:         24
        .size:           8
        .value_kind:     by_value
      - .address_space:  global
        .offset:         32
        .size:           8
        .value_kind:     global_buffer
      - .offset:         40
        .size:           8
        .value_kind:     by_value
      - .address_space:  global
        .offset:         48
        .size:           8
        .value_kind:     global_buffer
      - .offset:         56
        .size:           4
        .value_kind:     by_value
      - .offset:         64
        .size:           8
        .value_kind:     by_value
      - .offset:         72
        .size:           4
        .value_kind:     by_value
      - .offset:         76
        .size:           4
        .value_kind:     by_value
      - .offset:         80
        .size:           1
        .value_kind:     by_value
      - .offset:         88
        .size:           4
        .value_kind:     hidden_block_count_x
      - .offset:         92
        .size:           4
        .value_kind:     hidden_block_count_y
      - .offset:         96
        .size:           4
        .value_kind:     hidden_block_count_z
      - .offset:         100
        .size:           2
        .value_kind:     hidden_group_size_x
      - .offset:         102
        .size:           2
        .value_kind:     hidden_group_size_y
      - .offset:         104
        .size:           2
        .value_kind:     hidden_group_size_z
      - .offset:         106
        .size:           2
        .value_kind:     hidden_remainder_x
      - .offset:         108
        .size:           2
        .value_kind:     hidden_remainder_y
      - .offset:         110
        .size:           2
        .value_kind:     hidden_remainder_z
      - .offset:         128
        .size:           8
        .value_kind:     hidden_global_offset_x
      - .offset:         136
        .size:           8
        .value_kind:     hidden_global_offset_y
      - .offset:         144
        .size:           8
        .value_kind:     hidden_global_offset_z
      - .offset:         152
        .size:           2
        .value_kind:     hidden_grid_dims
    .group_segment_fixed_size: 0
    .kernarg_segment_align: 8
    .kernarg_segment_size: 344
    .language:       OpenCL C
    .language_version:
      - 2
      - 0
    .max_flat_workgroup_size: 1024
    .name:           _ZN9rocsolver6v33100L14set_triangularI19rocblas_complex_numIfEPS3_TnNSt9enable_ifIX18rocblas_is_complexIT_EEiE4typeELi0EEEviiT0_iilPS6_lSA_il15rocblas_direct_15rocblas_storev_b
    .private_segment_fixed_size: 0
    .sgpr_count:     24
    .sgpr_spill_count: 0
    .symbol:         _ZN9rocsolver6v33100L14set_triangularI19rocblas_complex_numIfEPS3_TnNSt9enable_ifIX18rocblas_is_complexIT_EEiE4typeELi0EEEviiT0_iilPS6_lSA_il15rocblas_direct_15rocblas_storev_b.kd
    .uniform_work_group_size: 1
    .uses_dynamic_stack: false
    .vgpr_count:     16
    .vgpr_spill_count: 0
    .wavefront_size: 32
    .workgroup_processor_mode: 1
  - .args:
      - .offset:         0
        .size:           4
        .value_kind:     by_value
      - .address_space:  global
        .offset:         8
        .size:           8
        .value_kind:     global_buffer
      - .offset:         16
        .size:           8
        .value_kind:     by_value
      - .offset:         24
        .size:           4
        .value_kind:     hidden_block_count_x
      - .offset:         28
        .size:           4
        .value_kind:     hidden_block_count_y
      - .offset:         32
        .size:           4
        .value_kind:     hidden_block_count_z
      - .offset:         36
        .size:           2
        .value_kind:     hidden_group_size_x
      - .offset:         38
        .size:           2
        .value_kind:     hidden_group_size_y
      - .offset:         40
        .size:           2
        .value_kind:     hidden_group_size_z
      - .offset:         42
        .size:           2
        .value_kind:     hidden_remainder_x
      - .offset:         44
        .size:           2
        .value_kind:     hidden_remainder_y
      - .offset:         46
        .size:           2
        .value_kind:     hidden_remainder_z
      - .offset:         64
        .size:           8
        .value_kind:     hidden_global_offset_x
      - .offset:         72
        .size:           8
        .value_kind:     hidden_global_offset_y
      - .offset:         80
        .size:           8
        .value_kind:     hidden_global_offset_z
      - .offset:         88
        .size:           2
        .value_kind:     hidden_grid_dims
    .group_segment_fixed_size: 0
    .kernarg_segment_align: 8
    .kernarg_segment_size: 280
    .language:       OpenCL C
    .language_version:
      - 2
      - 0
    .max_flat_workgroup_size: 1024
    .name:           _ZN9rocsolver6v33100L7set_tauI19rocblas_complex_numIfEEEviPT_l
    .private_segment_fixed_size: 0
    .sgpr_count:     18
    .sgpr_spill_count: 0
    .symbol:         _ZN9rocsolver6v33100L7set_tauI19rocblas_complex_numIfEEEviPT_l.kd
    .uniform_work_group_size: 1
    .uses_dynamic_stack: false
    .vgpr_count:     4
    .vgpr_spill_count: 0
    .wavefront_size: 32
    .workgroup_processor_mode: 1
  - .args:
      - .offset:         0
        .size:           4
        .value_kind:     by_value
      - .offset:         4
        .size:           4
        .value_kind:     by_value
      - .offset:         8
        .size:           4
        .value_kind:     by_value
      - .address_space:  global
        .offset:         16
        .size:           8
        .value_kind:     global_buffer
      - .offset:         24
        .size:           4
        .value_kind:     by_value
      - .offset:         28
        .size:           4
        .value_kind:     by_value
      - .offset:         32
        .size:           8
        .value_kind:     by_value
      - .address_space:  global
        .offset:         40
        .size:           8
        .value_kind:     global_buffer
      - .offset:         48
        .size:           8
        .value_kind:     by_value
      - .address_space:  global
        .offset:         56
        .size:           8
        .value_kind:     global_buffer
      - .offset:         64
        .size:           4
        .value_kind:     by_value
      - .offset:         72
        .size:           8
        .value_kind:     by_value
      - .offset:         80
        .size:           4
        .value_kind:     hidden_block_count_x
      - .offset:         84
        .size:           4
        .value_kind:     hidden_block_count_y
      - .offset:         88
        .size:           4
        .value_kind:     hidden_block_count_z
      - .offset:         92
        .size:           2
        .value_kind:     hidden_group_size_x
      - .offset:         94
        .size:           2
        .value_kind:     hidden_group_size_y
      - .offset:         96
        .size:           2
        .value_kind:     hidden_group_size_z
      - .offset:         98
        .size:           2
        .value_kind:     hidden_remainder_x
      - .offset:         100
        .size:           2
        .value_kind:     hidden_remainder_y
      - .offset:         102
        .size:           2
        .value_kind:     hidden_remainder_z
      - .offset:         120
        .size:           8
        .value_kind:     hidden_global_offset_x
      - .offset:         128
        .size:           8
        .value_kind:     hidden_global_offset_y
      - .offset:         136
        .size:           8
        .value_kind:     hidden_global_offset_z
      - .offset:         144
        .size:           2
        .value_kind:     hidden_grid_dims
      - .offset:         200
        .size:           4
        .value_kind:     hidden_dynamic_lds_size
    .group_segment_fixed_size: 0
    .kernarg_segment_align: 8
    .kernarg_segment_size: 336
    .language:       OpenCL C
    .language_version:
      - 2
      - 0
    .max_flat_workgroup_size: 1024
    .name:           _ZN9rocsolver6v33100L20larft_kernel_forwardI19rocblas_complex_numIfEPS3_EEv15rocblas_storev_iiT0_iilPT_lS8_il
    .private_segment_fixed_size: 0
    .sgpr_count:     46
    .sgpr_spill_count: 0
    .symbol:         _ZN9rocsolver6v33100L20larft_kernel_forwardI19rocblas_complex_numIfEPS3_EEv15rocblas_storev_iiT0_iilPT_lS8_il.kd
    .uniform_work_group_size: 1
    .uses_dynamic_stack: false
    .vgpr_count:     20
    .vgpr_spill_count: 0
    .wavefront_size: 32
    .workgroup_processor_mode: 1
  - .args:
      - .offset:         0
        .size:           4
        .value_kind:     by_value
      - .offset:         4
        .size:           4
        .value_kind:     by_value
      - .offset:         8
        .size:           4
        .value_kind:     by_value
      - .address_space:  global
        .offset:         16
        .size:           8
        .value_kind:     global_buffer
      - .offset:         24
        .size:           4
        .value_kind:     by_value
      - .offset:         28
        .size:           4
        .value_kind:     by_value
      - .offset:         32
        .size:           8
        .value_kind:     by_value
      - .address_space:  global
        .offset:         40
        .size:           8
        .value_kind:     global_buffer
      - .offset:         48
        .size:           8
        .value_kind:     by_value
      - .address_space:  global
        .offset:         56
        .size:           8
        .value_kind:     global_buffer
      - .offset:         64
        .size:           4
        .value_kind:     by_value
      - .offset:         72
        .size:           8
        .value_kind:     by_value
      - .offset:         80
        .size:           4
        .value_kind:     hidden_block_count_x
      - .offset:         84
        .size:           4
        .value_kind:     hidden_block_count_y
      - .offset:         88
        .size:           4
        .value_kind:     hidden_block_count_z
      - .offset:         92
        .size:           2
        .value_kind:     hidden_group_size_x
      - .offset:         94
        .size:           2
        .value_kind:     hidden_group_size_y
      - .offset:         96
        .size:           2
        .value_kind:     hidden_group_size_z
      - .offset:         98
        .size:           2
        .value_kind:     hidden_remainder_x
      - .offset:         100
        .size:           2
        .value_kind:     hidden_remainder_y
      - .offset:         102
        .size:           2
        .value_kind:     hidden_remainder_z
      - .offset:         120
        .size:           8
        .value_kind:     hidden_global_offset_x
      - .offset:         128
        .size:           8
        .value_kind:     hidden_global_offset_y
      - .offset:         136
        .size:           8
        .value_kind:     hidden_global_offset_z
      - .offset:         144
        .size:           2
        .value_kind:     hidden_grid_dims
      - .offset:         200
        .size:           4
        .value_kind:     hidden_dynamic_lds_size
    .group_segment_fixed_size: 0
    .kernarg_segment_align: 8
    .kernarg_segment_size: 336
    .language:       OpenCL C
    .language_version:
      - 2
      - 0
    .max_flat_workgroup_size: 1024
    .name:           _ZN9rocsolver6v33100L21larft_kernel_backwardI19rocblas_complex_numIfEPS3_EEv15rocblas_storev_iiT0_iilPT_lS8_il
    .private_segment_fixed_size: 0
    .sgpr_count:     48
    .sgpr_spill_count: 0
    .symbol:         _ZN9rocsolver6v33100L21larft_kernel_backwardI19rocblas_complex_numIfEPS3_EEv15rocblas_storev_iiT0_iilPT_lS8_il.kd
    .uniform_work_group_size: 1
    .uses_dynamic_stack: false
    .vgpr_count:     17
    .vgpr_spill_count: 0
    .wavefront_size: 32
    .workgroup_processor_mode: 1
  - .args:
      - .offset:         0
        .size:           4
        .value_kind:     by_value
      - .offset:         4
        .size:           4
        .value_kind:     by_value
      - .address_space:  global
        .offset:         8
        .size:           8
        .value_kind:     global_buffer
      - .offset:         16
        .size:           4
        .value_kind:     by_value
      - .offset:         20
        .size:           4
        .value_kind:     by_value
      - .offset:         24
        .size:           8
        .value_kind:     by_value
      - .address_space:  global
        .offset:         32
        .size:           8
        .value_kind:     global_buffer
      - .offset:         40
        .size:           4
        .value_kind:     hidden_block_count_x
      - .offset:         44
        .size:           4
        .value_kind:     hidden_block_count_y
      - .offset:         48
        .size:           4
        .value_kind:     hidden_block_count_z
      - .offset:         52
        .size:           2
        .value_kind:     hidden_group_size_x
      - .offset:         54
        .size:           2
        .value_kind:     hidden_group_size_y
      - .offset:         56
        .size:           2
        .value_kind:     hidden_group_size_z
      - .offset:         58
        .size:           2
        .value_kind:     hidden_remainder_x
      - .offset:         60
        .size:           2
        .value_kind:     hidden_remainder_y
      - .offset:         62
        .size:           2
        .value_kind:     hidden_remainder_z
      - .offset:         80
        .size:           8
        .value_kind:     hidden_global_offset_x
      - .offset:         88
        .size:           8
        .value_kind:     hidden_global_offset_y
      - .offset:         96
        .size:           8
        .value_kind:     hidden_global_offset_z
      - .offset:         104
        .size:           2
        .value_kind:     hidden_grid_dims
    .group_segment_fixed_size: 0
    .kernarg_segment_align: 8
    .kernarg_segment_size: 296
    .language:       OpenCL C
    .language_version:
      - 2
      - 0
    .max_flat_workgroup_size: 1024
    .name:           _ZN9rocsolver6v33100L9copymatA1I19rocblas_complex_numIfEPS3_EEviiT0_iilPT_
    .private_segment_fixed_size: 0
    .sgpr_count:     18
    .sgpr_spill_count: 0
    .symbol:         _ZN9rocsolver6v33100L9copymatA1I19rocblas_complex_numIfEPS3_EEviiT0_iilPT_.kd
    .uniform_work_group_size: 1
    .uses_dynamic_stack: false
    .vgpr_count:     8
    .vgpr_spill_count: 0
    .wavefront_size: 32
    .workgroup_processor_mode: 1
  - .args:
      - .offset:         0
        .size:           4
        .value_kind:     by_value
      - .offset:         4
        .size:           4
        .value_kind:     by_value
      - .address_space:  global
        .offset:         8
        .size:           8
        .value_kind:     global_buffer
      - .offset:         16
        .size:           4
        .value_kind:     by_value
      - .offset:         20
        .size:           4
        .value_kind:     by_value
      - .offset:         24
        .size:           8
        .value_kind:     by_value
      - .address_space:  global
        .offset:         32
        .size:           8
        .value_kind:     global_buffer
      - .offset:         40
        .size:           4
        .value_kind:     hidden_block_count_x
      - .offset:         44
        .size:           4
        .value_kind:     hidden_block_count_y
      - .offset:         48
        .size:           4
        .value_kind:     hidden_block_count_z
      - .offset:         52
        .size:           2
        .value_kind:     hidden_group_size_x
      - .offset:         54
        .size:           2
        .value_kind:     hidden_group_size_y
      - .offset:         56
        .size:           2
        .value_kind:     hidden_group_size_z
      - .offset:         58
        .size:           2
        .value_kind:     hidden_remainder_x
      - .offset:         60
        .size:           2
        .value_kind:     hidden_remainder_y
      - .offset:         62
        .size:           2
        .value_kind:     hidden_remainder_z
      - .offset:         80
        .size:           8
        .value_kind:     hidden_global_offset_x
      - .offset:         88
        .size:           8
        .value_kind:     hidden_global_offset_y
      - .offset:         96
        .size:           8
        .value_kind:     hidden_global_offset_z
      - .offset:         104
        .size:           2
        .value_kind:     hidden_grid_dims
    .group_segment_fixed_size: 0
    .kernarg_segment_align: 8
    .kernarg_segment_size: 296
    .language:       OpenCL C
    .language_version:
      - 2
      - 0
    .max_flat_workgroup_size: 1024
    .name:           _ZN9rocsolver6v33100L8addmatA1I19rocblas_complex_numIfEPS3_EEviiT0_iilPT_
    .private_segment_fixed_size: 0
    .sgpr_count:     18
    .sgpr_spill_count: 0
    .symbol:         _ZN9rocsolver6v33100L8addmatA1I19rocblas_complex_numIfEPS3_EEviiT0_iilPT_.kd
    .uniform_work_group_size: 1
    .uses_dynamic_stack: false
    .vgpr_count:     6
    .vgpr_spill_count: 0
    .wavefront_size: 32
    .workgroup_processor_mode: 1
  - .args:
      - .address_space:  global
        .offset:         0
        .size:           8
        .value_kind:     global_buffer
      - .offset:         8
        .size:           8
        .value_kind:     by_value
      - .offset:         16
        .size:           8
        .value_kind:     by_value
      - .address_space:  global
        .offset:         24
        .size:           8
        .value_kind:     global_buffer
      - .offset:         32
        .size:           8
        .value_kind:     by_value
      - .offset:         40
        .size:           4
        .value_kind:     by_value
      - .offset:         48
        .size:           8
        .value_kind:     by_value
      - .offset:         56
        .size:           4
        .value_kind:     by_value
      - .offset:         60
        .size:           1
        .value_kind:     by_value
      - .offset:         64
        .size:           4
        .value_kind:     hidden_block_count_x
      - .offset:         68
        .size:           4
        .value_kind:     hidden_block_count_y
      - .offset:         72
        .size:           4
        .value_kind:     hidden_block_count_z
      - .offset:         76
        .size:           2
        .value_kind:     hidden_group_size_x
      - .offset:         78
        .size:           2
        .value_kind:     hidden_group_size_y
      - .offset:         80
        .size:           2
        .value_kind:     hidden_group_size_z
      - .offset:         82
        .size:           2
        .value_kind:     hidden_remainder_x
      - .offset:         84
        .size:           2
        .value_kind:     hidden_remainder_y
      - .offset:         86
        .size:           2
        .value_kind:     hidden_remainder_z
      - .offset:         104
        .size:           8
        .value_kind:     hidden_global_offset_x
      - .offset:         112
        .size:           8
        .value_kind:     hidden_global_offset_y
      - .offset:         120
        .size:           8
        .value_kind:     hidden_global_offset_z
      - .offset:         128
        .size:           2
        .value_kind:     hidden_grid_dims
    .group_segment_fixed_size: 0
    .kernarg_segment_align: 8
    .kernarg_segment_size: 320
    .language:       OpenCL C
    .language_version:
      - 2
      - 0
    .max_flat_workgroup_size: 1024
    .name:           _ZN9rocsolver6v33100L8set_diagI19rocblas_complex_numIfEiS3_PS3_TnNSt9enable_ifIXoont18rocblas_is_complexIT_E18rocblas_is_complexIT1_EEiE4typeELi0EEEvPS7_llT2_lT0_lSC_b
    .private_segment_fixed_size: 0
    .sgpr_count:     19
    .sgpr_spill_count: 0
    .symbol:         _ZN9rocsolver6v33100L8set_diagI19rocblas_complex_numIfEiS3_PS3_TnNSt9enable_ifIXoont18rocblas_is_complexIT_E18rocblas_is_complexIT1_EEiE4typeELi0EEEvPS7_llT2_lT0_lSC_b.kd
    .uniform_work_group_size: 1
    .uses_dynamic_stack: false
    .vgpr_count:     6
    .vgpr_spill_count: 0
    .wavefront_size: 32
    .workgroup_processor_mode: 1
  - .args:
      - .address_space:  global
        .offset:         0
        .size:           8
        .value_kind:     global_buffer
      - .offset:         8
        .size:           8
        .value_kind:     by_value
      - .offset:         16
        .size:           8
        .value_kind:     by_value
      - .address_space:  global
        .offset:         24
        .size:           8
        .value_kind:     global_buffer
      - .offset:         32
        .size:           8
        .value_kind:     by_value
      - .offset:         40
        .size:           4
        .value_kind:     by_value
      - .offset:         48
        .size:           8
        .value_kind:     by_value
      - .offset:         56
        .size:           4
        .value_kind:     by_value
      - .offset:         64
        .size:           4
        .value_kind:     hidden_block_count_x
      - .offset:         68
        .size:           4
        .value_kind:     hidden_block_count_y
      - .offset:         72
        .size:           4
        .value_kind:     hidden_block_count_z
      - .offset:         76
        .size:           2
        .value_kind:     hidden_group_size_x
      - .offset:         78
        .size:           2
        .value_kind:     hidden_group_size_y
      - .offset:         80
        .size:           2
        .value_kind:     hidden_group_size_z
      - .offset:         82
        .size:           2
        .value_kind:     hidden_remainder_x
      - .offset:         84
        .size:           2
        .value_kind:     hidden_remainder_y
      - .offset:         86
        .size:           2
        .value_kind:     hidden_remainder_z
      - .offset:         104
        .size:           8
        .value_kind:     hidden_global_offset_x
      - .offset:         112
        .size:           8
        .value_kind:     hidden_global_offset_y
      - .offset:         120
        .size:           8
        .value_kind:     hidden_global_offset_z
      - .offset:         128
        .size:           2
        .value_kind:     hidden_grid_dims
    .group_segment_fixed_size: 0
    .kernarg_segment_align: 8
    .kernarg_segment_size: 320
    .language:       OpenCL C
    .language_version:
      - 2
      - 0
    .max_flat_workgroup_size: 1024
    .name:           _ZN9rocsolver6v33100L12restore_diagI19rocblas_complex_numIfEiS3_PS3_EEvPT1_llT2_lT0_lS8_
    .private_segment_fixed_size: 0
    .sgpr_count:     19
    .sgpr_spill_count: 0
    .symbol:         _ZN9rocsolver6v33100L12restore_diagI19rocblas_complex_numIfEiS3_PS3_EEvPT1_llT2_lT0_lS8_.kd
    .uniform_work_group_size: 1
    .uses_dynamic_stack: false
    .vgpr_count:     4
    .vgpr_spill_count: 0
    .wavefront_size: 32
    .workgroup_processor_mode: 1
  - .args:
      - .offset:         0
        .size:           4
        .value_kind:     by_value
      - .offset:         4
        .size:           4
        .value_kind:     by_value
      - .address_space:  global
        .offset:         8
        .size:           8
        .value_kind:     global_buffer
      - .offset:         16
        .size:           4
        .value_kind:     by_value
      - .offset:         20
        .size:           4
        .value_kind:     by_value
      - .offset:         24
        .size:           8
        .value_kind:     by_value
      - .offset:         32
        .size:           4
        .value_kind:     by_value
      - .offset:         40
        .size:           4
        .value_kind:     hidden_block_count_x
      - .offset:         44
        .size:           4
        .value_kind:     hidden_block_count_y
      - .offset:         48
        .size:           4
        .value_kind:     hidden_block_count_z
      - .offset:         52
        .size:           2
        .value_kind:     hidden_group_size_x
      - .offset:         54
        .size:           2
        .value_kind:     hidden_group_size_y
      - .offset:         56
        .size:           2
        .value_kind:     hidden_group_size_z
      - .offset:         58
        .size:           2
        .value_kind:     hidden_remainder_x
      - .offset:         60
        .size:           2
        .value_kind:     hidden_remainder_y
      - .offset:         62
        .size:           2
        .value_kind:     hidden_remainder_z
      - .offset:         80
        .size:           8
        .value_kind:     hidden_global_offset_x
      - .offset:         88
        .size:           8
        .value_kind:     hidden_global_offset_y
      - .offset:         96
        .size:           8
        .value_kind:     hidden_global_offset_z
      - .offset:         104
        .size:           2
        .value_kind:     hidden_grid_dims
    .group_segment_fixed_size: 0
    .kernarg_segment_align: 8
    .kernarg_segment_size: 296
    .language:       OpenCL C
    .language_version:
      - 2
      - 0
    .max_flat_workgroup_size: 1024
    .name:           _ZN9rocsolver6v33100L8set_zeroI19rocblas_complex_numIfEPS3_EEviiT0_iil13rocblas_fill_
    .private_segment_fixed_size: 0
    .sgpr_count:     18
    .sgpr_spill_count: 0
    .symbol:         _ZN9rocsolver6v33100L8set_zeroI19rocblas_complex_numIfEPS3_EEviiT0_iil13rocblas_fill_.kd
    .uniform_work_group_size: 1
    .uses_dynamic_stack: false
    .vgpr_count:     5
    .vgpr_spill_count: 0
    .wavefront_size: 32
    .workgroup_processor_mode: 1
  - .args:
      - .offset:         0
        .size:           4
        .value_kind:     by_value
      - .offset:         4
        .size:           4
        .value_kind:     by_value
      - .offset:         8
        .size:           4
        .value_kind:     by_value
      - .address_space:  global
        .offset:         16
        .size:           8
        .value_kind:     global_buffer
      - .offset:         24
        .size:           4
        .value_kind:     by_value
      - .offset:         28
        .size:           4
        .value_kind:     by_value
      - .offset:         32
        .size:           8
        .value_kind:     by_value
      - .offset:         40
        .size:           4
        .value_kind:     hidden_block_count_x
      - .offset:         44
        .size:           4
        .value_kind:     hidden_block_count_y
      - .offset:         48
        .size:           4
        .value_kind:     hidden_block_count_z
      - .offset:         52
        .size:           2
        .value_kind:     hidden_group_size_x
      - .offset:         54
        .size:           2
        .value_kind:     hidden_group_size_y
      - .offset:         56
        .size:           2
        .value_kind:     hidden_group_size_z
      - .offset:         58
        .size:           2
        .value_kind:     hidden_remainder_x
      - .offset:         60
        .size:           2
        .value_kind:     hidden_remainder_y
      - .offset:         62
        .size:           2
        .value_kind:     hidden_remainder_z
      - .offset:         80
        .size:           8
        .value_kind:     hidden_global_offset_x
      - .offset:         88
        .size:           8
        .value_kind:     hidden_global_offset_y
      - .offset:         96
        .size:           8
        .value_kind:     hidden_global_offset_z
      - .offset:         104
        .size:           2
        .value_kind:     hidden_grid_dims
    .group_segment_fixed_size: 0
    .kernarg_segment_align: 8
    .kernarg_segment_size: 296
    .language:       OpenCL C
    .language_version:
      - 2
      - 0
    .max_flat_workgroup_size: 1024
    .name:           _ZN9rocsolver6v33100L16org2r_init_identI19rocblas_complex_numIfEPS3_EEviiiT0_iil
    .private_segment_fixed_size: 0
    .sgpr_count:     18
    .sgpr_spill_count: 0
    .symbol:         _ZN9rocsolver6v33100L16org2r_init_identI19rocblas_complex_numIfEPS3_EEviiiT0_iil.kd
    .uniform_work_group_size: 1
    .uses_dynamic_stack: false
    .vgpr_count:     7
    .vgpr_spill_count: 0
    .wavefront_size: 32
    .workgroup_processor_mode: 1
  - .args:
      - .offset:         0
        .size:           4
        .value_kind:     by_value
      - .offset:         4
        .size:           4
        .value_kind:     by_value
      - .address_space:  global
        .offset:         8
        .size:           8
        .value_kind:     global_buffer
      - .offset:         16
        .size:           4
        .value_kind:     by_value
      - .offset:         20
        .size:           4
        .value_kind:     by_value
      - .offset:         24
        .size:           8
        .value_kind:     by_value
      - .address_space:  global
        .offset:         32
        .size:           8
        .value_kind:     global_buffer
      - .offset:         40
        .size:           8
        .value_kind:     by_value
    .group_segment_fixed_size: 0
    .kernarg_segment_align: 8
    .kernarg_segment_size: 48
    .language:       OpenCL C
    .language_version:
      - 2
      - 0
    .max_flat_workgroup_size: 1024
    .name:           _ZN9rocsolver6v33100L12subtract_tauI19rocblas_complex_numIfEPS3_EEviiT0_iilPT_l
    .private_segment_fixed_size: 0
    .sgpr_count:     16
    .sgpr_spill_count: 0
    .symbol:         _ZN9rocsolver6v33100L12subtract_tauI19rocblas_complex_numIfEPS3_EEviiT0_iilPT_l.kd
    .uniform_work_group_size: 1
    .uses_dynamic_stack: false
    .vgpr_count:     3
    .vgpr_spill_count: 0
    .wavefront_size: 32
    .workgroup_processor_mode: 1
  - .args:
      - .offset:         0
        .size:           4
        .value_kind:     by_value
      - .address_space:  global
        .offset:         8
        .size:           8
        .value_kind:     global_buffer
      - .offset:         16
        .size:           8
        .value_kind:     by_value
      - .offset:         24
        .size:           4
        .value_kind:     hidden_block_count_x
      - .offset:         28
        .size:           4
        .value_kind:     hidden_block_count_y
      - .offset:         32
        .size:           4
        .value_kind:     hidden_block_count_z
      - .offset:         36
        .size:           2
        .value_kind:     hidden_group_size_x
      - .offset:         38
        .size:           2
        .value_kind:     hidden_group_size_y
      - .offset:         40
        .size:           2
        .value_kind:     hidden_group_size_z
      - .offset:         42
        .size:           2
        .value_kind:     hidden_remainder_x
      - .offset:         44
        .size:           2
        .value_kind:     hidden_remainder_y
      - .offset:         46
        .size:           2
        .value_kind:     hidden_remainder_z
      - .offset:         64
        .size:           8
        .value_kind:     hidden_global_offset_x
      - .offset:         72
        .size:           8
        .value_kind:     hidden_global_offset_y
      - .offset:         80
        .size:           8
        .value_kind:     hidden_global_offset_z
      - .offset:         88
        .size:           2
        .value_kind:     hidden_grid_dims
    .group_segment_fixed_size: 0
    .kernarg_segment_align: 8
    .kernarg_segment_size: 280
    .language:       OpenCL C
    .language_version:
      - 2
      - 0
    .max_flat_workgroup_size: 1024
    .name:           _ZN9rocsolver6v33100L6restauI19rocblas_complex_numIfEEEviPT_l
    .private_segment_fixed_size: 0
    .sgpr_count:     18
    .sgpr_spill_count: 0
    .symbol:         _ZN9rocsolver6v33100L6restauI19rocblas_complex_numIfEEEviPT_l.kd
    .uniform_work_group_size: 1
    .uses_dynamic_stack: false
    .vgpr_count:     4
    .vgpr_spill_count: 0
    .wavefront_size: 32
    .workgroup_processor_mode: 1
  - .args:
      - .offset:         0
        .size:           1
        .value_kind:     by_value
      - .offset:         4
        .size:           4
        .value_kind:     by_value
      - .address_space:  global
        .offset:         8
        .size:           8
        .value_kind:     global_buffer
      - .offset:         16
        .size:           4
        .value_kind:     by_value
      - .offset:         20
        .size:           4
        .value_kind:     by_value
      - .offset:         24
        .size:           8
        .value_kind:     by_value
      - .address_space:  global
        .offset:         32
        .size:           8
        .value_kind:     global_buffer
      - .offset:         40
        .size:           4
        .value_kind:     by_value
      - .offset:         44
        .size:           4
        .value_kind:     by_value
      - .offset:         48
        .size:           8
        .value_kind:     by_value
      - .offset:         56
        .size:           4
        .value_kind:     hidden_block_count_x
      - .offset:         60
        .size:           4
        .value_kind:     hidden_block_count_y
      - .offset:         64
        .size:           4
        .value_kind:     hidden_block_count_z
      - .offset:         68
        .size:           2
        .value_kind:     hidden_group_size_x
      - .offset:         70
        .size:           2
        .value_kind:     hidden_group_size_y
      - .offset:         72
        .size:           2
        .value_kind:     hidden_group_size_z
      - .offset:         74
        .size:           2
        .value_kind:     hidden_remainder_x
      - .offset:         76
        .size:           2
        .value_kind:     hidden_remainder_y
      - .offset:         78
        .size:           2
        .value_kind:     hidden_remainder_z
      - .offset:         96
        .size:           8
        .value_kind:     hidden_global_offset_x
      - .offset:         104
        .size:           8
        .value_kind:     hidden_global_offset_y
      - .offset:         112
        .size:           8
        .value_kind:     hidden_global_offset_z
      - .offset:         120
        .size:           2
        .value_kind:     hidden_grid_dims
    .group_segment_fixed_size: 0
    .kernarg_segment_align: 8
    .kernarg_segment_size: 312
    .language:       OpenCL C
    .language_version:
      - 2
      - 0
    .max_flat_workgroup_size: 1024
    .name:           _ZN9rocsolver6v33100L15copyshift_rightI19rocblas_complex_numIfEPS3_EEvbiT0_iilPT_iil
    .private_segment_fixed_size: 0
    .sgpr_count:     20
    .sgpr_spill_count: 0
    .symbol:         _ZN9rocsolver6v33100L15copyshift_rightI19rocblas_complex_numIfEPS3_EEvbiT0_iilPT_iil.kd
    .uniform_work_group_size: 1
    .uses_dynamic_stack: false
    .vgpr_count:     10
    .vgpr_spill_count: 0
    .wavefront_size: 32
    .workgroup_processor_mode: 1
  - .args:
      - .offset:         0
        .size:           4
        .value_kind:     by_value
      - .offset:         4
        .size:           4
        .value_kind:     by_value
      - .offset:         8
        .size:           4
        .value_kind:     by_value
      - .address_space:  global
        .offset:         16
        .size:           8
        .value_kind:     global_buffer
      - .offset:         24
        .size:           4
        .value_kind:     by_value
      - .offset:         28
        .size:           4
        .value_kind:     by_value
      - .offset:         32
        .size:           8
        .value_kind:     by_value
      - .offset:         40
        .size:           4
        .value_kind:     hidden_block_count_x
      - .offset:         44
        .size:           4
        .value_kind:     hidden_block_count_y
      - .offset:         48
        .size:           4
        .value_kind:     hidden_block_count_z
      - .offset:         52
        .size:           2
        .value_kind:     hidden_group_size_x
      - .offset:         54
        .size:           2
        .value_kind:     hidden_group_size_y
      - .offset:         56
        .size:           2
        .value_kind:     hidden_group_size_z
      - .offset:         58
        .size:           2
        .value_kind:     hidden_remainder_x
      - .offset:         60
        .size:           2
        .value_kind:     hidden_remainder_y
      - .offset:         62
        .size:           2
        .value_kind:     hidden_remainder_z
      - .offset:         80
        .size:           8
        .value_kind:     hidden_global_offset_x
      - .offset:         88
        .size:           8
        .value_kind:     hidden_global_offset_y
      - .offset:         96
        .size:           8
        .value_kind:     hidden_global_offset_z
      - .offset:         104
        .size:           2
        .value_kind:     hidden_grid_dims
    .group_segment_fixed_size: 0
    .kernarg_segment_align: 8
    .kernarg_segment_size: 296
    .language:       OpenCL C
    .language_version:
      - 2
      - 0
    .max_flat_workgroup_size: 1024
    .name:           _ZN9rocsolver6v33100L16orgl2_init_identI19rocblas_complex_numIfEPS3_EEviiiT0_iil
    .private_segment_fixed_size: 0
    .sgpr_count:     18
    .sgpr_spill_count: 0
    .symbol:         _ZN9rocsolver6v33100L16orgl2_init_identI19rocblas_complex_numIfEPS3_EEviiiT0_iil.kd
    .uniform_work_group_size: 1
    .uses_dynamic_stack: false
    .vgpr_count:     7
    .vgpr_spill_count: 0
    .wavefront_size: 32
    .workgroup_processor_mode: 1
  - .args:
      - .offset:         0
        .size:           1
        .value_kind:     by_value
      - .offset:         4
        .size:           4
        .value_kind:     by_value
      - .address_space:  global
        .offset:         8
        .size:           8
        .value_kind:     global_buffer
      - .offset:         16
        .size:           4
        .value_kind:     by_value
      - .offset:         20
        .size:           4
        .value_kind:     by_value
      - .offset:         24
        .size:           8
        .value_kind:     by_value
      - .address_space:  global
        .offset:         32
        .size:           8
        .value_kind:     global_buffer
      - .offset:         40
        .size:           4
        .value_kind:     by_value
      - .offset:         44
        .size:           4
        .value_kind:     by_value
      - .offset:         48
        .size:           8
        .value_kind:     by_value
      - .offset:         56
        .size:           4
        .value_kind:     hidden_block_count_x
      - .offset:         60
        .size:           4
        .value_kind:     hidden_block_count_y
      - .offset:         64
        .size:           4
        .value_kind:     hidden_block_count_z
      - .offset:         68
        .size:           2
        .value_kind:     hidden_group_size_x
      - .offset:         70
        .size:           2
        .value_kind:     hidden_group_size_y
      - .offset:         72
        .size:           2
        .value_kind:     hidden_group_size_z
      - .offset:         74
        .size:           2
        .value_kind:     hidden_remainder_x
      - .offset:         76
        .size:           2
        .value_kind:     hidden_remainder_y
      - .offset:         78
        .size:           2
        .value_kind:     hidden_remainder_z
      - .offset:         96
        .size:           8
        .value_kind:     hidden_global_offset_x
      - .offset:         104
        .size:           8
        .value_kind:     hidden_global_offset_y
      - .offset:         112
        .size:           8
        .value_kind:     hidden_global_offset_z
      - .offset:         120
        .size:           2
        .value_kind:     hidden_grid_dims
    .group_segment_fixed_size: 0
    .kernarg_segment_align: 8
    .kernarg_segment_size: 312
    .language:       OpenCL C
    .language_version:
      - 2
      - 0
    .max_flat_workgroup_size: 1024
    .name:           _ZN9rocsolver6v33100L14copyshift_downI19rocblas_complex_numIfEPS3_EEvbiT0_iilPT_iil
    .private_segment_fixed_size: 0
    .sgpr_count:     19
    .sgpr_spill_count: 0
    .symbol:         _ZN9rocsolver6v33100L14copyshift_downI19rocblas_complex_numIfEPS3_EEvbiT0_iilPT_iil.kd
    .uniform_work_group_size: 1
    .uses_dynamic_stack: false
    .vgpr_count:     11
    .vgpr_spill_count: 0
    .wavefront_size: 32
    .workgroup_processor_mode: 1
  - .args:
      - .offset:         0
        .size:           4
        .value_kind:     by_value
      - .address_space:  global
        .offset:         8
        .size:           8
        .value_kind:     global_buffer
      - .offset:         16
        .size:           8
        .value_kind:     by_value
      - .address_space:  global
        .offset:         24
        .size:           8
        .value_kind:     global_buffer
      - .offset:         32
        .size:           8
        .value_kind:     by_value
      - .address_space:  global
        .offset:         40
        .size:           8
        .value_kind:     global_buffer
      - .offset:         48
        .size:           4
        .value_kind:     by_value
      - .offset:         52
        .size:           4
        .value_kind:     by_value
      - .offset:         56
        .size:           4
        .value_kind:     by_value
      - .address_space:  global
        .offset:         64
        .size:           8
        .value_kind:     global_buffer
      - .address_space:  global
        .offset:         72
        .size:           8
        .value_kind:     global_buffer
      - .offset:         80
        .size:           8
        .value_kind:     by_value
      - .address_space:  global
        .offset:         88
        .size:           8
        .value_kind:     global_buffer
    .group_segment_fixed_size: 0
    .kernarg_segment_align: 8
    .kernarg_segment_size: 96
    .language:       OpenCL C
    .language_version:
      - 2
      - 0
    .max_flat_workgroup_size: 1024
    .name:           _ZN9rocsolver6v33100L10bdsqr_initI19rocblas_complex_numIfEfEEviPT0_lS5_lPiiS4_S4_S6_S5_lS6_
    .private_segment_fixed_size: 0
    .sgpr_count:     34
    .sgpr_spill_count: 0
    .symbol:         _ZN9rocsolver6v33100L10bdsqr_initI19rocblas_complex_numIfEfEEviPT0_lS5_lPiiS4_S4_S6_S5_lS6_.kd
    .uniform_work_group_size: 1
    .uses_dynamic_stack: false
    .vgpr_count:     10
    .vgpr_spill_count: 0
    .wavefront_size: 32
    .workgroup_processor_mode: 1
  - .args:
      - .offset:         0
        .size:           4
        .value_kind:     by_value
      - .address_space:  global
        .offset:         8
        .size:           8
        .value_kind:     global_buffer
      - .offset:         16
        .size:           4
        .value_kind:     by_value
      - .address_space:  global
        .offset:         24
        .size:           8
        .value_kind:     global_buffer
      - .offset:         32
        .size:           4
        .value_kind:     by_value
      - .offset:         40
        .size:           4
        .value_kind:     hidden_block_count_x
      - .offset:         44
        .size:           4
        .value_kind:     hidden_block_count_y
      - .offset:         48
        .size:           4
        .value_kind:     hidden_block_count_z
      - .offset:         52
        .size:           2
        .value_kind:     hidden_group_size_x
      - .offset:         54
        .size:           2
        .value_kind:     hidden_group_size_y
      - .offset:         56
        .size:           2
        .value_kind:     hidden_group_size_z
      - .offset:         58
        .size:           2
        .value_kind:     hidden_remainder_x
      - .offset:         60
        .size:           2
        .value_kind:     hidden_remainder_y
      - .offset:         62
        .size:           2
        .value_kind:     hidden_remainder_z
      - .offset:         80
        .size:           8
        .value_kind:     hidden_global_offset_x
      - .offset:         88
        .size:           8
        .value_kind:     hidden_global_offset_y
      - .offset:         96
        .size:           8
        .value_kind:     hidden_global_offset_z
      - .offset:         104
        .size:           2
        .value_kind:     hidden_grid_dims
    .group_segment_fixed_size: 0
    .kernarg_segment_align: 8
    .kernarg_segment_size: 296
    .language:       OpenCL C
    .language_version:
      - 2
      - 0
    .max_flat_workgroup_size: 1024
    .name:           _ZN9rocsolver6v33100L11swap_kernelI19rocblas_complex_numIfEiEEvT0_PT_S4_S6_S4_
    .private_segment_fixed_size: 0
    .sgpr_count:     18
    .sgpr_spill_count: 0
    .symbol:         _ZN9rocsolver6v33100L11swap_kernelI19rocblas_complex_numIfEiEEvT0_PT_S4_S6_S4_.kd
    .uniform_work_group_size: 1
    .uses_dynamic_stack: false
    .vgpr_count:     12
    .vgpr_spill_count: 0
    .wavefront_size: 32
    .workgroup_processor_mode: 1
  - .args:
      - .offset:         0
        .size:           4
        .value_kind:     by_value
      - .address_space:  global
        .offset:         8
        .size:           8
        .value_kind:     global_buffer
      - .offset:         16
        .size:           4
        .value_kind:     by_value
      - .address_space:  global
        .offset:         24
        .size:           8
        .value_kind:     global_buffer
      - .offset:         32
        .size:           4
        .value_kind:     by_value
      - .offset:         36
        .size:           4
        .value_kind:     by_value
      - .offset:         40
        .size:           4
        .value_kind:     by_value
      - .offset:         48
        .size:           4
        .value_kind:     hidden_block_count_x
      - .offset:         52
        .size:           4
        .value_kind:     hidden_block_count_y
      - .offset:         56
        .size:           4
        .value_kind:     hidden_block_count_z
      - .offset:         60
        .size:           2
        .value_kind:     hidden_group_size_x
      - .offset:         62
        .size:           2
        .value_kind:     hidden_group_size_y
      - .offset:         64
        .size:           2
        .value_kind:     hidden_group_size_z
      - .offset:         66
        .size:           2
        .value_kind:     hidden_remainder_x
      - .offset:         68
        .size:           2
        .value_kind:     hidden_remainder_y
      - .offset:         70
        .size:           2
        .value_kind:     hidden_remainder_z
      - .offset:         88
        .size:           8
        .value_kind:     hidden_global_offset_x
      - .offset:         96
        .size:           8
        .value_kind:     hidden_global_offset_y
      - .offset:         104
        .size:           8
        .value_kind:     hidden_global_offset_z
      - .offset:         112
        .size:           2
        .value_kind:     hidden_grid_dims
    .group_segment_fixed_size: 0
    .kernarg_segment_align: 8
    .kernarg_segment_size: 304
    .language:       OpenCL C
    .language_version:
      - 2
      - 0
    .max_flat_workgroup_size: 1024
    .name:           _ZN9rocsolver6v33100L10rot_kernelIf19rocblas_complex_numIfEiEEvT1_PT0_S4_S6_S4_T_S7_
    .private_segment_fixed_size: 0
    .sgpr_count:     19
    .sgpr_spill_count: 0
    .symbol:         _ZN9rocsolver6v33100L10rot_kernelIf19rocblas_complex_numIfEiEEvT1_PT0_S4_S6_S4_T_S7_.kd
    .uniform_work_group_size: 1
    .uses_dynamic_stack: false
    .vgpr_count:     15
    .vgpr_spill_count: 0
    .wavefront_size: 32
    .workgroup_processor_mode: 1
  - .args:
      - .offset:         0
        .size:           4
        .value_kind:     by_value
      - .offset:         4
        .size:           4
        .value_kind:     by_value
      - .offset:         8
        .size:           4
        .value_kind:     by_value
      - .offset:         12
        .size:           4
        .value_kind:     by_value
      - .offset:         16
        .size:           4
        .value_kind:     by_value
      - .address_space:  global
        .offset:         24
        .size:           8
        .value_kind:     global_buffer
      - .offset:         32
        .size:           8
        .value_kind:     by_value
      - .address_space:  global
        .offset:         40
        .size:           8
        .value_kind:     global_buffer
      - .offset:         48
        .size:           8
        .value_kind:     by_value
      - .address_space:  global
        .offset:         56
        .size:           8
        .value_kind:     global_buffer
      - .offset:         64
        .size:           8
        .value_kind:     by_value
      - .offset:         72
        .size:           4
        .value_kind:     by_value
      - .offset:         80
        .size:           8
        .value_kind:     by_value
      - .offset:         88
        .size:           4
        .value_kind:     by_value
      - .offset:         96
        .size:           4
        .value_kind:     hidden_block_count_x
      - .offset:         100
        .size:           4
        .value_kind:     hidden_block_count_y
      - .offset:         104
        .size:           4
        .value_kind:     hidden_block_count_z
      - .offset:         108
        .size:           2
        .value_kind:     hidden_group_size_x
      - .offset:         110
        .size:           2
        .value_kind:     hidden_group_size_y
      - .offset:         112
        .size:           2
        .value_kind:     hidden_group_size_z
      - .offset:         114
        .size:           2
        .value_kind:     hidden_remainder_x
      - .offset:         116
        .size:           2
        .value_kind:     hidden_remainder_y
      - .offset:         118
        .size:           2
        .value_kind:     hidden_remainder_z
      - .offset:         136
        .size:           8
        .value_kind:     hidden_global_offset_x
      - .offset:         144
        .size:           8
        .value_kind:     hidden_global_offset_y
      - .offset:         152
        .size:           8
        .value_kind:     hidden_global_offset_z
      - .offset:         160
        .size:           2
        .value_kind:     hidden_grid_dims
    .group_segment_fixed_size: 0
    .kernarg_segment_align: 8
    .kernarg_segment_size: 352
    .language:       OpenCL C
    .language_version:
      - 2
      - 0
    .max_flat_workgroup_size: 64
    .name:           _ZN9rocsolver6v33100L11lasr_kernelI19rocblas_complex_numIfEfPS3_iEEv13rocblas_side_14rocblas_pivot_15rocblas_direct_T2_S8_PT0_lSA_lT1_lS8_lS8_
    .private_segment_fixed_size: 0
    .sgpr_count:     89
    .sgpr_spill_count: 0
    .symbol:         _ZN9rocsolver6v33100L11lasr_kernelI19rocblas_complex_numIfEfPS3_iEEv13rocblas_side_14rocblas_pivot_15rocblas_direct_T2_S8_PT0_lSA_lT1_lS8_lS8_.kd
    .uniform_work_group_size: 1
    .uses_dynamic_stack: false
    .vgpr_count:     47
    .vgpr_spill_count: 0
    .wavefront_size: 32
    .workgroup_processor_mode: 1
  - .args:
      - .offset:         0
        .size:           4
        .value_kind:     by_value
      - .offset:         4
        .size:           4
        .value_kind:     by_value
      - .address_space:  global
        .offset:         8
        .size:           8
        .value_kind:     global_buffer
      - .offset:         16
        .size:           4
        .value_kind:     by_value
      - .offset:         24
        .size:           4
        .value_kind:     hidden_block_count_x
      - .offset:         28
        .size:           4
        .value_kind:     hidden_block_count_y
      - .offset:         32
        .size:           4
        .value_kind:     hidden_block_count_z
      - .offset:         36
        .size:           2
        .value_kind:     hidden_group_size_x
      - .offset:         38
        .size:           2
        .value_kind:     hidden_group_size_y
      - .offset:         40
        .size:           2
        .value_kind:     hidden_group_size_z
      - .offset:         42
        .size:           2
        .value_kind:     hidden_remainder_x
      - .offset:         44
        .size:           2
        .value_kind:     hidden_remainder_y
      - .offset:         46
        .size:           2
        .value_kind:     hidden_remainder_z
      - .offset:         64
        .size:           8
        .value_kind:     hidden_global_offset_x
      - .offset:         72
        .size:           8
        .value_kind:     hidden_global_offset_y
      - .offset:         80
        .size:           8
        .value_kind:     hidden_global_offset_z
      - .offset:         88
        .size:           2
        .value_kind:     hidden_grid_dims
    .group_segment_fixed_size: 0
    .kernarg_segment_align: 8
    .kernarg_segment_size: 280
    .language:       OpenCL C
    .language_version:
      - 2
      - 0
    .max_flat_workgroup_size: 1024
    .name:           _ZN9rocsolver6v33100L11scal_kernelIf19rocblas_complex_numIfEiEEvT1_T_PT0_S4_
    .private_segment_fixed_size: 0
    .sgpr_count:     18
    .sgpr_spill_count: 0
    .symbol:         _ZN9rocsolver6v33100L11scal_kernelIf19rocblas_complex_numIfEiEEvT1_T_PT0_S4_.kd
    .uniform_work_group_size: 1
    .uses_dynamic_stack: false
    .vgpr_count:     6
    .vgpr_spill_count: 0
    .wavefront_size: 32
    .workgroup_processor_mode: 1
  - .args:
      - .offset:         0
        .size:           4
        .value_kind:     by_value
      - .offset:         4
        .size:           4
        .value_kind:     by_value
      - .offset:         8
        .size:           4
        .value_kind:     by_value
      - .address_space:  global
        .offset:         16
        .size:           8
        .value_kind:     global_buffer
      - .offset:         24
        .size:           8
        .value_kind:     by_value
      - .address_space:  global
        .offset:         32
        .size:           8
        .value_kind:     global_buffer
      - .offset:         40
        .size:           8
        .value_kind:     by_value
      - .address_space:  global
        .offset:         48
        .size:           8
        .value_kind:     global_buffer
      - .offset:         56
        .size:           4
        .value_kind:     by_value
      - .offset:         60
        .size:           4
        .value_kind:     by_value
      - .offset:         64
        .size:           8
        .value_kind:     by_value
      - .address_space:  global
        .offset:         72
        .size:           8
        .value_kind:     global_buffer
      - .offset:         80
        .size:           4
        .value_kind:     by_value
      - .offset:         84
        .size:           4
        .value_kind:     by_value
      - .offset:         88
        .size:           8
        .value_kind:     by_value
      - .address_space:  global
        .offset:         96
        .size:           8
        .value_kind:     global_buffer
      - .address_space:  global
        .offset:         104
        .size:           8
        .value_kind:     global_buffer
      - .offset:         112
        .size:           8
        .value_kind:     by_value
      - .address_space:  global
        .offset:         120
        .size:           8
        .value_kind:     global_buffer
      - .offset:         128
        .size:           4
        .value_kind:     hidden_block_count_x
      - .offset:         132
        .size:           4
        .value_kind:     hidden_block_count_y
      - .offset:         136
        .size:           4
        .value_kind:     hidden_block_count_z
      - .offset:         140
        .size:           2
        .value_kind:     hidden_group_size_x
      - .offset:         142
        .size:           2
        .value_kind:     hidden_group_size_y
      - .offset:         144
        .size:           2
        .value_kind:     hidden_group_size_z
      - .offset:         146
        .size:           2
        .value_kind:     hidden_remainder_x
      - .offset:         148
        .size:           2
        .value_kind:     hidden_remainder_y
      - .offset:         150
        .size:           2
        .value_kind:     hidden_remainder_z
      - .offset:         168
        .size:           8
        .value_kind:     hidden_global_offset_x
      - .offset:         176
        .size:           8
        .value_kind:     hidden_global_offset_y
      - .offset:         184
        .size:           8
        .value_kind:     hidden_global_offset_z
      - .offset:         192
        .size:           2
        .value_kind:     hidden_grid_dims
    .group_segment_fixed_size: 0
    .kernarg_segment_align: 8
    .kernarg_segment_size: 384
    .language:       OpenCL C
    .language_version:
      - 2
      - 0
    .max_flat_workgroup_size: 1024
    .name:           _ZN9rocsolver6v33100L17bdsqr_lower2upperI19rocblas_complex_numIfEfPS3_S4_EEviiiPT0_lS6_lT1_iilT2_iilPiS6_lS9_
    .private_segment_fixed_size: 0
    .sgpr_count:     34
    .sgpr_spill_count: 0
    .symbol:         _ZN9rocsolver6v33100L17bdsqr_lower2upperI19rocblas_complex_numIfEfPS3_S4_EEviiiPT0_lS6_lT1_iilT2_iilPiS6_lS9_.kd
    .uniform_work_group_size: 1
    .uses_dynamic_stack: false
    .vgpr_count:     17
    .vgpr_spill_count: 0
    .wavefront_size: 32
    .workgroup_processor_mode: 1
  - .args:
      - .offset:         0
        .size:           4
        .value_kind:     by_value
      - .offset:         4
        .size:           4
        .value_kind:     by_value
      - .offset:         8
        .size:           4
        .value_kind:     by_value
      - .offset:         12
        .size:           4
        .value_kind:     by_value
      - .address_space:  global
        .offset:         16
        .size:           8
        .value_kind:     global_buffer
      - .offset:         24
        .size:           8
        .value_kind:     by_value
      - .address_space:  global
        .offset:         32
        .size:           8
        .value_kind:     global_buffer
      - .offset:         40
        .size:           8
        .value_kind:     by_value
      - .address_space:  global
        .offset:         48
        .size:           8
        .value_kind:     global_buffer
      - .offset:         56
        .size:           4
        .value_kind:     by_value
      - .offset:         60
        .size:           4
        .value_kind:     by_value
      - .offset:         64
        .size:           8
        .value_kind:     by_value
      - .address_space:  global
        .offset:         72
        .size:           8
        .value_kind:     global_buffer
      - .offset:         80
        .size:           4
        .value_kind:     by_value
      - .offset:         84
        .size:           4
        .value_kind:     by_value
      - .offset:         88
        .size:           8
        .value_kind:     by_value
      - .address_space:  global
        .offset:         96
        .size:           8
        .value_kind:     global_buffer
      - .offset:         104
        .size:           4
        .value_kind:     by_value
      - .offset:         108
        .size:           4
        .value_kind:     by_value
      - .offset:         112
        .size:           8
        .value_kind:     by_value
      - .offset:         120
        .size:           4
        .value_kind:     by_value
      - .offset:         124
        .size:           4
        .value_kind:     by_value
      - .offset:         128
        .size:           4
        .value_kind:     by_value
      - .offset:         132
        .size:           4
        .value_kind:     by_value
      - .offset:         136
        .size:           4
        .value_kind:     by_value
      - .address_space:  global
        .offset:         144
        .size:           8
        .value_kind:     global_buffer
      - .address_space:  global
        .offset:         152
        .size:           8
        .value_kind:     global_buffer
      - .offset:         160
        .size:           4
        .value_kind:     by_value
      - .offset:         168
        .size:           8
        .value_kind:     by_value
      - .address_space:  global
        .offset:         176
        .size:           8
        .value_kind:     global_buffer
      - .offset:         184
        .size:           4
        .value_kind:     hidden_block_count_x
      - .offset:         188
        .size:           4
        .value_kind:     hidden_block_count_y
      - .offset:         192
        .size:           4
        .value_kind:     hidden_block_count_z
      - .offset:         196
        .size:           2
        .value_kind:     hidden_group_size_x
      - .offset:         198
        .size:           2
        .value_kind:     hidden_group_size_y
      - .offset:         200
        .size:           2
        .value_kind:     hidden_group_size_z
      - .offset:         202
        .size:           2
        .value_kind:     hidden_remainder_x
      - .offset:         204
        .size:           2
        .value_kind:     hidden_remainder_y
      - .offset:         206
        .size:           2
        .value_kind:     hidden_remainder_z
      - .offset:         224
        .size:           8
        .value_kind:     hidden_global_offset_x
      - .offset:         232
        .size:           8
        .value_kind:     hidden_global_offset_y
      - .offset:         240
        .size:           8
        .value_kind:     hidden_global_offset_z
      - .offset:         248
        .size:           2
        .value_kind:     hidden_grid_dims
    .group_segment_fixed_size: 1040
    .kernarg_segment_align: 8
    .kernarg_segment_size: 440
    .language:       OpenCL C
    .language_version:
      - 2
      - 0
    .max_flat_workgroup_size: 1024
    .name:           _ZN9rocsolver6v33100L13bdsqr_computeILi256E19rocblas_complex_numIfEfPS3_S4_S4_EEviiiiPT1_lS6_lT2_iilT3_iilT4_iiliS5_S5_S5_S5_PiS6_ilSA_
    .private_segment_fixed_size: 0
    .sgpr_count:     106
    .sgpr_spill_count: 0
    .symbol:         _ZN9rocsolver6v33100L13bdsqr_computeILi256E19rocblas_complex_numIfEfPS3_S4_S4_EEviiiiPT1_lS6_lT2_iilT3_iilT4_iiliS5_S5_S5_S5_PiS6_ilSA_.kd
    .uniform_work_group_size: 1
    .uses_dynamic_stack: false
    .vgpr_count:     32
    .vgpr_spill_count: 0
    .wavefront_size: 32
    .workgroup_processor_mode: 1
  - .args:
      - .offset:         0
        .size:           4
        .value_kind:     by_value
      - .offset:         4
        .size:           4
        .value_kind:     by_value
      - .offset:         8
        .size:           4
        .value_kind:     by_value
      - .offset:         12
        .size:           4
        .value_kind:     by_value
      - .address_space:  global
        .offset:         16
        .size:           8
        .value_kind:     global_buffer
      - .offset:         24
        .size:           4
        .value_kind:     by_value
      - .offset:         28
        .size:           4
        .value_kind:     by_value
      - .offset:         32
        .size:           8
        .value_kind:     by_value
      - .address_space:  global
        .offset:         40
        .size:           8
        .value_kind:     global_buffer
      - .offset:         48
        .size:           4
        .value_kind:     by_value
      - .offset:         52
        .size:           4
        .value_kind:     by_value
      - .offset:         56
        .size:           8
        .value_kind:     by_value
      - .address_space:  global
        .offset:         64
        .size:           8
        .value_kind:     global_buffer
      - .offset:         72
        .size:           4
        .value_kind:     by_value
      - .offset:         76
        .size:           4
        .value_kind:     by_value
      - .offset:         80
        .size:           8
        .value_kind:     by_value
      - .offset:         88
        .size:           4
        .value_kind:     by_value
      - .address_space:  global
        .offset:         96
        .size:           8
        .value_kind:     global_buffer
      - .address_space:  global
        .offset:         104
        .size:           8
        .value_kind:     global_buffer
      - .offset:         112
        .size:           4
        .value_kind:     by_value
      - .offset:         120
        .size:           8
        .value_kind:     by_value
      - .address_space:  global
        .offset:         128
        .size:           8
        .value_kind:     global_buffer
      - .offset:         136
        .size:           4
        .value_kind:     hidden_block_count_x
      - .offset:         140
        .size:           4
        .value_kind:     hidden_block_count_y
      - .offset:         144
        .size:           4
        .value_kind:     hidden_block_count_z
      - .offset:         148
        .size:           2
        .value_kind:     hidden_group_size_x
      - .offset:         150
        .size:           2
        .value_kind:     hidden_group_size_y
      - .offset:         152
        .size:           2
        .value_kind:     hidden_group_size_z
      - .offset:         154
        .size:           2
        .value_kind:     hidden_remainder_x
      - .offset:         156
        .size:           2
        .value_kind:     hidden_remainder_y
      - .offset:         158
        .size:           2
        .value_kind:     hidden_remainder_z
      - .offset:         176
        .size:           8
        .value_kind:     hidden_global_offset_x
      - .offset:         184
        .size:           8
        .value_kind:     hidden_global_offset_y
      - .offset:         192
        .size:           8
        .value_kind:     hidden_global_offset_z
      - .offset:         200
        .size:           2
        .value_kind:     hidden_grid_dims
    .group_segment_fixed_size: 0
    .kernarg_segment_align: 8
    .kernarg_segment_size: 392
    .language:       OpenCL C
    .language_version:
      - 2
      - 0
    .max_flat_workgroup_size: 1024
    .name:           _ZN9rocsolver6v33100L12bdsqr_rotateI19rocblas_complex_numIfEfPS3_S4_S4_EEviiiiT1_iilT2_iilT3_iiliPiPT0_ilS8_
    .private_segment_fixed_size: 0
    .sgpr_count:     44
    .sgpr_spill_count: 0
    .symbol:         _ZN9rocsolver6v33100L12bdsqr_rotateI19rocblas_complex_numIfEfPS3_S4_S4_EEviiiiT1_iilT2_iilT3_iiliPiPT0_ilS8_.kd
    .uniform_work_group_size: 1
    .uses_dynamic_stack: false
    .vgpr_count:     19
    .vgpr_spill_count: 0
    .wavefront_size: 32
    .workgroup_processor_mode: 1
  - .args:
      - .offset:         0
        .size:           4
        .value_kind:     by_value
      - .address_space:  global
        .offset:         8
        .size:           8
        .value_kind:     global_buffer
      - .offset:         16
        .size:           8
        .value_kind:     by_value
      - .address_space:  global
        .offset:         24
        .size:           8
        .value_kind:     global_buffer
      - .address_space:  global
        .offset:         32
        .size:           8
        .value_kind:     global_buffer
      - .offset:         40
        .size:           8
        .value_kind:     by_value
      - .address_space:  global
        .offset:         48
        .size:           8
        .value_kind:     global_buffer
      - .offset:         56
        .size:           4
        .value_kind:     hidden_block_count_x
      - .offset:         60
        .size:           4
        .value_kind:     hidden_block_count_y
      - .offset:         64
        .size:           4
        .value_kind:     hidden_block_count_z
      - .offset:         68
        .size:           2
        .value_kind:     hidden_group_size_x
      - .offset:         70
        .size:           2
        .value_kind:     hidden_group_size_y
      - .offset:         72
        .size:           2
        .value_kind:     hidden_group_size_z
      - .offset:         74
        .size:           2
        .value_kind:     hidden_remainder_x
      - .offset:         76
        .size:           2
        .value_kind:     hidden_remainder_y
      - .offset:         78
        .size:           2
        .value_kind:     hidden_remainder_z
      - .offset:         96
        .size:           8
        .value_kind:     hidden_global_offset_x
      - .offset:         104
        .size:           8
        .value_kind:     hidden_global_offset_y
      - .offset:         112
        .size:           8
        .value_kind:     hidden_global_offset_z
      - .offset:         120
        .size:           2
        .value_kind:     hidden_grid_dims
    .group_segment_fixed_size: 0
    .kernarg_segment_align: 8
    .kernarg_segment_size: 312
    .language:       OpenCL C
    .language_version:
      - 2
      - 0
    .max_flat_workgroup_size: 1024
    .name:           _ZN9rocsolver6v33100L22bdsqr_update_endpointsI19rocblas_complex_numIfEfEEviPT0_lPiS5_lS6_
    .private_segment_fixed_size: 0
    .sgpr_count:     25
    .sgpr_spill_count: 0
    .symbol:         _ZN9rocsolver6v33100L22bdsqr_update_endpointsI19rocblas_complex_numIfEfEEviPT0_lPiS5_lS6_.kd
    .uniform_work_group_size: 1
    .uses_dynamic_stack: false
    .vgpr_count:     9
    .vgpr_spill_count: 0
    .wavefront_size: 32
    .workgroup_processor_mode: 1
  - .args:
      - .offset:         0
        .size:           4
        .value_kind:     by_value
      - .offset:         4
        .size:           4
        .value_kind:     by_value
      - .address_space:  global
        .offset:         8
        .size:           8
        .value_kind:     global_buffer
      - .address_space:  global
        .offset:         16
        .size:           8
        .value_kind:     global_buffer
      - .offset:         24
        .size:           8
        .value_kind:     by_value
      - .address_space:  global
        .offset:         32
        .size:           8
        .value_kind:     global_buffer
    .group_segment_fixed_size: 0
    .kernarg_segment_align: 8
    .kernarg_segment_size: 40
    .language:       OpenCL C
    .language_version:
      - 2
      - 0
    .max_flat_workgroup_size: 1024
    .name:           _ZN9rocsolver6v33100L19bdsqr_chk_completedI19rocblas_complex_numIfEfEEviiPiPT0_lS4_
    .private_segment_fixed_size: 0
    .sgpr_count:     18
    .sgpr_spill_count: 0
    .symbol:         _ZN9rocsolver6v33100L19bdsqr_chk_completedI19rocblas_complex_numIfEfEEviiPiPT0_lS4_.kd
    .uniform_work_group_size: 1
    .uses_dynamic_stack: false
    .vgpr_count:     4
    .vgpr_spill_count: 0
    .wavefront_size: 32
    .workgroup_processor_mode: 1
  - .args:
      - .offset:         0
        .size:           4
        .value_kind:     by_value
      - .offset:         4
        .size:           4
        .value_kind:     by_value
      - .offset:         8
        .size:           4
        .value_kind:     by_value
      - .offset:         12
        .size:           4
        .value_kind:     by_value
      - .address_space:  global
        .offset:         16
        .size:           8
        .value_kind:     global_buffer
      - .offset:         24
        .size:           8
        .value_kind:     by_value
      - .address_space:  global
        .offset:         32
        .size:           8
        .value_kind:     global_buffer
      - .offset:         40
        .size:           8
        .value_kind:     by_value
      - .address_space:  global
        .offset:         48
        .size:           8
        .value_kind:     global_buffer
      - .offset:         56
        .size:           4
        .value_kind:     by_value
      - .offset:         60
        .size:           4
        .value_kind:     by_value
      - .offset:         64
        .size:           8
        .value_kind:     by_value
      - .address_space:  global
        .offset:         72
        .size:           8
        .value_kind:     global_buffer
      - .offset:         80
        .size:           4
        .value_kind:     by_value
      - .offset:         84
        .size:           4
        .value_kind:     by_value
      - .offset:         88
        .size:           8
        .value_kind:     by_value
      - .address_space:  global
        .offset:         96
        .size:           8
        .value_kind:     global_buffer
      - .offset:         104
        .size:           4
        .value_kind:     by_value
      - .offset:         108
        .size:           4
        .value_kind:     by_value
      - .offset:         112
        .size:           8
        .value_kind:     by_value
      - .address_space:  global
        .offset:         120
        .size:           8
        .value_kind:     global_buffer
      - .address_space:  global
        .offset:         128
        .size:           8
        .value_kind:     global_buffer
      - .address_space:  global
        .offset:         136
        .size:           8
        .value_kind:     global_buffer
      - .offset:         144
        .size:           4
        .value_kind:     hidden_block_count_x
      - .offset:         148
        .size:           4
        .value_kind:     hidden_block_count_y
      - .offset:         152
        .size:           4
        .value_kind:     hidden_block_count_z
      - .offset:         156
        .size:           2
        .value_kind:     hidden_group_size_x
      - .offset:         158
        .size:           2
        .value_kind:     hidden_group_size_y
      - .offset:         160
        .size:           2
        .value_kind:     hidden_group_size_z
      - .offset:         162
        .size:           2
        .value_kind:     hidden_remainder_x
      - .offset:         164
        .size:           2
        .value_kind:     hidden_remainder_y
      - .offset:         166
        .size:           2
        .value_kind:     hidden_remainder_z
      - .offset:         184
        .size:           8
        .value_kind:     hidden_global_offset_x
      - .offset:         192
        .size:           8
        .value_kind:     hidden_global_offset_y
      - .offset:         200
        .size:           8
        .value_kind:     hidden_global_offset_z
      - .offset:         208
        .size:           2
        .value_kind:     hidden_grid_dims
      - .offset:         224
        .size:           8
        .value_kind:     hidden_hostcall_buffer
    .group_segment_fixed_size: 0
    .kernarg_segment_align: 8
    .kernarg_segment_size: 400
    .language:       OpenCL C
    .language_version:
      - 2
      - 0
    .max_flat_workgroup_size: 1024
    .name:           _ZN9rocsolver6v33100L14bdsqr_finalizeI19rocblas_complex_numIfEfPS3_S4_S4_EEviiiiPT0_lS6_lT1_iilT2_iilT3_iilPiSA_SA_
    .private_segment_fixed_size: 64
    .sgpr_count:     62
    .sgpr_spill_count: 0
    .symbol:         _ZN9rocsolver6v33100L14bdsqr_finalizeI19rocblas_complex_numIfEfPS3_S4_S4_EEviiiiPT0_lS6_lT1_iilT2_iilT3_iilPiSA_SA_.kd
    .uniform_work_group_size: 1
    .uses_dynamic_stack: false
    .vgpr_count:     45
    .vgpr_spill_count: 0
    .wavefront_size: 32
    .workgroup_processor_mode: 1
  - .args:
      - .offset:         0
        .size:           4
        .value_kind:     by_value
      - .offset:         4
        .size:           4
        .value_kind:     by_value
      - .address_space:  global
        .offset:         8
        .size:           8
        .value_kind:     global_buffer
      - .offset:         16
        .size:           4
        .value_kind:     by_value
      - .offset:         20
        .size:           4
        .value_kind:     by_value
      - .offset:         24
        .size:           8
        .value_kind:     by_value
      - .address_space:  global
        .offset:         32
        .size:           8
        .value_kind:     global_buffer
      - .offset:         40
        .size:           4
        .value_kind:     by_value
      - .offset:         44
        .size:           4
        .value_kind:     by_value
      - .offset:         48
        .size:           8
        .value_kind:     by_value
      - .offset:         56
        .size:           1
        .value_kind:     by_value
      - .offset:         60
        .size:           4
        .value_kind:     by_value
      - .offset:         64
        .size:           4
        .value_kind:     by_value
      - .offset:         72
        .size:           4
        .value_kind:     hidden_block_count_x
      - .offset:         76
        .size:           4
        .value_kind:     hidden_block_count_y
      - .offset:         80
        .size:           4
        .value_kind:     hidden_block_count_z
      - .offset:         84
        .size:           2
        .value_kind:     hidden_group_size_x
      - .offset:         86
        .size:           2
        .value_kind:     hidden_group_size_y
      - .offset:         88
        .size:           2
        .value_kind:     hidden_group_size_z
      - .offset:         90
        .size:           2
        .value_kind:     hidden_remainder_x
      - .offset:         92
        .size:           2
        .value_kind:     hidden_remainder_y
      - .offset:         94
        .size:           2
        .value_kind:     hidden_remainder_z
      - .offset:         112
        .size:           8
        .value_kind:     hidden_global_offset_x
      - .offset:         120
        .size:           8
        .value_kind:     hidden_global_offset_y
      - .offset:         128
        .size:           8
        .value_kind:     hidden_global_offset_z
      - .offset:         136
        .size:           2
        .value_kind:     hidden_grid_dims
    .group_segment_fixed_size: 0
    .kernarg_segment_align: 8
    .kernarg_segment_size: 328
    .language:       OpenCL C
    .language_version:
      - 2
      - 0
    .max_flat_workgroup_size: 1024
    .name:           _ZN9rocsolver6v33100L8copy_matI19rocblas_complex_numIfEPS3_S4_NS0_7no_maskEEEviiT0_iilT1_iilT2_13rocblas_fill_17rocblas_diagonal_
    .private_segment_fixed_size: 0
    .sgpr_count:     18
    .sgpr_spill_count: 0
    .symbol:         _ZN9rocsolver6v33100L8copy_matI19rocblas_complex_numIfEPS3_S4_NS0_7no_maskEEEviiT0_iilT1_iilT2_13rocblas_fill_17rocblas_diagonal_.kd
    .uniform_work_group_size: 1
    .uses_dynamic_stack: false
    .vgpr_count:     8
    .vgpr_spill_count: 0
    .wavefront_size: 32
    .workgroup_processor_mode: 1
  - .args:
      - .address_space:  global
        .offset:         0
        .size:           8
        .value_kind:     global_buffer
      - .offset:         8
        .size:           4
        .value_kind:     by_value
      - .offset:         16
        .size:           16
        .value_kind:     by_value
    .group_segment_fixed_size: 0
    .kernarg_segment_align: 8
    .kernarg_segment_size: 32
    .language:       OpenCL C
    .language_version:
      - 2
      - 0
    .max_flat_workgroup_size: 32
    .name:           _ZN9rocsolver6v33100L6iota_nI19rocblas_complex_numIdEEEvPT_jS4_
    .private_segment_fixed_size: 0
    .sgpr_count:     10
    .sgpr_spill_count: 0
    .symbol:         _ZN9rocsolver6v33100L6iota_nI19rocblas_complex_numIdEEEvPT_jS4_.kd
    .uniform_work_group_size: 1
    .uses_dynamic_stack: false
    .vgpr_count:     5
    .vgpr_spill_count: 0
    .wavefront_size: 32
    .workgroup_processor_mode: 1
  - .args:
      - .offset:         0
        .size:           4
        .value_kind:     by_value
      - .offset:         4
        .size:           4
        .value_kind:     by_value
      - .address_space:  global
        .offset:         8
        .size:           8
        .value_kind:     global_buffer
      - .offset:         16
        .size:           8
        .value_kind:     by_value
      - .offset:         24
        .size:           4
        .value_kind:     by_value
      - .offset:         32
        .size:           8
        .value_kind:     by_value
      - .address_space:  global
        .offset:         40
        .size:           8
        .value_kind:     global_buffer
      - .offset:         48
        .size:           8
        .value_kind:     by_value
      - .address_space:  global
        .offset:         56
        .size:           8
        .value_kind:     global_buffer
      - .offset:         64
        .size:           8
        .value_kind:     by_value
    .group_segment_fixed_size: 0
    .kernarg_segment_align: 8
    .kernarg_segment_size: 72
    .language:       OpenCL C
    .language_version:
      - 2
      - 0
    .max_flat_workgroup_size: 256
    .name:           _ZN9rocsolver6v33100L18geqr2_kernel_smallILi256E19rocblas_complex_numIdEidPS3_EEvT1_S5_T3_lS5_lPT2_lPT0_l
    .private_segment_fixed_size: 0
    .sgpr_count:     42
    .sgpr_spill_count: 0
    .symbol:         _ZN9rocsolver6v33100L18geqr2_kernel_smallILi256E19rocblas_complex_numIdEidPS3_EEvT1_S5_T3_lS5_lPT2_lPT0_l.kd
    .uniform_work_group_size: 1
    .uses_dynamic_stack: false
    .vgpr_count:     56
    .vgpr_spill_count: 0
    .wavefront_size: 32
    .workgroup_processor_mode: 1
  - .args:
      - .address_space:  global
        .offset:         0
        .size:           8
        .value_kind:     global_buffer
      - .offset:         8
        .size:           8
        .value_kind:     by_value
      - .offset:         16
        .size:           4
        .value_kind:     by_value
      - .offset:         20
        .size:           4
        .value_kind:     by_value
      - .offset:         24
        .size:           4
        .value_kind:     hidden_block_count_x
      - .offset:         28
        .size:           4
        .value_kind:     hidden_block_count_y
      - .offset:         32
        .size:           4
        .value_kind:     hidden_block_count_z
      - .offset:         36
        .size:           2
        .value_kind:     hidden_group_size_x
      - .offset:         38
        .size:           2
        .value_kind:     hidden_group_size_y
      - .offset:         40
        .size:           2
        .value_kind:     hidden_group_size_z
      - .offset:         42
        .size:           2
        .value_kind:     hidden_remainder_x
      - .offset:         44
        .size:           2
        .value_kind:     hidden_remainder_y
      - .offset:         46
        .size:           2
        .value_kind:     hidden_remainder_z
      - .offset:         64
        .size:           8
        .value_kind:     hidden_global_offset_x
      - .offset:         72
        .size:           8
        .value_kind:     hidden_global_offset_y
      - .offset:         80
        .size:           8
        .value_kind:     hidden_global_offset_z
      - .offset:         88
        .size:           2
        .value_kind:     hidden_grid_dims
    .group_segment_fixed_size: 0
    .kernarg_segment_align: 8
    .kernarg_segment_size: 280
    .language:       OpenCL C
    .language_version:
      - 2
      - 0
    .max_flat_workgroup_size: 1024
    .name:           _ZN9rocsolver6v33100L16reset_batch_infoI19rocblas_complex_numIdEiiPS3_EEvT2_lT0_T1_
    .private_segment_fixed_size: 0
    .sgpr_count:     18
    .sgpr_spill_count: 0
    .symbol:         _ZN9rocsolver6v33100L16reset_batch_infoI19rocblas_complex_numIdEiiPS3_EEvT2_lT0_T1_.kd
    .uniform_work_group_size: 1
    .uses_dynamic_stack: false
    .vgpr_count:     7
    .vgpr_spill_count: 0
    .wavefront_size: 32
    .workgroup_processor_mode: 1
  - .args:
      - .address_space:  global
        .offset:         0
        .size:           8
        .value_kind:     global_buffer
      - .offset:         8
        .size:           8
        .value_kind:     by_value
      - .offset:         16
        .size:           8
        .value_kind:     by_value
      - .address_space:  global
        .offset:         24
        .size:           8
        .value_kind:     global_buffer
      - .offset:         32
        .size:           8
        .value_kind:     by_value
      - .offset:         40
        .size:           4
        .value_kind:     by_value
      - .offset:         48
        .size:           8
        .value_kind:     by_value
      - .offset:         56
        .size:           4
        .value_kind:     by_value
      - .offset:         60
        .size:           1
        .value_kind:     by_value
      - .offset:         64
        .size:           4
        .value_kind:     hidden_block_count_x
      - .offset:         68
        .size:           4
        .value_kind:     hidden_block_count_y
      - .offset:         72
        .size:           4
        .value_kind:     hidden_block_count_z
      - .offset:         76
        .size:           2
        .value_kind:     hidden_group_size_x
      - .offset:         78
        .size:           2
        .value_kind:     hidden_group_size_y
      - .offset:         80
        .size:           2
        .value_kind:     hidden_group_size_z
      - .offset:         82
        .size:           2
        .value_kind:     hidden_remainder_x
      - .offset:         84
        .size:           2
        .value_kind:     hidden_remainder_y
      - .offset:         86
        .size:           2
        .value_kind:     hidden_remainder_z
      - .offset:         104
        .size:           8
        .value_kind:     hidden_global_offset_x
      - .offset:         112
        .size:           8
        .value_kind:     hidden_global_offset_y
      - .offset:         120
        .size:           8
        .value_kind:     hidden_global_offset_z
      - .offset:         128
        .size:           2
        .value_kind:     hidden_grid_dims
    .group_segment_fixed_size: 0
    .kernarg_segment_align: 8
    .kernarg_segment_size: 320
    .language:       OpenCL C
    .language_version:
      - 2
      - 0
    .max_flat_workgroup_size: 1024
    .name:           _ZN9rocsolver6v33100L8set_diagI19rocblas_complex_numIdEidPS3_TnNSt9enable_ifIXaa18rocblas_is_complexIT_Ent18rocblas_is_complexIT1_EEiE4typeELi0EEEvPS7_llT2_lT0_lSC_b
    .private_segment_fixed_size: 0
    .sgpr_count:     19
    .sgpr_spill_count: 0
    .symbol:         _ZN9rocsolver6v33100L8set_diagI19rocblas_complex_numIdEidPS3_TnNSt9enable_ifIXaa18rocblas_is_complexIT_Ent18rocblas_is_complexIT1_EEiE4typeELi0EEEvPS7_llT2_lT0_lSC_b.kd
    .uniform_work_group_size: 1
    .uses_dynamic_stack: false
    .vgpr_count:     6
    .vgpr_spill_count: 0
    .wavefront_size: 32
    .workgroup_processor_mode: 1
  - .args:
      - .address_space:  global
        .offset:         0
        .size:           8
        .value_kind:     global_buffer
      - .offset:         8
        .size:           8
        .value_kind:     by_value
      - .address_space:  global
        .offset:         16
        .size:           8
        .value_kind:     global_buffer
      - .address_space:  global
        .offset:         24
        .size:           8
        .value_kind:     global_buffer
      - .offset:         32
        .size:           8
        .value_kind:     by_value
      - .offset:         40
        .size:           8
        .value_kind:     by_value
      - .address_space:  global
        .offset:         48
        .size:           8
        .value_kind:     global_buffer
      - .offset:         56
        .size:           8
        .value_kind:     by_value
      - .offset:         64
        .size:           8
        .value_kind:     by_value
    .group_segment_fixed_size: 0
    .kernarg_segment_align: 8
    .kernarg_segment_size: 72
    .language:       OpenCL C
    .language_version:
      - 2
      - 0
    .max_flat_workgroup_size: 1024
    .name:           _ZN9rocsolver6v33100L11set_taubetaI19rocblas_complex_numIdEidPS3_EEvPT_lS6_T2_llPT1_ll
    .private_segment_fixed_size: 0
    .sgpr_count:     24
    .sgpr_spill_count: 0
    .symbol:         _ZN9rocsolver6v33100L11set_taubetaI19rocblas_complex_numIdEidPS3_EEvPT_lS6_T2_llPT1_ll.kd
    .uniform_work_group_size: 1
    .uses_dynamic_stack: false
    .vgpr_count:     40
    .vgpr_spill_count: 0
    .wavefront_size: 32
    .workgroup_processor_mode: 1
  - .args:
      - .offset:         0
        .size:           4
        .value_kind:     by_value
      - .offset:         4
        .size:           4
        .value_kind:     by_value
      - .address_space:  global
        .offset:         8
        .size:           8
        .value_kind:     global_buffer
      - .offset:         16
        .size:           8
        .value_kind:     by_value
      - .offset:         24
        .size:           4
        .value_kind:     by_value
      - .offset:         32
        .size:           8
        .value_kind:     by_value
      - .offset:         40
        .size:           4
        .value_kind:     hidden_block_count_x
      - .offset:         44
        .size:           4
        .value_kind:     hidden_block_count_y
      - .offset:         48
        .size:           4
        .value_kind:     hidden_block_count_z
      - .offset:         52
        .size:           2
        .value_kind:     hidden_group_size_x
      - .offset:         54
        .size:           2
        .value_kind:     hidden_group_size_y
      - .offset:         56
        .size:           2
        .value_kind:     hidden_group_size_z
      - .offset:         58
        .size:           2
        .value_kind:     hidden_remainder_x
      - .offset:         60
        .size:           2
        .value_kind:     hidden_remainder_y
      - .offset:         62
        .size:           2
        .value_kind:     hidden_remainder_z
      - .offset:         80
        .size:           8
        .value_kind:     hidden_global_offset_x
      - .offset:         88
        .size:           8
        .value_kind:     hidden_global_offset_y
      - .offset:         96
        .size:           8
        .value_kind:     hidden_global_offset_z
      - .offset:         104
        .size:           2
        .value_kind:     hidden_grid_dims
    .group_segment_fixed_size: 0
    .kernarg_segment_align: 8
    .kernarg_segment_size: 296
    .language:       OpenCL C
    .language_version:
      - 2
      - 0
    .max_flat_workgroup_size: 1024
    .name:           _ZN9rocsolver6v33100L13conj_in_placeI19rocblas_complex_numIdEiPS3_TnNSt9enable_ifIX18rocblas_is_complexIT_EEiE4typeELi0EEEvT0_S9_T1_lS9_l
    .private_segment_fixed_size: 0
    .sgpr_count:     18
    .sgpr_spill_count: 0
    .symbol:         _ZN9rocsolver6v33100L13conj_in_placeI19rocblas_complex_numIdEiPS3_TnNSt9enable_ifIX18rocblas_is_complexIT_EEiE4typeELi0EEEvT0_S9_T1_lS9_l.kd
    .uniform_work_group_size: 1
    .uses_dynamic_stack: false
    .vgpr_count:     8
    .vgpr_spill_count: 0
    .wavefront_size: 32
    .workgroup_processor_mode: 1
  - .args:
      - .offset:         0
        .size:           4
        .value_kind:     by_value
      - .offset:         4
        .size:           4
        .value_kind:     by_value
      - .address_space:  global
        .offset:         8
        .size:           8
        .value_kind:     global_buffer
      - .offset:         16
        .size:           8
        .value_kind:     by_value
      - .offset:         24
        .size:           4
        .value_kind:     by_value
      - .offset:         32
        .size:           8
        .value_kind:     by_value
      - .address_space:  global
        .offset:         40
        .size:           8
        .value_kind:     global_buffer
      - .offset:         48
        .size:           8
        .value_kind:     by_value
      - .address_space:  global
        .offset:         56
        .size:           8
        .value_kind:     global_buffer
      - .offset:         64
        .size:           8
        .value_kind:     by_value
      - .offset:         72
        .size:           4
        .value_kind:     by_value
      - .offset:         80
        .size:           8
        .value_kind:     by_value
    .group_segment_fixed_size: 0
    .kernarg_segment_align: 8
    .kernarg_segment_size: 88
    .language:       OpenCL C
    .language_version:
      - 2
      - 0
    .max_flat_workgroup_size: 1024
    .name:           _ZN9rocsolver6v33100L16larf_left_kernelILi1024E19rocblas_complex_numIdEiPS3_EEvT1_S5_T2_lS5_lPKT0_lS6_lS5_l
    .private_segment_fixed_size: 0
    .sgpr_count:     32
    .sgpr_spill_count: 0
    .symbol:         _ZN9rocsolver6v33100L16larf_left_kernelILi1024E19rocblas_complex_numIdEiPS3_EEvT1_S5_T2_lS5_lPKT0_lS6_lS5_l.kd
    .uniform_work_group_size: 1
    .uses_dynamic_stack: false
    .vgpr_count:     20
    .vgpr_spill_count: 0
    .wavefront_size: 32
    .workgroup_processor_mode: 1
  - .args:
      - .offset:         0
        .size:           4
        .value_kind:     by_value
      - .offset:         4
        .size:           4
        .value_kind:     by_value
      - .address_space:  global
        .offset:         8
        .size:           8
        .value_kind:     global_buffer
      - .offset:         16
        .size:           8
        .value_kind:     by_value
      - .offset:         24
        .size:           4
        .value_kind:     by_value
      - .offset:         32
        .size:           8
        .value_kind:     by_value
      - .address_space:  global
        .offset:         40
        .size:           8
        .value_kind:     global_buffer
      - .offset:         48
        .size:           8
        .value_kind:     by_value
      - .address_space:  global
        .offset:         56
        .size:           8
        .value_kind:     global_buffer
      - .offset:         64
        .size:           8
        .value_kind:     by_value
      - .offset:         72
        .size:           4
        .value_kind:     by_value
      - .offset:         80
        .size:           8
        .value_kind:     by_value
    .group_segment_fixed_size: 0
    .kernarg_segment_align: 8
    .kernarg_segment_size: 88
    .language:       OpenCL C
    .language_version:
      - 2
      - 0
    .max_flat_workgroup_size: 1024
    .name:           _ZN9rocsolver6v33100L17larf_right_kernelILi1024E19rocblas_complex_numIdEiPS3_EEvT1_S5_T2_lS5_lPKT0_lS6_lS5_l
    .private_segment_fixed_size: 0
    .sgpr_count:     36
    .sgpr_spill_count: 0
    .symbol:         _ZN9rocsolver6v33100L17larf_right_kernelILi1024E19rocblas_complex_numIdEiPS3_EEvT1_S5_T2_lS5_lPKT0_lS6_lS5_l.kd
    .uniform_work_group_size: 1
    .uses_dynamic_stack: false
    .vgpr_count:     20
    .vgpr_spill_count: 0
    .wavefront_size: 32
    .workgroup_processor_mode: 1
  - .args:
      - .address_space:  global
        .offset:         0
        .size:           8
        .value_kind:     global_buffer
      - .offset:         8
        .size:           8
        .value_kind:     by_value
      - .offset:         16
        .size:           8
        .value_kind:     by_value
      - .address_space:  global
        .offset:         24
        .size:           8
        .value_kind:     global_buffer
      - .offset:         32
        .size:           8
        .value_kind:     by_value
      - .offset:         40
        .size:           4
        .value_kind:     by_value
      - .offset:         48
        .size:           8
        .value_kind:     by_value
      - .offset:         56
        .size:           4
        .value_kind:     by_value
      - .offset:         64
        .size:           4
        .value_kind:     hidden_block_count_x
      - .offset:         68
        .size:           4
        .value_kind:     hidden_block_count_y
      - .offset:         72
        .size:           4
        .value_kind:     hidden_block_count_z
      - .offset:         76
        .size:           2
        .value_kind:     hidden_group_size_x
      - .offset:         78
        .size:           2
        .value_kind:     hidden_group_size_y
      - .offset:         80
        .size:           2
        .value_kind:     hidden_group_size_z
      - .offset:         82
        .size:           2
        .value_kind:     hidden_remainder_x
      - .offset:         84
        .size:           2
        .value_kind:     hidden_remainder_y
      - .offset:         86
        .size:           2
        .value_kind:     hidden_remainder_z
      - .offset:         104
        .size:           8
        .value_kind:     hidden_global_offset_x
      - .offset:         112
        .size:           8
        .value_kind:     hidden_global_offset_y
      - .offset:         120
        .size:           8
        .value_kind:     hidden_global_offset_z
      - .offset:         128
        .size:           2
        .value_kind:     hidden_grid_dims
    .group_segment_fixed_size: 0
    .kernarg_segment_align: 8
    .kernarg_segment_size: 320
    .language:       OpenCL C
    .language_version:
      - 2
      - 0
    .max_flat_workgroup_size: 1024
    .name:           _ZN9rocsolver6v33100L12restore_diagI19rocblas_complex_numIdEidPS3_EEvPT1_llT2_lT0_lS8_
    .private_segment_fixed_size: 0
    .sgpr_count:     19
    .sgpr_spill_count: 0
    .symbol:         _ZN9rocsolver6v33100L12restore_diagI19rocblas_complex_numIdEidPS3_EEvPT1_llT2_lT0_lS8_.kd
    .uniform_work_group_size: 1
    .uses_dynamic_stack: false
    .vgpr_count:     7
    .vgpr_spill_count: 0
    .wavefront_size: 32
    .workgroup_processor_mode: 1
  - .args:
      - .offset:         0
        .size:           4
        .value_kind:     by_value
      - .offset:         4
        .size:           4
        .value_kind:     by_value
      - .address_space:  global
        .offset:         8
        .size:           8
        .value_kind:     global_buffer
      - .offset:         16
        .size:           4
        .value_kind:     by_value
      - .offset:         20
        .size:           4
        .value_kind:     by_value
      - .offset:         24
        .size:           8
        .value_kind:     by_value
      - .address_space:  global
        .offset:         32
        .size:           8
        .value_kind:     global_buffer
      - .offset:         40
        .size:           8
        .value_kind:     by_value
      - .address_space:  global
        .offset:         48
        .size:           8
        .value_kind:     global_buffer
      - .offset:         56
        .size:           4
        .value_kind:     by_value
      - .offset:         64
        .size:           8
        .value_kind:     by_value
      - .offset:         72
        .size:           4
        .value_kind:     by_value
      - .offset:         76
        .size:           4
        .value_kind:     by_value
      - .offset:         80
        .size:           1
        .value_kind:     by_value
      - .offset:         88
        .size:           4
        .value_kind:     hidden_block_count_x
      - .offset:         92
        .size:           4
        .value_kind:     hidden_block_count_y
      - .offset:         96
        .size:           4
        .value_kind:     hidden_block_count_z
      - .offset:         100
        .size:           2
        .value_kind:     hidden_group_size_x
      - .offset:         102
        .size:           2
        .value_kind:     hidden_group_size_y
      - .offset:         104
        .size:           2
        .value_kind:     hidden_group_size_z
      - .offset:         106
        .size:           2
        .value_kind:     hidden_remainder_x
      - .offset:         108
        .size:           2
        .value_kind:     hidden_remainder_y
      - .offset:         110
        .size:           2
        .value_kind:     hidden_remainder_z
      - .offset:         128
        .size:           8
        .value_kind:     hidden_global_offset_x
      - .offset:         136
        .size:           8
        .value_kind:     hidden_global_offset_y
      - .offset:         144
        .size:           8
        .value_kind:     hidden_global_offset_z
      - .offset:         152
        .size:           2
        .value_kind:     hidden_grid_dims
    .group_segment_fixed_size: 0
    .kernarg_segment_align: 8
    .kernarg_segment_size: 344
    .language:       OpenCL C
    .language_version:
      - 2
      - 0
    .max_flat_workgroup_size: 1024
    .name:           _ZN9rocsolver6v33100L14set_triangularI19rocblas_complex_numIdEPS3_TnNSt9enable_ifIX18rocblas_is_complexIT_EEiE4typeELi0EEEviiT0_iilPS6_lSA_il15rocblas_direct_15rocblas_storev_b
    .private_segment_fixed_size: 0
    .sgpr_count:     24
    .sgpr_spill_count: 0
    .symbol:         _ZN9rocsolver6v33100L14set_triangularI19rocblas_complex_numIdEPS3_TnNSt9enable_ifIX18rocblas_is_complexIT_EEiE4typeELi0EEEviiT0_iilPS6_lSA_il15rocblas_direct_15rocblas_storev_b.kd
    .uniform_work_group_size: 1
    .uses_dynamic_stack: false
    .vgpr_count:     21
    .vgpr_spill_count: 0
    .wavefront_size: 32
    .workgroup_processor_mode: 1
  - .args:
      - .offset:         0
        .size:           4
        .value_kind:     by_value
      - .address_space:  global
        .offset:         8
        .size:           8
        .value_kind:     global_buffer
      - .offset:         16
        .size:           8
        .value_kind:     by_value
      - .offset:         24
        .size:           4
        .value_kind:     hidden_block_count_x
      - .offset:         28
        .size:           4
        .value_kind:     hidden_block_count_y
      - .offset:         32
        .size:           4
        .value_kind:     hidden_block_count_z
      - .offset:         36
        .size:           2
        .value_kind:     hidden_group_size_x
      - .offset:         38
        .size:           2
        .value_kind:     hidden_group_size_y
      - .offset:         40
        .size:           2
        .value_kind:     hidden_group_size_z
      - .offset:         42
        .size:           2
        .value_kind:     hidden_remainder_x
      - .offset:         44
        .size:           2
        .value_kind:     hidden_remainder_y
      - .offset:         46
        .size:           2
        .value_kind:     hidden_remainder_z
      - .offset:         64
        .size:           8
        .value_kind:     hidden_global_offset_x
      - .offset:         72
        .size:           8
        .value_kind:     hidden_global_offset_y
      - .offset:         80
        .size:           8
        .value_kind:     hidden_global_offset_z
      - .offset:         88
        .size:           2
        .value_kind:     hidden_grid_dims
    .group_segment_fixed_size: 0
    .kernarg_segment_align: 8
    .kernarg_segment_size: 280
    .language:       OpenCL C
    .language_version:
      - 2
      - 0
    .max_flat_workgroup_size: 1024
    .name:           _ZN9rocsolver6v33100L7set_tauI19rocblas_complex_numIdEEEviPT_l
    .private_segment_fixed_size: 0
    .sgpr_count:     18
    .sgpr_spill_count: 0
    .symbol:         _ZN9rocsolver6v33100L7set_tauI19rocblas_complex_numIdEEEviPT_l.kd
    .uniform_work_group_size: 1
    .uses_dynamic_stack: false
    .vgpr_count:     6
    .vgpr_spill_count: 0
    .wavefront_size: 32
    .workgroup_processor_mode: 1
  - .args:
      - .offset:         0
        .size:           4
        .value_kind:     by_value
      - .offset:         4
        .size:           4
        .value_kind:     by_value
      - .offset:         8
        .size:           4
        .value_kind:     by_value
      - .address_space:  global
        .offset:         16
        .size:           8
        .value_kind:     global_buffer
      - .offset:         24
        .size:           4
        .value_kind:     by_value
      - .offset:         28
        .size:           4
        .value_kind:     by_value
      - .offset:         32
        .size:           8
        .value_kind:     by_value
      - .address_space:  global
        .offset:         40
        .size:           8
        .value_kind:     global_buffer
      - .offset:         48
        .size:           8
        .value_kind:     by_value
      - .address_space:  global
        .offset:         56
        .size:           8
        .value_kind:     global_buffer
      - .offset:         64
        .size:           4
        .value_kind:     by_value
      - .offset:         72
        .size:           8
        .value_kind:     by_value
      - .offset:         80
        .size:           4
        .value_kind:     hidden_block_count_x
      - .offset:         84
        .size:           4
        .value_kind:     hidden_block_count_y
      - .offset:         88
        .size:           4
        .value_kind:     hidden_block_count_z
      - .offset:         92
        .size:           2
        .value_kind:     hidden_group_size_x
      - .offset:         94
        .size:           2
        .value_kind:     hidden_group_size_y
      - .offset:         96
        .size:           2
        .value_kind:     hidden_group_size_z
      - .offset:         98
        .size:           2
        .value_kind:     hidden_remainder_x
      - .offset:         100
        .size:           2
        .value_kind:     hidden_remainder_y
      - .offset:         102
        .size:           2
        .value_kind:     hidden_remainder_z
      - .offset:         120
        .size:           8
        .value_kind:     hidden_global_offset_x
      - .offset:         128
        .size:           8
        .value_kind:     hidden_global_offset_y
      - .offset:         136
        .size:           8
        .value_kind:     hidden_global_offset_z
      - .offset:         144
        .size:           2
        .value_kind:     hidden_grid_dims
      - .offset:         200
        .size:           4
        .value_kind:     hidden_dynamic_lds_size
    .group_segment_fixed_size: 0
    .kernarg_segment_align: 8
    .kernarg_segment_size: 336
    .language:       OpenCL C
    .language_version:
      - 2
      - 0
    .max_flat_workgroup_size: 1024
    .name:           _ZN9rocsolver6v33100L20larft_kernel_forwardI19rocblas_complex_numIdEPS3_EEv15rocblas_storev_iiT0_iilPT_lS8_il
    .private_segment_fixed_size: 0
    .sgpr_count:     50
    .sgpr_spill_count: 0
    .symbol:         _ZN9rocsolver6v33100L20larft_kernel_forwardI19rocblas_complex_numIdEPS3_EEv15rocblas_storev_iiT0_iilPT_lS8_il.kd
    .uniform_work_group_size: 1
    .uses_dynamic_stack: false
    .vgpr_count:     27
    .vgpr_spill_count: 0
    .wavefront_size: 32
    .workgroup_processor_mode: 1
  - .args:
      - .offset:         0
        .size:           4
        .value_kind:     by_value
      - .offset:         4
        .size:           4
        .value_kind:     by_value
      - .offset:         8
        .size:           4
        .value_kind:     by_value
      - .address_space:  global
        .offset:         16
        .size:           8
        .value_kind:     global_buffer
      - .offset:         24
        .size:           4
        .value_kind:     by_value
      - .offset:         28
        .size:           4
        .value_kind:     by_value
      - .offset:         32
        .size:           8
        .value_kind:     by_value
      - .address_space:  global
        .offset:         40
        .size:           8
        .value_kind:     global_buffer
      - .offset:         48
        .size:           8
        .value_kind:     by_value
      - .address_space:  global
        .offset:         56
        .size:           8
        .value_kind:     global_buffer
      - .offset:         64
        .size:           4
        .value_kind:     by_value
      - .offset:         72
        .size:           8
        .value_kind:     by_value
      - .offset:         80
        .size:           4
        .value_kind:     hidden_block_count_x
      - .offset:         84
        .size:           4
        .value_kind:     hidden_block_count_y
      - .offset:         88
        .size:           4
        .value_kind:     hidden_block_count_z
      - .offset:         92
        .size:           2
        .value_kind:     hidden_group_size_x
      - .offset:         94
        .size:           2
        .value_kind:     hidden_group_size_y
      - .offset:         96
        .size:           2
        .value_kind:     hidden_group_size_z
      - .offset:         98
        .size:           2
        .value_kind:     hidden_remainder_x
      - .offset:         100
        .size:           2
        .value_kind:     hidden_remainder_y
      - .offset:         102
        .size:           2
        .value_kind:     hidden_remainder_z
      - .offset:         120
        .size:           8
        .value_kind:     hidden_global_offset_x
      - .offset:         128
        .size:           8
        .value_kind:     hidden_global_offset_y
      - .offset:         136
        .size:           8
        .value_kind:     hidden_global_offset_z
      - .offset:         144
        .size:           2
        .value_kind:     hidden_grid_dims
      - .offset:         200
        .size:           4
        .value_kind:     hidden_dynamic_lds_size
    .group_segment_fixed_size: 0
    .kernarg_segment_align: 8
    .kernarg_segment_size: 336
    .language:       OpenCL C
    .language_version:
      - 2
      - 0
    .max_flat_workgroup_size: 1024
    .name:           _ZN9rocsolver6v33100L21larft_kernel_backwardI19rocblas_complex_numIdEPS3_EEv15rocblas_storev_iiT0_iilPT_lS8_il
    .private_segment_fixed_size: 0
    .sgpr_count:     54
    .sgpr_spill_count: 0
    .symbol:         _ZN9rocsolver6v33100L21larft_kernel_backwardI19rocblas_complex_numIdEPS3_EEv15rocblas_storev_iiT0_iilPT_lS8_il.kd
    .uniform_work_group_size: 1
    .uses_dynamic_stack: false
    .vgpr_count:     24
    .vgpr_spill_count: 0
    .wavefront_size: 32
    .workgroup_processor_mode: 1
  - .args:
      - .offset:         0
        .size:           4
        .value_kind:     by_value
      - .offset:         4
        .size:           4
        .value_kind:     by_value
      - .address_space:  global
        .offset:         8
        .size:           8
        .value_kind:     global_buffer
      - .offset:         16
        .size:           4
        .value_kind:     by_value
      - .offset:         20
        .size:           4
        .value_kind:     by_value
      - .offset:         24
        .size:           8
        .value_kind:     by_value
      - .address_space:  global
        .offset:         32
        .size:           8
        .value_kind:     global_buffer
      - .offset:         40
        .size:           4
        .value_kind:     hidden_block_count_x
      - .offset:         44
        .size:           4
        .value_kind:     hidden_block_count_y
      - .offset:         48
        .size:           4
        .value_kind:     hidden_block_count_z
      - .offset:         52
        .size:           2
        .value_kind:     hidden_group_size_x
      - .offset:         54
        .size:           2
        .value_kind:     hidden_group_size_y
      - .offset:         56
        .size:           2
        .value_kind:     hidden_group_size_z
      - .offset:         58
        .size:           2
        .value_kind:     hidden_remainder_x
      - .offset:         60
        .size:           2
        .value_kind:     hidden_remainder_y
      - .offset:         62
        .size:           2
        .value_kind:     hidden_remainder_z
      - .offset:         80
        .size:           8
        .value_kind:     hidden_global_offset_x
      - .offset:         88
        .size:           8
        .value_kind:     hidden_global_offset_y
      - .offset:         96
        .size:           8
        .value_kind:     hidden_global_offset_z
      - .offset:         104
        .size:           2
        .value_kind:     hidden_grid_dims
    .group_segment_fixed_size: 0
    .kernarg_segment_align: 8
    .kernarg_segment_size: 296
    .language:       OpenCL C
    .language_version:
      - 2
      - 0
    .max_flat_workgroup_size: 1024
    .name:           _ZN9rocsolver6v33100L9copymatA1I19rocblas_complex_numIdEPS3_EEviiT0_iilPT_
    .private_segment_fixed_size: 0
    .sgpr_count:     18
    .sgpr_spill_count: 0
    .symbol:         _ZN9rocsolver6v33100L9copymatA1I19rocblas_complex_numIdEPS3_EEviiT0_iilPT_.kd
    .uniform_work_group_size: 1
    .uses_dynamic_stack: false
    .vgpr_count:     9
    .vgpr_spill_count: 0
    .wavefront_size: 32
    .workgroup_processor_mode: 1
  - .args:
      - .offset:         0
        .size:           4
        .value_kind:     by_value
      - .offset:         4
        .size:           4
        .value_kind:     by_value
      - .address_space:  global
        .offset:         8
        .size:           8
        .value_kind:     global_buffer
      - .offset:         16
        .size:           4
        .value_kind:     by_value
      - .offset:         20
        .size:           4
        .value_kind:     by_value
      - .offset:         24
        .size:           8
        .value_kind:     by_value
      - .address_space:  global
        .offset:         32
        .size:           8
        .value_kind:     global_buffer
      - .offset:         40
        .size:           4
        .value_kind:     hidden_block_count_x
      - .offset:         44
        .size:           4
        .value_kind:     hidden_block_count_y
      - .offset:         48
        .size:           4
        .value_kind:     hidden_block_count_z
      - .offset:         52
        .size:           2
        .value_kind:     hidden_group_size_x
      - .offset:         54
        .size:           2
        .value_kind:     hidden_group_size_y
      - .offset:         56
        .size:           2
        .value_kind:     hidden_group_size_z
      - .offset:         58
        .size:           2
        .value_kind:     hidden_remainder_x
      - .offset:         60
        .size:           2
        .value_kind:     hidden_remainder_y
      - .offset:         62
        .size:           2
        .value_kind:     hidden_remainder_z
      - .offset:         80
        .size:           8
        .value_kind:     hidden_global_offset_x
      - .offset:         88
        .size:           8
        .value_kind:     hidden_global_offset_y
      - .offset:         96
        .size:           8
        .value_kind:     hidden_global_offset_z
      - .offset:         104
        .size:           2
        .value_kind:     hidden_grid_dims
    .group_segment_fixed_size: 0
    .kernarg_segment_align: 8
    .kernarg_segment_size: 296
    .language:       OpenCL C
    .language_version:
      - 2
      - 0
    .max_flat_workgroup_size: 1024
    .name:           _ZN9rocsolver6v33100L8addmatA1I19rocblas_complex_numIdEPS3_EEviiT0_iilPT_
    .private_segment_fixed_size: 0
    .sgpr_count:     18
    .sgpr_spill_count: 0
    .symbol:         _ZN9rocsolver6v33100L8addmatA1I19rocblas_complex_numIdEPS3_EEviiT0_iilPT_.kd
    .uniform_work_group_size: 1
    .uses_dynamic_stack: false
    .vgpr_count:     10
    .vgpr_spill_count: 0
    .wavefront_size: 32
    .workgroup_processor_mode: 1
  - .args:
      - .address_space:  global
        .offset:         0
        .size:           8
        .value_kind:     global_buffer
      - .offset:         8
        .size:           8
        .value_kind:     by_value
      - .offset:         16
        .size:           8
        .value_kind:     by_value
      - .address_space:  global
        .offset:         24
        .size:           8
        .value_kind:     global_buffer
      - .offset:         32
        .size:           8
        .value_kind:     by_value
      - .offset:         40
        .size:           4
        .value_kind:     by_value
      - .offset:         48
        .size:           8
        .value_kind:     by_value
      - .offset:         56
        .size:           4
        .value_kind:     by_value
      - .offset:         60
        .size:           1
        .value_kind:     by_value
      - .offset:         64
        .size:           4
        .value_kind:     hidden_block_count_x
      - .offset:         68
        .size:           4
        .value_kind:     hidden_block_count_y
      - .offset:         72
        .size:           4
        .value_kind:     hidden_block_count_z
      - .offset:         76
        .size:           2
        .value_kind:     hidden_group_size_x
      - .offset:         78
        .size:           2
        .value_kind:     hidden_group_size_y
      - .offset:         80
        .size:           2
        .value_kind:     hidden_group_size_z
      - .offset:         82
        .size:           2
        .value_kind:     hidden_remainder_x
      - .offset:         84
        .size:           2
        .value_kind:     hidden_remainder_y
      - .offset:         86
        .size:           2
        .value_kind:     hidden_remainder_z
      - .offset:         104
        .size:           8
        .value_kind:     hidden_global_offset_x
      - .offset:         112
        .size:           8
        .value_kind:     hidden_global_offset_y
      - .offset:         120
        .size:           8
        .value_kind:     hidden_global_offset_z
      - .offset:         128
        .size:           2
        .value_kind:     hidden_grid_dims
    .group_segment_fixed_size: 0
    .kernarg_segment_align: 8
    .kernarg_segment_size: 320
    .language:       OpenCL C
    .language_version:
      - 2
      - 0
    .max_flat_workgroup_size: 1024
    .name:           _ZN9rocsolver6v33100L8set_diagI19rocblas_complex_numIdEiS3_PS3_TnNSt9enable_ifIXoont18rocblas_is_complexIT_E18rocblas_is_complexIT1_EEiE4typeELi0EEEvPS7_llT2_lT0_lSC_b
    .private_segment_fixed_size: 0
    .sgpr_count:     19
    .sgpr_spill_count: 0
    .symbol:         _ZN9rocsolver6v33100L8set_diagI19rocblas_complex_numIdEiS3_PS3_TnNSt9enable_ifIXoont18rocblas_is_complexIT_E18rocblas_is_complexIT1_EEiE4typeELi0EEEvPS7_llT2_lT0_lSC_b.kd
    .uniform_work_group_size: 1
    .uses_dynamic_stack: false
    .vgpr_count:     10
    .vgpr_spill_count: 0
    .wavefront_size: 32
    .workgroup_processor_mode: 1
  - .args:
      - .address_space:  global
        .offset:         0
        .size:           8
        .value_kind:     global_buffer
      - .offset:         8
        .size:           8
        .value_kind:     by_value
      - .offset:         16
        .size:           8
        .value_kind:     by_value
      - .address_space:  global
        .offset:         24
        .size:           8
        .value_kind:     global_buffer
      - .offset:         32
        .size:           8
        .value_kind:     by_value
      - .offset:         40
        .size:           4
        .value_kind:     by_value
      - .offset:         48
        .size:           8
        .value_kind:     by_value
      - .offset:         56
        .size:           4
        .value_kind:     by_value
      - .offset:         64
        .size:           4
        .value_kind:     hidden_block_count_x
      - .offset:         68
        .size:           4
        .value_kind:     hidden_block_count_y
      - .offset:         72
        .size:           4
        .value_kind:     hidden_block_count_z
      - .offset:         76
        .size:           2
        .value_kind:     hidden_group_size_x
      - .offset:         78
        .size:           2
        .value_kind:     hidden_group_size_y
      - .offset:         80
        .size:           2
        .value_kind:     hidden_group_size_z
      - .offset:         82
        .size:           2
        .value_kind:     hidden_remainder_x
      - .offset:         84
        .size:           2
        .value_kind:     hidden_remainder_y
      - .offset:         86
        .size:           2
        .value_kind:     hidden_remainder_z
      - .offset:         104
        .size:           8
        .value_kind:     hidden_global_offset_x
      - .offset:         112
        .size:           8
        .value_kind:     hidden_global_offset_y
      - .offset:         120
        .size:           8
        .value_kind:     hidden_global_offset_z
      - .offset:         128
        .size:           2
        .value_kind:     hidden_grid_dims
    .group_segment_fixed_size: 0
    .kernarg_segment_align: 8
    .kernarg_segment_size: 320
    .language:       OpenCL C
    .language_version:
      - 2
      - 0
    .max_flat_workgroup_size: 1024
    .name:           _ZN9rocsolver6v33100L12restore_diagI19rocblas_complex_numIdEiS3_PS3_EEvPT1_llT2_lT0_lS8_
    .private_segment_fixed_size: 0
    .sgpr_count:     19
    .sgpr_spill_count: 0
    .symbol:         _ZN9rocsolver6v33100L12restore_diagI19rocblas_complex_numIdEiS3_PS3_EEvPT1_llT2_lT0_lS8_.kd
    .uniform_work_group_size: 1
    .uses_dynamic_stack: false
    .vgpr_count:     6
    .vgpr_spill_count: 0
    .wavefront_size: 32
    .workgroup_processor_mode: 1
  - .args:
      - .offset:         0
        .size:           4
        .value_kind:     by_value
      - .offset:         4
        .size:           4
        .value_kind:     by_value
      - .address_space:  global
        .offset:         8
        .size:           8
        .value_kind:     global_buffer
      - .offset:         16
        .size:           4
        .value_kind:     by_value
      - .offset:         20
        .size:           4
        .value_kind:     by_value
      - .offset:         24
        .size:           8
        .value_kind:     by_value
      - .offset:         32
        .size:           4
        .value_kind:     by_value
      - .offset:         40
        .size:           4
        .value_kind:     hidden_block_count_x
      - .offset:         44
        .size:           4
        .value_kind:     hidden_block_count_y
      - .offset:         48
        .size:           4
        .value_kind:     hidden_block_count_z
      - .offset:         52
        .size:           2
        .value_kind:     hidden_group_size_x
      - .offset:         54
        .size:           2
        .value_kind:     hidden_group_size_y
      - .offset:         56
        .size:           2
        .value_kind:     hidden_group_size_z
      - .offset:         58
        .size:           2
        .value_kind:     hidden_remainder_x
      - .offset:         60
        .size:           2
        .value_kind:     hidden_remainder_y
      - .offset:         62
        .size:           2
        .value_kind:     hidden_remainder_z
      - .offset:         80
        .size:           8
        .value_kind:     hidden_global_offset_x
      - .offset:         88
        .size:           8
        .value_kind:     hidden_global_offset_y
      - .offset:         96
        .size:           8
        .value_kind:     hidden_global_offset_z
      - .offset:         104
        .size:           2
        .value_kind:     hidden_grid_dims
    .group_segment_fixed_size: 0
    .kernarg_segment_align: 8
    .kernarg_segment_size: 296
    .language:       OpenCL C
    .language_version:
      - 2
      - 0
    .max_flat_workgroup_size: 1024
    .name:           _ZN9rocsolver6v33100L8set_zeroI19rocblas_complex_numIdEPS3_EEviiT0_iil13rocblas_fill_
    .private_segment_fixed_size: 0
    .sgpr_count:     18
    .sgpr_spill_count: 0
    .symbol:         _ZN9rocsolver6v33100L8set_zeroI19rocblas_complex_numIdEPS3_EEviiT0_iil13rocblas_fill_.kd
    .uniform_work_group_size: 1
    .uses_dynamic_stack: false
    .vgpr_count:     6
    .vgpr_spill_count: 0
    .wavefront_size: 32
    .workgroup_processor_mode: 1
  - .args:
      - .offset:         0
        .size:           4
        .value_kind:     by_value
      - .offset:         4
        .size:           4
        .value_kind:     by_value
      - .offset:         8
        .size:           4
        .value_kind:     by_value
      - .address_space:  global
        .offset:         16
        .size:           8
        .value_kind:     global_buffer
      - .offset:         24
        .size:           4
        .value_kind:     by_value
      - .offset:         28
        .size:           4
        .value_kind:     by_value
      - .offset:         32
        .size:           8
        .value_kind:     by_value
      - .offset:         40
        .size:           4
        .value_kind:     hidden_block_count_x
      - .offset:         44
        .size:           4
        .value_kind:     hidden_block_count_y
      - .offset:         48
        .size:           4
        .value_kind:     hidden_block_count_z
      - .offset:         52
        .size:           2
        .value_kind:     hidden_group_size_x
      - .offset:         54
        .size:           2
        .value_kind:     hidden_group_size_y
      - .offset:         56
        .size:           2
        .value_kind:     hidden_group_size_z
      - .offset:         58
        .size:           2
        .value_kind:     hidden_remainder_x
      - .offset:         60
        .size:           2
        .value_kind:     hidden_remainder_y
      - .offset:         62
        .size:           2
        .value_kind:     hidden_remainder_z
      - .offset:         80
        .size:           8
        .value_kind:     hidden_global_offset_x
      - .offset:         88
        .size:           8
        .value_kind:     hidden_global_offset_y
      - .offset:         96
        .size:           8
        .value_kind:     hidden_global_offset_z
      - .offset:         104
        .size:           2
        .value_kind:     hidden_grid_dims
    .group_segment_fixed_size: 0
    .kernarg_segment_align: 8
    .kernarg_segment_size: 296
    .language:       OpenCL C
    .language_version:
      - 2
      - 0
    .max_flat_workgroup_size: 1024
    .name:           _ZN9rocsolver6v33100L16org2r_init_identI19rocblas_complex_numIdEPS3_EEviiiT0_iil
    .private_segment_fixed_size: 0
    .sgpr_count:     18
    .sgpr_spill_count: 0
    .symbol:         _ZN9rocsolver6v33100L16org2r_init_identI19rocblas_complex_numIdEPS3_EEviiiT0_iil.kd
    .uniform_work_group_size: 1
    .uses_dynamic_stack: false
    .vgpr_count:     7
    .vgpr_spill_count: 0
    .wavefront_size: 32
    .workgroup_processor_mode: 1
  - .args:
      - .offset:         0
        .size:           4
        .value_kind:     by_value
      - .offset:         4
        .size:           4
        .value_kind:     by_value
      - .address_space:  global
        .offset:         8
        .size:           8
        .value_kind:     global_buffer
      - .offset:         16
        .size:           4
        .value_kind:     by_value
      - .offset:         20
        .size:           4
        .value_kind:     by_value
      - .offset:         24
        .size:           8
        .value_kind:     by_value
      - .address_space:  global
        .offset:         32
        .size:           8
        .value_kind:     global_buffer
      - .offset:         40
        .size:           8
        .value_kind:     by_value
    .group_segment_fixed_size: 0
    .kernarg_segment_align: 8
    .kernarg_segment_size: 48
    .language:       OpenCL C
    .language_version:
      - 2
      - 0
    .max_flat_workgroup_size: 1024
    .name:           _ZN9rocsolver6v33100L12subtract_tauI19rocblas_complex_numIdEPS3_EEviiT0_iilPT_l
    .private_segment_fixed_size: 0
    .sgpr_count:     16
    .sgpr_spill_count: 0
    .symbol:         _ZN9rocsolver6v33100L12subtract_tauI19rocblas_complex_numIdEPS3_EEviiT0_iilPT_l.kd
    .uniform_work_group_size: 1
    .uses_dynamic_stack: false
    .vgpr_count:     5
    .vgpr_spill_count: 0
    .wavefront_size: 32
    .workgroup_processor_mode: 1
  - .args:
      - .offset:         0
        .size:           4
        .value_kind:     by_value
      - .address_space:  global
        .offset:         8
        .size:           8
        .value_kind:     global_buffer
      - .offset:         16
        .size:           8
        .value_kind:     by_value
      - .offset:         24
        .size:           4
        .value_kind:     hidden_block_count_x
      - .offset:         28
        .size:           4
        .value_kind:     hidden_block_count_y
      - .offset:         32
        .size:           4
        .value_kind:     hidden_block_count_z
      - .offset:         36
        .size:           2
        .value_kind:     hidden_group_size_x
      - .offset:         38
        .size:           2
        .value_kind:     hidden_group_size_y
      - .offset:         40
        .size:           2
        .value_kind:     hidden_group_size_z
      - .offset:         42
        .size:           2
        .value_kind:     hidden_remainder_x
      - .offset:         44
        .size:           2
        .value_kind:     hidden_remainder_y
      - .offset:         46
        .size:           2
        .value_kind:     hidden_remainder_z
      - .offset:         64
        .size:           8
        .value_kind:     hidden_global_offset_x
      - .offset:         72
        .size:           8
        .value_kind:     hidden_global_offset_y
      - .offset:         80
        .size:           8
        .value_kind:     hidden_global_offset_z
      - .offset:         88
        .size:           2
        .value_kind:     hidden_grid_dims
    .group_segment_fixed_size: 0
    .kernarg_segment_align: 8
    .kernarg_segment_size: 280
    .language:       OpenCL C
    .language_version:
      - 2
      - 0
    .max_flat_workgroup_size: 1024
    .name:           _ZN9rocsolver6v33100L6restauI19rocblas_complex_numIdEEEviPT_l
    .private_segment_fixed_size: 0
    .sgpr_count:     18
    .sgpr_spill_count: 0
    .symbol:         _ZN9rocsolver6v33100L6restauI19rocblas_complex_numIdEEEviPT_l.kd
    .uniform_work_group_size: 1
    .uses_dynamic_stack: false
    .vgpr_count:     6
    .vgpr_spill_count: 0
    .wavefront_size: 32
    .workgroup_processor_mode: 1
  - .args:
      - .offset:         0
        .size:           1
        .value_kind:     by_value
      - .offset:         4
        .size:           4
        .value_kind:     by_value
      - .address_space:  global
        .offset:         8
        .size:           8
        .value_kind:     global_buffer
      - .offset:         16
        .size:           4
        .value_kind:     by_value
      - .offset:         20
        .size:           4
        .value_kind:     by_value
      - .offset:         24
        .size:           8
        .value_kind:     by_value
      - .address_space:  global
        .offset:         32
        .size:           8
        .value_kind:     global_buffer
      - .offset:         40
        .size:           4
        .value_kind:     by_value
      - .offset:         44
        .size:           4
        .value_kind:     by_value
      - .offset:         48
        .size:           8
        .value_kind:     by_value
      - .offset:         56
        .size:           4
        .value_kind:     hidden_block_count_x
      - .offset:         60
        .size:           4
        .value_kind:     hidden_block_count_y
      - .offset:         64
        .size:           4
        .value_kind:     hidden_block_count_z
      - .offset:         68
        .size:           2
        .value_kind:     hidden_group_size_x
      - .offset:         70
        .size:           2
        .value_kind:     hidden_group_size_y
      - .offset:         72
        .size:           2
        .value_kind:     hidden_group_size_z
      - .offset:         74
        .size:           2
        .value_kind:     hidden_remainder_x
      - .offset:         76
        .size:           2
        .value_kind:     hidden_remainder_y
      - .offset:         78
        .size:           2
        .value_kind:     hidden_remainder_z
      - .offset:         96
        .size:           8
        .value_kind:     hidden_global_offset_x
      - .offset:         104
        .size:           8
        .value_kind:     hidden_global_offset_y
      - .offset:         112
        .size:           8
        .value_kind:     hidden_global_offset_z
      - .offset:         120
        .size:           2
        .value_kind:     hidden_grid_dims
    .group_segment_fixed_size: 0
    .kernarg_segment_align: 8
    .kernarg_segment_size: 312
    .language:       OpenCL C
    .language_version:
      - 2
      - 0
    .max_flat_workgroup_size: 1024
    .name:           _ZN9rocsolver6v33100L15copyshift_rightI19rocblas_complex_numIdEPS3_EEvbiT0_iilPT_iil
    .private_segment_fixed_size: 0
    .sgpr_count:     20
    .sgpr_spill_count: 0
    .symbol:         _ZN9rocsolver6v33100L15copyshift_rightI19rocblas_complex_numIdEPS3_EEvbiT0_iilPT_iil.kd
    .uniform_work_group_size: 1
    .uses_dynamic_stack: false
    .vgpr_count:     13
    .vgpr_spill_count: 0
    .wavefront_size: 32
    .workgroup_processor_mode: 1
  - .args:
      - .offset:         0
        .size:           4
        .value_kind:     by_value
      - .offset:         4
        .size:           4
        .value_kind:     by_value
      - .offset:         8
        .size:           4
        .value_kind:     by_value
      - .address_space:  global
        .offset:         16
        .size:           8
        .value_kind:     global_buffer
      - .offset:         24
        .size:           4
        .value_kind:     by_value
      - .offset:         28
        .size:           4
        .value_kind:     by_value
      - .offset:         32
        .size:           8
        .value_kind:     by_value
      - .offset:         40
        .size:           4
        .value_kind:     hidden_block_count_x
      - .offset:         44
        .size:           4
        .value_kind:     hidden_block_count_y
      - .offset:         48
        .size:           4
        .value_kind:     hidden_block_count_z
      - .offset:         52
        .size:           2
        .value_kind:     hidden_group_size_x
      - .offset:         54
        .size:           2
        .value_kind:     hidden_group_size_y
      - .offset:         56
        .size:           2
        .value_kind:     hidden_group_size_z
      - .offset:         58
        .size:           2
        .value_kind:     hidden_remainder_x
      - .offset:         60
        .size:           2
        .value_kind:     hidden_remainder_y
      - .offset:         62
        .size:           2
        .value_kind:     hidden_remainder_z
      - .offset:         80
        .size:           8
        .value_kind:     hidden_global_offset_x
      - .offset:         88
        .size:           8
        .value_kind:     hidden_global_offset_y
      - .offset:         96
        .size:           8
        .value_kind:     hidden_global_offset_z
      - .offset:         104
        .size:           2
        .value_kind:     hidden_grid_dims
    .group_segment_fixed_size: 0
    .kernarg_segment_align: 8
    .kernarg_segment_size: 296
    .language:       OpenCL C
    .language_version:
      - 2
      - 0
    .max_flat_workgroup_size: 1024
    .name:           _ZN9rocsolver6v33100L16orgl2_init_identI19rocblas_complex_numIdEPS3_EEviiiT0_iil
    .private_segment_fixed_size: 0
    .sgpr_count:     18
    .sgpr_spill_count: 0
    .symbol:         _ZN9rocsolver6v33100L16orgl2_init_identI19rocblas_complex_numIdEPS3_EEviiiT0_iil.kd
    .uniform_work_group_size: 1
    .uses_dynamic_stack: false
    .vgpr_count:     7
    .vgpr_spill_count: 0
    .wavefront_size: 32
    .workgroup_processor_mode: 1
  - .args:
      - .offset:         0
        .size:           1
        .value_kind:     by_value
      - .offset:         4
        .size:           4
        .value_kind:     by_value
      - .address_space:  global
        .offset:         8
        .size:           8
        .value_kind:     global_buffer
      - .offset:         16
        .size:           4
        .value_kind:     by_value
      - .offset:         20
        .size:           4
        .value_kind:     by_value
      - .offset:         24
        .size:           8
        .value_kind:     by_value
      - .address_space:  global
        .offset:         32
        .size:           8
        .value_kind:     global_buffer
      - .offset:         40
        .size:           4
        .value_kind:     by_value
      - .offset:         44
        .size:           4
        .value_kind:     by_value
      - .offset:         48
        .size:           8
        .value_kind:     by_value
      - .offset:         56
        .size:           4
        .value_kind:     hidden_block_count_x
      - .offset:         60
        .size:           4
        .value_kind:     hidden_block_count_y
      - .offset:         64
        .size:           4
        .value_kind:     hidden_block_count_z
      - .offset:         68
        .size:           2
        .value_kind:     hidden_group_size_x
      - .offset:         70
        .size:           2
        .value_kind:     hidden_group_size_y
      - .offset:         72
        .size:           2
        .value_kind:     hidden_group_size_z
      - .offset:         74
        .size:           2
        .value_kind:     hidden_remainder_x
      - .offset:         76
        .size:           2
        .value_kind:     hidden_remainder_y
      - .offset:         78
        .size:           2
        .value_kind:     hidden_remainder_z
      - .offset:         96
        .size:           8
        .value_kind:     hidden_global_offset_x
      - .offset:         104
        .size:           8
        .value_kind:     hidden_global_offset_y
      - .offset:         112
        .size:           8
        .value_kind:     hidden_global_offset_z
      - .offset:         120
        .size:           2
        .value_kind:     hidden_grid_dims
    .group_segment_fixed_size: 0
    .kernarg_segment_align: 8
    .kernarg_segment_size: 312
    .language:       OpenCL C
    .language_version:
      - 2
      - 0
    .max_flat_workgroup_size: 1024
    .name:           _ZN9rocsolver6v33100L14copyshift_downI19rocblas_complex_numIdEPS3_EEvbiT0_iilPT_iil
    .private_segment_fixed_size: 0
    .sgpr_count:     19
    .sgpr_spill_count: 0
    .symbol:         _ZN9rocsolver6v33100L14copyshift_downI19rocblas_complex_numIdEPS3_EEvbiT0_iilPT_iil.kd
    .uniform_work_group_size: 1
    .uses_dynamic_stack: false
    .vgpr_count:     12
    .vgpr_spill_count: 0
    .wavefront_size: 32
    .workgroup_processor_mode: 1
  - .args:
      - .offset:         0
        .size:           4
        .value_kind:     by_value
      - .address_space:  global
        .offset:         8
        .size:           8
        .value_kind:     global_buffer
      - .offset:         16
        .size:           8
        .value_kind:     by_value
      - .address_space:  global
        .offset:         24
        .size:           8
        .value_kind:     global_buffer
      - .offset:         32
        .size:           8
        .value_kind:     by_value
      - .address_space:  global
        .offset:         40
        .size:           8
        .value_kind:     global_buffer
      - .offset:         48
        .size:           4
        .value_kind:     by_value
      - .offset:         56
        .size:           8
        .value_kind:     by_value
      - .offset:         64
        .size:           8
        .value_kind:     by_value
      - .address_space:  global
        .offset:         72
        .size:           8
        .value_kind:     global_buffer
      - .address_space:  global
        .offset:         80
        .size:           8
        .value_kind:     global_buffer
      - .offset:         88
        .size:           8
        .value_kind:     by_value
      - .address_space:  global
        .offset:         96
        .size:           8
        .value_kind:     global_buffer
    .group_segment_fixed_size: 0
    .kernarg_segment_align: 8
    .kernarg_segment_size: 104
    .language:       OpenCL C
    .language_version:
      - 2
      - 0
    .max_flat_workgroup_size: 1024
    .name:           _ZN9rocsolver6v33100L10bdsqr_initI19rocblas_complex_numIdEdEEviPT0_lS5_lPiiS4_S4_S6_S5_lS6_
    .private_segment_fixed_size: 0
    .sgpr_count:     38
    .sgpr_spill_count: 0
    .symbol:         _ZN9rocsolver6v33100L10bdsqr_initI19rocblas_complex_numIdEdEEviPT0_lS5_lPiiS4_S4_S6_S5_lS6_.kd
    .uniform_work_group_size: 1
    .uses_dynamic_stack: false
    .vgpr_count:     14
    .vgpr_spill_count: 0
    .wavefront_size: 32
    .workgroup_processor_mode: 1
  - .args:
      - .offset:         0
        .size:           4
        .value_kind:     by_value
      - .address_space:  global
        .offset:         8
        .size:           8
        .value_kind:     global_buffer
      - .offset:         16
        .size:           4
        .value_kind:     by_value
      - .address_space:  global
        .offset:         24
        .size:           8
        .value_kind:     global_buffer
      - .offset:         32
        .size:           4
        .value_kind:     by_value
      - .offset:         40
        .size:           4
        .value_kind:     hidden_block_count_x
      - .offset:         44
        .size:           4
        .value_kind:     hidden_block_count_y
      - .offset:         48
        .size:           4
        .value_kind:     hidden_block_count_z
      - .offset:         52
        .size:           2
        .value_kind:     hidden_group_size_x
      - .offset:         54
        .size:           2
        .value_kind:     hidden_group_size_y
      - .offset:         56
        .size:           2
        .value_kind:     hidden_group_size_z
      - .offset:         58
        .size:           2
        .value_kind:     hidden_remainder_x
      - .offset:         60
        .size:           2
        .value_kind:     hidden_remainder_y
      - .offset:         62
        .size:           2
        .value_kind:     hidden_remainder_z
      - .offset:         80
        .size:           8
        .value_kind:     hidden_global_offset_x
      - .offset:         88
        .size:           8
        .value_kind:     hidden_global_offset_y
      - .offset:         96
        .size:           8
        .value_kind:     hidden_global_offset_z
      - .offset:         104
        .size:           2
        .value_kind:     hidden_grid_dims
    .group_segment_fixed_size: 32768
    .kernarg_segment_align: 8
    .kernarg_segment_size: 296
    .language:       OpenCL C
    .language_version:
      - 2
      - 0
    .max_flat_workgroup_size: 1024
    .name:           _ZN9rocsolver6v33100L11swap_kernelI19rocblas_complex_numIdEiEEvT0_PT_S4_S6_S4_
    .private_segment_fixed_size: 0
    .sgpr_count:     18
    .sgpr_spill_count: 0
    .symbol:         _ZN9rocsolver6v33100L11swap_kernelI19rocblas_complex_numIdEiEEvT0_PT_S4_S6_S4_.kd
    .uniform_work_group_size: 1
    .uses_dynamic_stack: false
    .vgpr_count:     16
    .vgpr_spill_count: 0
    .wavefront_size: 32
    .workgroup_processor_mode: 1
  - .args:
      - .offset:         0
        .size:           4
        .value_kind:     by_value
      - .address_space:  global
        .offset:         8
        .size:           8
        .value_kind:     global_buffer
      - .offset:         16
        .size:           4
        .value_kind:     by_value
      - .address_space:  global
        .offset:         24
        .size:           8
        .value_kind:     global_buffer
      - .offset:         32
        .size:           4
        .value_kind:     by_value
      - .offset:         40
        .size:           8
        .value_kind:     by_value
      - .offset:         48
        .size:           8
        .value_kind:     by_value
      - .offset:         56
        .size:           4
        .value_kind:     hidden_block_count_x
      - .offset:         60
        .size:           4
        .value_kind:     hidden_block_count_y
      - .offset:         64
        .size:           4
        .value_kind:     hidden_block_count_z
      - .offset:         68
        .size:           2
        .value_kind:     hidden_group_size_x
      - .offset:         70
        .size:           2
        .value_kind:     hidden_group_size_y
      - .offset:         72
        .size:           2
        .value_kind:     hidden_group_size_z
      - .offset:         74
        .size:           2
        .value_kind:     hidden_remainder_x
      - .offset:         76
        .size:           2
        .value_kind:     hidden_remainder_y
      - .offset:         78
        .size:           2
        .value_kind:     hidden_remainder_z
      - .offset:         96
        .size:           8
        .value_kind:     hidden_global_offset_x
      - .offset:         104
        .size:           8
        .value_kind:     hidden_global_offset_y
      - .offset:         112
        .size:           8
        .value_kind:     hidden_global_offset_z
      - .offset:         120
        .size:           2
        .value_kind:     hidden_grid_dims
    .group_segment_fixed_size: 0
    .kernarg_segment_align: 8
    .kernarg_segment_size: 312
    .language:       OpenCL C
    .language_version:
      - 2
      - 0
    .max_flat_workgroup_size: 1024
    .name:           _ZN9rocsolver6v33100L10rot_kernelId19rocblas_complex_numIdEiEEvT1_PT0_S4_S6_S4_T_S7_
    .private_segment_fixed_size: 0
    .sgpr_count:     22
    .sgpr_spill_count: 0
    .symbol:         _ZN9rocsolver6v33100L10rot_kernelId19rocblas_complex_numIdEiEEvT1_PT0_S4_S6_S4_T_S7_.kd
    .uniform_work_group_size: 1
    .uses_dynamic_stack: false
    .vgpr_count:     24
    .vgpr_spill_count: 0
    .wavefront_size: 32
    .workgroup_processor_mode: 1
  - .args:
      - .offset:         0
        .size:           4
        .value_kind:     by_value
      - .offset:         4
        .size:           4
        .value_kind:     by_value
      - .offset:         8
        .size:           4
        .value_kind:     by_value
      - .offset:         12
        .size:           4
        .value_kind:     by_value
      - .offset:         16
        .size:           4
        .value_kind:     by_value
      - .address_space:  global
        .offset:         24
        .size:           8
        .value_kind:     global_buffer
      - .offset:         32
        .size:           8
        .value_kind:     by_value
      - .address_space:  global
        .offset:         40
        .size:           8
        .value_kind:     global_buffer
      - .offset:         48
        .size:           8
        .value_kind:     by_value
      - .address_space:  global
        .offset:         56
        .size:           8
        .value_kind:     global_buffer
      - .offset:         64
        .size:           8
        .value_kind:     by_value
      - .offset:         72
        .size:           4
        .value_kind:     by_value
      - .offset:         80
        .size:           8
        .value_kind:     by_value
      - .offset:         88
        .size:           4
        .value_kind:     by_value
      - .offset:         96
        .size:           4
        .value_kind:     hidden_block_count_x
      - .offset:         100
        .size:           4
        .value_kind:     hidden_block_count_y
      - .offset:         104
        .size:           4
        .value_kind:     hidden_block_count_z
      - .offset:         108
        .size:           2
        .value_kind:     hidden_group_size_x
      - .offset:         110
        .size:           2
        .value_kind:     hidden_group_size_y
      - .offset:         112
        .size:           2
        .value_kind:     hidden_group_size_z
      - .offset:         114
        .size:           2
        .value_kind:     hidden_remainder_x
      - .offset:         116
        .size:           2
        .value_kind:     hidden_remainder_y
      - .offset:         118
        .size:           2
        .value_kind:     hidden_remainder_z
      - .offset:         136
        .size:           8
        .value_kind:     hidden_global_offset_x
      - .offset:         144
        .size:           8
        .value_kind:     hidden_global_offset_y
      - .offset:         152
        .size:           8
        .value_kind:     hidden_global_offset_z
      - .offset:         160
        .size:           2
        .value_kind:     hidden_grid_dims
    .group_segment_fixed_size: 0
    .kernarg_segment_align: 8
    .kernarg_segment_size: 352
    .language:       OpenCL C
    .language_version:
      - 2
      - 0
    .max_flat_workgroup_size: 64
    .name:           _ZN9rocsolver6v33100L11lasr_kernelI19rocblas_complex_numIdEdPS3_iEEv13rocblas_side_14rocblas_pivot_15rocblas_direct_T2_S8_PT0_lSA_lT1_lS8_lS8_
    .private_segment_fixed_size: 0
    .sgpr_count:     89
    .sgpr_spill_count: 0
    .symbol:         _ZN9rocsolver6v33100L11lasr_kernelI19rocblas_complex_numIdEdPS3_iEEv13rocblas_side_14rocblas_pivot_15rocblas_direct_T2_S8_PT0_lSA_lT1_lS8_lS8_.kd
    .uniform_work_group_size: 1
    .uses_dynamic_stack: false
    .vgpr_count:     55
    .vgpr_spill_count: 0
    .wavefront_size: 32
    .workgroup_processor_mode: 1
  - .args:
      - .offset:         0
        .size:           4
        .value_kind:     by_value
      - .offset:         8
        .size:           8
        .value_kind:     by_value
      - .address_space:  global
        .offset:         16
        .size:           8
        .value_kind:     global_buffer
      - .offset:         24
        .size:           4
        .value_kind:     by_value
      - .offset:         32
        .size:           4
        .value_kind:     hidden_block_count_x
      - .offset:         36
        .size:           4
        .value_kind:     hidden_block_count_y
      - .offset:         40
        .size:           4
        .value_kind:     hidden_block_count_z
      - .offset:         44
        .size:           2
        .value_kind:     hidden_group_size_x
      - .offset:         46
        .size:           2
        .value_kind:     hidden_group_size_y
      - .offset:         48
        .size:           2
        .value_kind:     hidden_group_size_z
      - .offset:         50
        .size:           2
        .value_kind:     hidden_remainder_x
      - .offset:         52
        .size:           2
        .value_kind:     hidden_remainder_y
      - .offset:         54
        .size:           2
        .value_kind:     hidden_remainder_z
      - .offset:         72
        .size:           8
        .value_kind:     hidden_global_offset_x
      - .offset:         80
        .size:           8
        .value_kind:     hidden_global_offset_y
      - .offset:         88
        .size:           8
        .value_kind:     hidden_global_offset_z
      - .offset:         96
        .size:           2
        .value_kind:     hidden_grid_dims
    .group_segment_fixed_size: 0
    .kernarg_segment_align: 8
    .kernarg_segment_size: 288
    .language:       OpenCL C
    .language_version:
      - 2
      - 0
    .max_flat_workgroup_size: 1024
    .name:           _ZN9rocsolver6v33100L11scal_kernelId19rocblas_complex_numIdEiEEvT1_T_PT0_S4_
    .private_segment_fixed_size: 0
    .sgpr_count:     18
    .sgpr_spill_count: 0
    .symbol:         _ZN9rocsolver6v33100L11scal_kernelId19rocblas_complex_numIdEiEEvT1_T_PT0_S4_.kd
    .uniform_work_group_size: 1
    .uses_dynamic_stack: false
    .vgpr_count:     8
    .vgpr_spill_count: 0
    .wavefront_size: 32
    .workgroup_processor_mode: 1
  - .args:
      - .offset:         0
        .size:           4
        .value_kind:     by_value
      - .offset:         4
        .size:           4
        .value_kind:     by_value
      - .offset:         8
        .size:           4
        .value_kind:     by_value
      - .address_space:  global
        .offset:         16
        .size:           8
        .value_kind:     global_buffer
      - .offset:         24
        .size:           8
        .value_kind:     by_value
      - .address_space:  global
        .offset:         32
        .size:           8
        .value_kind:     global_buffer
      - .offset:         40
        .size:           8
        .value_kind:     by_value
      - .address_space:  global
        .offset:         48
        .size:           8
        .value_kind:     global_buffer
      - .offset:         56
        .size:           4
        .value_kind:     by_value
      - .offset:         60
        .size:           4
        .value_kind:     by_value
      - .offset:         64
        .size:           8
        .value_kind:     by_value
      - .address_space:  global
        .offset:         72
        .size:           8
        .value_kind:     global_buffer
      - .offset:         80
        .size:           4
        .value_kind:     by_value
      - .offset:         84
        .size:           4
        .value_kind:     by_value
      - .offset:         88
        .size:           8
        .value_kind:     by_value
      - .address_space:  global
        .offset:         96
        .size:           8
        .value_kind:     global_buffer
      - .address_space:  global
        .offset:         104
        .size:           8
        .value_kind:     global_buffer
      - .offset:         112
        .size:           8
        .value_kind:     by_value
      - .address_space:  global
        .offset:         120
        .size:           8
        .value_kind:     global_buffer
      - .offset:         128
        .size:           4
        .value_kind:     hidden_block_count_x
      - .offset:         132
        .size:           4
        .value_kind:     hidden_block_count_y
      - .offset:         136
        .size:           4
        .value_kind:     hidden_block_count_z
      - .offset:         140
        .size:           2
        .value_kind:     hidden_group_size_x
      - .offset:         142
        .size:           2
        .value_kind:     hidden_group_size_y
      - .offset:         144
        .size:           2
        .value_kind:     hidden_group_size_z
      - .offset:         146
        .size:           2
        .value_kind:     hidden_remainder_x
      - .offset:         148
        .size:           2
        .value_kind:     hidden_remainder_y
      - .offset:         150
        .size:           2
        .value_kind:     hidden_remainder_z
      - .offset:         168
        .size:           8
        .value_kind:     hidden_global_offset_x
      - .offset:         176
        .size:           8
        .value_kind:     hidden_global_offset_y
      - .offset:         184
        .size:           8
        .value_kind:     hidden_global_offset_z
      - .offset:         192
        .size:           2
        .value_kind:     hidden_grid_dims
    .group_segment_fixed_size: 0
    .kernarg_segment_align: 8
    .kernarg_segment_size: 384
    .language:       OpenCL C
    .language_version:
      - 2
      - 0
    .max_flat_workgroup_size: 1024
    .name:           _ZN9rocsolver6v33100L17bdsqr_lower2upperI19rocblas_complex_numIdEdPS3_S4_EEviiiPT0_lS6_lT1_iilT2_iilPiS6_lS9_
    .private_segment_fixed_size: 0
    .sgpr_count:     38
    .sgpr_spill_count: 0
    .symbol:         _ZN9rocsolver6v33100L17bdsqr_lower2upperI19rocblas_complex_numIdEdPS3_S4_EEviiiPT0_lS6_lT1_iilT2_iilPiS6_lS9_.kd
    .uniform_work_group_size: 1
    .uses_dynamic_stack: false
    .vgpr_count:     29
    .vgpr_spill_count: 0
    .wavefront_size: 32
    .workgroup_processor_mode: 1
  - .args:
      - .offset:         0
        .size:           4
        .value_kind:     by_value
      - .offset:         4
        .size:           4
        .value_kind:     by_value
      - .offset:         8
        .size:           4
        .value_kind:     by_value
      - .offset:         12
        .size:           4
        .value_kind:     by_value
      - .address_space:  global
        .offset:         16
        .size:           8
        .value_kind:     global_buffer
      - .offset:         24
        .size:           8
        .value_kind:     by_value
      - .address_space:  global
        .offset:         32
        .size:           8
        .value_kind:     global_buffer
      - .offset:         40
        .size:           8
        .value_kind:     by_value
      - .address_space:  global
        .offset:         48
        .size:           8
        .value_kind:     global_buffer
      - .offset:         56
        .size:           4
        .value_kind:     by_value
      - .offset:         60
        .size:           4
        .value_kind:     by_value
      - .offset:         64
        .size:           8
        .value_kind:     by_value
      - .address_space:  global
        .offset:         72
        .size:           8
        .value_kind:     global_buffer
      - .offset:         80
        .size:           4
        .value_kind:     by_value
      - .offset:         84
        .size:           4
        .value_kind:     by_value
      - .offset:         88
        .size:           8
        .value_kind:     by_value
      - .address_space:  global
        .offset:         96
        .size:           8
        .value_kind:     global_buffer
      - .offset:         104
        .size:           4
        .value_kind:     by_value
      - .offset:         108
        .size:           4
        .value_kind:     by_value
      - .offset:         112
        .size:           8
        .value_kind:     by_value
      - .offset:         120
        .size:           4
        .value_kind:     by_value
      - .offset:         128
        .size:           8
        .value_kind:     by_value
      - .offset:         136
        .size:           8
        .value_kind:     by_value
      - .offset:         144
        .size:           8
        .value_kind:     by_value
      - .offset:         152
        .size:           8
        .value_kind:     by_value
      - .address_space:  global
        .offset:         160
        .size:           8
        .value_kind:     global_buffer
      - .address_space:  global
        .offset:         168
        .size:           8
        .value_kind:     global_buffer
      - .offset:         176
        .size:           4
        .value_kind:     by_value
      - .offset:         184
        .size:           8
        .value_kind:     by_value
      - .address_space:  global
        .offset:         192
        .size:           8
        .value_kind:     global_buffer
      - .offset:         200
        .size:           4
        .value_kind:     hidden_block_count_x
      - .offset:         204
        .size:           4
        .value_kind:     hidden_block_count_y
      - .offset:         208
        .size:           4
        .value_kind:     hidden_block_count_z
      - .offset:         212
        .size:           2
        .value_kind:     hidden_group_size_x
      - .offset:         214
        .size:           2
        .value_kind:     hidden_group_size_y
      - .offset:         216
        .size:           2
        .value_kind:     hidden_group_size_z
      - .offset:         218
        .size:           2
        .value_kind:     hidden_remainder_x
      - .offset:         220
        .size:           2
        .value_kind:     hidden_remainder_y
      - .offset:         222
        .size:           2
        .value_kind:     hidden_remainder_z
      - .offset:         240
        .size:           8
        .value_kind:     hidden_global_offset_x
      - .offset:         248
        .size:           8
        .value_kind:     hidden_global_offset_y
      - .offset:         256
        .size:           8
        .value_kind:     hidden_global_offset_z
      - .offset:         264
        .size:           2
        .value_kind:     hidden_grid_dims
    .group_segment_fixed_size: 2072
    .kernarg_segment_align: 8
    .kernarg_segment_size: 456
    .language:       OpenCL C
    .language_version:
      - 2
      - 0
    .max_flat_workgroup_size: 1024
    .name:           _ZN9rocsolver6v33100L13bdsqr_computeILi256E19rocblas_complex_numIdEdPS3_S4_S4_EEviiiiPT1_lS6_lT2_iilT3_iilT4_iiliS5_S5_S5_S5_PiS6_ilSA_
    .private_segment_fixed_size: 0
    .sgpr_count:     106
    .sgpr_spill_count: 2
    .symbol:         _ZN9rocsolver6v33100L13bdsqr_computeILi256E19rocblas_complex_numIdEdPS3_S4_S4_EEviiiiPT1_lS6_lT2_iilT3_iilT4_iiliS5_S5_S5_S5_PiS6_ilSA_.kd
    .uniform_work_group_size: 1
    .uses_dynamic_stack: false
    .vgpr_count:     45
    .vgpr_spill_count: 0
    .wavefront_size: 32
    .workgroup_processor_mode: 1
  - .args:
      - .offset:         0
        .size:           4
        .value_kind:     by_value
      - .offset:         4
        .size:           4
        .value_kind:     by_value
      - .offset:         8
        .size:           4
        .value_kind:     by_value
      - .offset:         12
        .size:           4
        .value_kind:     by_value
      - .address_space:  global
        .offset:         16
        .size:           8
        .value_kind:     global_buffer
      - .offset:         24
        .size:           4
        .value_kind:     by_value
      - .offset:         28
        .size:           4
        .value_kind:     by_value
      - .offset:         32
        .size:           8
        .value_kind:     by_value
      - .address_space:  global
        .offset:         40
        .size:           8
        .value_kind:     global_buffer
      - .offset:         48
        .size:           4
        .value_kind:     by_value
      - .offset:         52
        .size:           4
        .value_kind:     by_value
      - .offset:         56
        .size:           8
        .value_kind:     by_value
      - .address_space:  global
        .offset:         64
        .size:           8
        .value_kind:     global_buffer
      - .offset:         72
        .size:           4
        .value_kind:     by_value
      - .offset:         76
        .size:           4
        .value_kind:     by_value
      - .offset:         80
        .size:           8
        .value_kind:     by_value
      - .offset:         88
        .size:           4
        .value_kind:     by_value
      - .address_space:  global
        .offset:         96
        .size:           8
        .value_kind:     global_buffer
      - .address_space:  global
        .offset:         104
        .size:           8
        .value_kind:     global_buffer
      - .offset:         112
        .size:           4
        .value_kind:     by_value
      - .offset:         120
        .size:           8
        .value_kind:     by_value
      - .address_space:  global
        .offset:         128
        .size:           8
        .value_kind:     global_buffer
      - .offset:         136
        .size:           4
        .value_kind:     hidden_block_count_x
      - .offset:         140
        .size:           4
        .value_kind:     hidden_block_count_y
      - .offset:         144
        .size:           4
        .value_kind:     hidden_block_count_z
      - .offset:         148
        .size:           2
        .value_kind:     hidden_group_size_x
      - .offset:         150
        .size:           2
        .value_kind:     hidden_group_size_y
      - .offset:         152
        .size:           2
        .value_kind:     hidden_group_size_z
      - .offset:         154
        .size:           2
        .value_kind:     hidden_remainder_x
      - .offset:         156
        .size:           2
        .value_kind:     hidden_remainder_y
      - .offset:         158
        .size:           2
        .value_kind:     hidden_remainder_z
      - .offset:         176
        .size:           8
        .value_kind:     hidden_global_offset_x
      - .offset:         184
        .size:           8
        .value_kind:     hidden_global_offset_y
      - .offset:         192
        .size:           8
        .value_kind:     hidden_global_offset_z
      - .offset:         200
        .size:           2
        .value_kind:     hidden_grid_dims
    .group_segment_fixed_size: 0
    .kernarg_segment_align: 8
    .kernarg_segment_size: 392
    .language:       OpenCL C
    .language_version:
      - 2
      - 0
    .max_flat_workgroup_size: 1024
    .name:           _ZN9rocsolver6v33100L12bdsqr_rotateI19rocblas_complex_numIdEdPS3_S4_S4_EEviiiiT1_iilT2_iilT3_iiliPiPT0_ilS8_
    .private_segment_fixed_size: 0
    .sgpr_count:     44
    .sgpr_spill_count: 0
    .symbol:         _ZN9rocsolver6v33100L12bdsqr_rotateI19rocblas_complex_numIdEdPS3_S4_S4_EEviiiiT1_iilT2_iilT3_iiliPiPT0_ilS8_.kd
    .uniform_work_group_size: 1
    .uses_dynamic_stack: false
    .vgpr_count:     29
    .vgpr_spill_count: 0
    .wavefront_size: 32
    .workgroup_processor_mode: 1
  - .args:
      - .offset:         0
        .size:           4
        .value_kind:     by_value
      - .address_space:  global
        .offset:         8
        .size:           8
        .value_kind:     global_buffer
      - .offset:         16
        .size:           8
        .value_kind:     by_value
      - .address_space:  global
        .offset:         24
        .size:           8
        .value_kind:     global_buffer
      - .address_space:  global
        .offset:         32
        .size:           8
        .value_kind:     global_buffer
      - .offset:         40
        .size:           8
        .value_kind:     by_value
      - .address_space:  global
        .offset:         48
        .size:           8
        .value_kind:     global_buffer
      - .offset:         56
        .size:           4
        .value_kind:     hidden_block_count_x
      - .offset:         60
        .size:           4
        .value_kind:     hidden_block_count_y
      - .offset:         64
        .size:           4
        .value_kind:     hidden_block_count_z
      - .offset:         68
        .size:           2
        .value_kind:     hidden_group_size_x
      - .offset:         70
        .size:           2
        .value_kind:     hidden_group_size_y
      - .offset:         72
        .size:           2
        .value_kind:     hidden_group_size_z
      - .offset:         74
        .size:           2
        .value_kind:     hidden_remainder_x
      - .offset:         76
        .size:           2
        .value_kind:     hidden_remainder_y
      - .offset:         78
        .size:           2
        .value_kind:     hidden_remainder_z
      - .offset:         96
        .size:           8
        .value_kind:     hidden_global_offset_x
      - .offset:         104
        .size:           8
        .value_kind:     hidden_global_offset_y
      - .offset:         112
        .size:           8
        .value_kind:     hidden_global_offset_z
      - .offset:         120
        .size:           2
        .value_kind:     hidden_grid_dims
    .group_segment_fixed_size: 0
    .kernarg_segment_align: 8
    .kernarg_segment_size: 312
    .language:       OpenCL C
    .language_version:
      - 2
      - 0
    .max_flat_workgroup_size: 1024
    .name:           _ZN9rocsolver6v33100L22bdsqr_update_endpointsI19rocblas_complex_numIdEdEEviPT0_lPiS5_lS6_
    .private_segment_fixed_size: 0
    .sgpr_count:     26
    .sgpr_spill_count: 0
    .symbol:         _ZN9rocsolver6v33100L22bdsqr_update_endpointsI19rocblas_complex_numIdEdEEviPT0_lPiS5_lS6_.kd
    .uniform_work_group_size: 1
    .uses_dynamic_stack: false
    .vgpr_count:     14
    .vgpr_spill_count: 0
    .wavefront_size: 32
    .workgroup_processor_mode: 1
  - .args:
      - .offset:         0
        .size:           4
        .value_kind:     by_value
      - .offset:         4
        .size:           4
        .value_kind:     by_value
      - .address_space:  global
        .offset:         8
        .size:           8
        .value_kind:     global_buffer
      - .address_space:  global
        .offset:         16
        .size:           8
        .value_kind:     global_buffer
      - .offset:         24
        .size:           8
        .value_kind:     by_value
      - .address_space:  global
        .offset:         32
        .size:           8
        .value_kind:     global_buffer
    .group_segment_fixed_size: 0
    .kernarg_segment_align: 8
    .kernarg_segment_size: 40
    .language:       OpenCL C
    .language_version:
      - 2
      - 0
    .max_flat_workgroup_size: 1024
    .name:           _ZN9rocsolver6v33100L19bdsqr_chk_completedI19rocblas_complex_numIdEdEEviiPiPT0_lS4_
    .private_segment_fixed_size: 0
    .sgpr_count:     22
    .sgpr_spill_count: 0
    .symbol:         _ZN9rocsolver6v33100L19bdsqr_chk_completedI19rocblas_complex_numIdEdEEviiPiPT0_lS4_.kd
    .uniform_work_group_size: 1
    .uses_dynamic_stack: false
    .vgpr_count:     6
    .vgpr_spill_count: 0
    .wavefront_size: 32
    .workgroup_processor_mode: 1
  - .args:
      - .offset:         0
        .size:           4
        .value_kind:     by_value
      - .offset:         4
        .size:           4
        .value_kind:     by_value
      - .offset:         8
        .size:           4
        .value_kind:     by_value
      - .offset:         12
        .size:           4
        .value_kind:     by_value
      - .address_space:  global
        .offset:         16
        .size:           8
        .value_kind:     global_buffer
      - .offset:         24
        .size:           8
        .value_kind:     by_value
      - .address_space:  global
        .offset:         32
        .size:           8
        .value_kind:     global_buffer
      - .offset:         40
        .size:           8
        .value_kind:     by_value
      - .address_space:  global
        .offset:         48
        .size:           8
        .value_kind:     global_buffer
      - .offset:         56
        .size:           4
        .value_kind:     by_value
      - .offset:         60
        .size:           4
        .value_kind:     by_value
      - .offset:         64
        .size:           8
        .value_kind:     by_value
      - .address_space:  global
        .offset:         72
        .size:           8
        .value_kind:     global_buffer
      - .offset:         80
        .size:           4
        .value_kind:     by_value
      - .offset:         84
        .size:           4
        .value_kind:     by_value
      - .offset:         88
        .size:           8
        .value_kind:     by_value
      - .address_space:  global
        .offset:         96
        .size:           8
        .value_kind:     global_buffer
      - .offset:         104
        .size:           4
        .value_kind:     by_value
      - .offset:         108
        .size:           4
        .value_kind:     by_value
      - .offset:         112
        .size:           8
        .value_kind:     by_value
      - .address_space:  global
        .offset:         120
        .size:           8
        .value_kind:     global_buffer
      - .address_space:  global
        .offset:         128
        .size:           8
        .value_kind:     global_buffer
      - .address_space:  global
        .offset:         136
        .size:           8
        .value_kind:     global_buffer
      - .offset:         144
        .size:           4
        .value_kind:     hidden_block_count_x
      - .offset:         148
        .size:           4
        .value_kind:     hidden_block_count_y
      - .offset:         152
        .size:           4
        .value_kind:     hidden_block_count_z
      - .offset:         156
        .size:           2
        .value_kind:     hidden_group_size_x
      - .offset:         158
        .size:           2
        .value_kind:     hidden_group_size_y
      - .offset:         160
        .size:           2
        .value_kind:     hidden_group_size_z
      - .offset:         162
        .size:           2
        .value_kind:     hidden_remainder_x
      - .offset:         164
        .size:           2
        .value_kind:     hidden_remainder_y
      - .offset:         166
        .size:           2
        .value_kind:     hidden_remainder_z
      - .offset:         184
        .size:           8
        .value_kind:     hidden_global_offset_x
      - .offset:         192
        .size:           8
        .value_kind:     hidden_global_offset_y
      - .offset:         200
        .size:           8
        .value_kind:     hidden_global_offset_z
      - .offset:         208
        .size:           2
        .value_kind:     hidden_grid_dims
      - .offset:         224
        .size:           8
        .value_kind:     hidden_hostcall_buffer
    .group_segment_fixed_size: 65536
    .kernarg_segment_align: 8
    .kernarg_segment_size: 400
    .language:       OpenCL C
    .language_version:
      - 2
      - 0
    .max_flat_workgroup_size: 1024
    .name:           _ZN9rocsolver6v33100L14bdsqr_finalizeI19rocblas_complex_numIdEdPS3_S4_S4_EEviiiiPT0_lS6_lT1_iilT2_iilT3_iilPiSA_SA_
    .private_segment_fixed_size: 112
    .sgpr_count:     62
    .sgpr_spill_count: 0
    .symbol:         _ZN9rocsolver6v33100L14bdsqr_finalizeI19rocblas_complex_numIdEdPS3_S4_S4_EEviiiiPT0_lS6_lT1_iilT2_iilT3_iilPiSA_SA_.kd
    .uniform_work_group_size: 1
    .uses_dynamic_stack: false
    .vgpr_count:     46
    .vgpr_spill_count: 0
    .wavefront_size: 32
    .workgroup_processor_mode: 1
  - .args:
      - .offset:         0
        .size:           4
        .value_kind:     by_value
      - .offset:         4
        .size:           4
        .value_kind:     by_value
      - .address_space:  global
        .offset:         8
        .size:           8
        .value_kind:     global_buffer
      - .offset:         16
        .size:           4
        .value_kind:     by_value
      - .offset:         20
        .size:           4
        .value_kind:     by_value
      - .offset:         24
        .size:           8
        .value_kind:     by_value
      - .address_space:  global
        .offset:         32
        .size:           8
        .value_kind:     global_buffer
      - .offset:         40
        .size:           4
        .value_kind:     by_value
      - .offset:         44
        .size:           4
        .value_kind:     by_value
      - .offset:         48
        .size:           8
        .value_kind:     by_value
      - .offset:         56
        .size:           1
        .value_kind:     by_value
      - .offset:         60
        .size:           4
        .value_kind:     by_value
      - .offset:         64
        .size:           4
        .value_kind:     by_value
      - .offset:         72
        .size:           4
        .value_kind:     hidden_block_count_x
      - .offset:         76
        .size:           4
        .value_kind:     hidden_block_count_y
      - .offset:         80
        .size:           4
        .value_kind:     hidden_block_count_z
      - .offset:         84
        .size:           2
        .value_kind:     hidden_group_size_x
      - .offset:         86
        .size:           2
        .value_kind:     hidden_group_size_y
      - .offset:         88
        .size:           2
        .value_kind:     hidden_group_size_z
      - .offset:         90
        .size:           2
        .value_kind:     hidden_remainder_x
      - .offset:         92
        .size:           2
        .value_kind:     hidden_remainder_y
      - .offset:         94
        .size:           2
        .value_kind:     hidden_remainder_z
      - .offset:         112
        .size:           8
        .value_kind:     hidden_global_offset_x
      - .offset:         120
        .size:           8
        .value_kind:     hidden_global_offset_y
      - .offset:         128
        .size:           8
        .value_kind:     hidden_global_offset_z
      - .offset:         136
        .size:           2
        .value_kind:     hidden_grid_dims
    .group_segment_fixed_size: 0
    .kernarg_segment_align: 8
    .kernarg_segment_size: 328
    .language:       OpenCL C
    .language_version:
      - 2
      - 0
    .max_flat_workgroup_size: 1024
    .name:           _ZN9rocsolver6v33100L8copy_matI19rocblas_complex_numIdEPS3_S4_NS0_7no_maskEEEviiT0_iilT1_iilT2_13rocblas_fill_17rocblas_diagonal_
    .private_segment_fixed_size: 0
    .sgpr_count:     18
    .sgpr_spill_count: 0
    .symbol:         _ZN9rocsolver6v33100L8copy_matI19rocblas_complex_numIdEPS3_S4_NS0_7no_maskEEEviiT0_iilT1_iilT2_13rocblas_fill_17rocblas_diagonal_.kd
    .uniform_work_group_size: 1
    .uses_dynamic_stack: false
    .vgpr_count:     9
    .vgpr_spill_count: 0
    .wavefront_size: 32
    .workgroup_processor_mode: 1
amdhsa.target:   amdgcn-amd-amdhsa--gfx1100
amdhsa.version:
  - 1
  - 2
...

	.end_amdgpu_metadata
